;; amdgpu-corpus repo=ggml-org/llama.cpp kind=compiled arch=gfx90a opt=O3
	.text
	.amdgcn_target "amdgcn-amd-amdhsa--gfx90a"
	.amdhsa_code_object_version 6
	.section	.text._ZL18flash_attn_ext_f16ILi64ELi64ELi16ELi4ELb0ELb0EEvPKcS1_S1_S1_S1_PKiPfP15HIP_vector_typeIfLj2EEffffjfiS5_IjLj3EEiiiiiiiiiiiliiliiiiil,"axG",@progbits,_ZL18flash_attn_ext_f16ILi64ELi64ELi16ELi4ELb0ELb0EEvPKcS1_S1_S1_S1_PKiPfP15HIP_vector_typeIfLj2EEffffjfiS5_IjLj3EEiiiiiiiiiiiliiliiiiil,comdat
	.globl	_ZL18flash_attn_ext_f16ILi64ELi64ELi16ELi4ELb0ELb0EEvPKcS1_S1_S1_S1_PKiPfP15HIP_vector_typeIfLj2EEffffjfiS5_IjLj3EEiiiiiiiiiiiliiliiiiil ; -- Begin function _ZL18flash_attn_ext_f16ILi64ELi64ELi16ELi4ELb0ELb0EEvPKcS1_S1_S1_S1_PKiPfP15HIP_vector_typeIfLj2EEffffjfiS5_IjLj3EEiiiiiiiiiiiliiliiiiil
	.p2align	8
	.type	_ZL18flash_attn_ext_f16ILi64ELi64ELi16ELi4ELb0ELb0EEvPKcS1_S1_S1_S1_PKiPfP15HIP_vector_typeIfLj2EEffffjfiS5_IjLj3EEiiiiiiiiiiiliiliiiiil,@function
_ZL18flash_attn_ext_f16ILi64ELi64ELi16ELi4ELb0ELb0EEvPKcS1_S1_S1_S1_PKiPfP15HIP_vector_typeIfLj2EEffffjfiS5_IjLj3EEiiiiiiiiiiiliiliiiiil: ; @_ZL18flash_attn_ext_f16ILi64ELi64ELi16ELi4ELb0ELb0EEvPKcS1_S1_S1_S1_PKiPfP15HIP_vector_typeIfLj2EEffffjfiS5_IjLj3EEiiiiiiiiiiiliiliiiiil
; %bb.0:
	s_mov_b64 s[98:99], s[2:3]
	s_mov_b64 s[96:97], s[0:1]
	s_load_dwordx2 s[2:3], s[4:5], 0x80
	s_load_dwordx4 s[24:27], s[4:5], 0x64
	s_add_u32 s96, s96, s7
	s_addc_u32 s97, s97, 0
	v_mov_b32_e32 v4, v0
	s_waitcnt lgkmcnt(0)
	s_abs_i32 s1, s3
	v_cvt_f32_u32_e32 v0, s1
	s_sub_i32 s8, 0, s1
	s_abs_i32 s7, s25
	s_mov_b32 s19, s6
	v_rcp_iflag_f32_e32 v0, v0
	s_xor_b32 s6, s25, s3
	s_ashr_i32 s6, s6, 31
                                        ; implicit-def: $vgpr127 : SGPR spill to VGPR lane
	s_load_dword s20, s[4:5], 0xd0
	v_mul_f32_e32 v0, 0x4f7ffffe, v0
	v_cvt_u32_f32_e32 v0, v0
	s_mov_b32 s0, 0
	v_cvt_f32_ubyte0_e32 v2, 0
	v_readfirstlane_b32 s9, v0
	s_mul_i32 s8, s8, s9
	s_mul_hi_u32 s8, s9, s8
	s_add_i32 s9, s9, s8
	s_mul_hi_u32 s8, s7, s9
	s_mul_i32 s9, s8, s1
	s_sub_i32 s7, s7, s9
	s_add_i32 s10, s8, 1
	s_sub_i32 s9, s7, s1
	s_cmp_ge_u32 s7, s1
	s_cselect_b32 s8, s10, s8
	s_cselect_b32 s7, s9, s7
	s_add_i32 s9, s8, 1
	s_cmp_ge_u32 s7, s1
	s_cselect_b32 s1, s9, s8
	s_add_i32 s2, s2, 63
	s_xor_b32 s1, s1, s6
	s_ashr_i32 s7, s2, 31
	s_sub_i32 s33, s1, s6
	s_lshr_b32 s1, s7, 26
	s_add_i32 s2, s2, s1
	s_add_i32 s1, s24, 15
	s_lshr_b32 s6, s1, 4
	s_add_i32 s1, s33, 3
	s_ashr_i32 s92, s2, 6
	s_ashr_i32 s2, s1, 31
	s_lshr_b32 s2, s2, 30
	s_add_i32 s1, s1, s2
	s_ashr_i32 s1, s1, 2
	v_writelane_b32 v127, s6, 0
	s_mul_i32 s2, s6, s92
	v_writelane_b32 v127, s2, 1
	s_mul_i32 s1, s2, s1
	;; [unrolled: 2-line block ×3, first 2 shown]
	s_mul_i32 s6, s1, s26
	s_ashr_i32 s7, s6, 31
	v_writelane_b32 v127, s1, 3
	s_mul_i32 s1, s7, s19
	s_mul_hi_u32 s2, s6, s19
	s_add_i32 s1, s2, s1
	s_add_u32 s2, s4, 0xd0
	s_waitcnt lgkmcnt(0)
	v_cvt_f32_u32_e32 v0, s20
	s_addc_u32 s3, s5, 0
	v_writelane_b32 v127, s2, 4
	s_mul_i32 s8, s6, s19
	v_writelane_b32 v127, s3, 5
	s_cmp_lg_u64 s[0:1], 0
	s_cbranch_scc0 .LBB0_2
; %bb.1:
	v_madmk_f32 v1, v2, 0x4f800000, v0
	v_rcp_f32_e32 v1, v1
	s_sub_u32 s0, 0, s20
	s_subb_u32 s9, 0, 0
	s_mov_b64 s[2:3], 0
	v_mul_f32_e32 v1, 0x5f7ffffc, v1
	v_mul_f32_e32 v3, 0x2f800000, v1
	v_trunc_f32_e32 v3, v3
	v_madmk_f32 v1, v3, 0xcf800000, v1
	v_cvt_u32_f32_e32 v3, v3
	v_cvt_u32_f32_e32 v1, v1
	v_readfirstlane_b32 s10, v3
	v_readfirstlane_b32 s11, v1
	s_mul_hi_u32 s13, s0, s11
	s_mul_i32 s14, s0, s10
	s_mul_i32 s12, s9, s11
	s_add_i32 s13, s13, s14
	s_add_i32 s13, s13, s12
	s_mul_i32 s15, s0, s11
	s_mul_hi_u32 s12, s11, s13
	s_mul_i32 s14, s11, s13
	s_mul_hi_u32 s11, s11, s15
	s_add_u32 s11, s11, s14
	s_addc_u32 s12, 0, s12
	s_mul_hi_u32 s16, s10, s15
	s_mul_i32 s15, s10, s15
	s_add_u32 s11, s11, s15
	s_mul_hi_u32 s14, s10, s13
	s_addc_u32 s11, s12, s16
	s_addc_u32 s12, s14, 0
	s_mul_i32 s13, s10, s13
	s_add_u32 s11, s11, s13
	s_addc_u32 s12, 0, s12
	v_add_co_u32_e32 v1, vcc, s11, v1
	s_cmp_lg_u64 vcc, 0
	s_addc_u32 s10, s10, s12
	v_readfirstlane_b32 s12, v1
	s_mul_i32 s11, s0, s10
	s_mul_hi_u32 s13, s0, s12
	s_add_i32 s11, s13, s11
	s_mul_i32 s9, s9, s12
	s_add_i32 s11, s11, s9
	s_mul_i32 s0, s0, s12
	s_mul_hi_u32 s13, s10, s0
	s_mul_i32 s14, s10, s0
	s_mul_i32 s16, s12, s11
	s_mul_hi_u32 s0, s12, s0
	s_mul_hi_u32 s15, s12, s11
	s_add_u32 s0, s0, s16
	s_addc_u32 s12, 0, s15
	s_add_u32 s0, s0, s14
	s_mul_hi_u32 s9, s10, s11
	s_addc_u32 s0, s12, s13
	s_addc_u32 s9, s9, 0
	s_mul_i32 s11, s10, s11
	s_add_u32 s0, s0, s11
	s_addc_u32 s9, 0, s9
	v_add_co_u32_e32 v1, vcc, s0, v1
	s_cmp_lg_u64 vcc, 0
	s_addc_u32 s9, s10, s9
	s_ashr_i32 s10, s1, 31
	s_add_u32 s0, s8, s10
	s_mov_b32 s11, s10
	s_addc_u32 s1, s1, s10
	s_xor_b64 s[0:1], s[0:1], s[10:11]
	v_readfirstlane_b32 s14, v1
	s_mul_i32 s13, s0, s9
	s_mul_hi_u32 s15, s0, s14
	s_mul_hi_u32 s12, s0, s9
	s_add_u32 s13, s15, s13
	s_addc_u32 s12, 0, s12
	s_mul_hi_u32 s16, s1, s14
	s_mul_i32 s14, s1, s14
	s_add_u32 s13, s13, s14
	s_mul_hi_u32 s15, s1, s9
	s_addc_u32 s12, s12, s16
	s_addc_u32 s13, s15, 0
	s_mul_i32 s9, s1, s9
	s_add_u32 s9, s12, s9
	s_addc_u32 s12, 0, s13
	s_add_u32 s13, s9, 1
	s_addc_u32 s14, s12, 0
	s_add_u32 s15, s9, 2
	s_mul_i32 s17, s20, s12
	s_mul_hi_u32 s18, s20, s9
	s_addc_u32 s16, s12, 0
	s_add_i32 s18, s18, s17
	s_mul_i32 s17, s20, s9
	v_mov_b32_e32 v1, s17
	v_sub_co_u32_e32 v1, vcc, s0, v1
	s_cmp_lg_u64 vcc, 0
	s_subb_u32 s0, s1, s18
	v_subrev_co_u32_e32 v3, vcc, s20, v1
	s_cmp_lg_u64 vcc, 0
	s_subb_u32 s1, s0, 0
	v_readfirstlane_b32 s17, v3
	s_cmp_ge_u32 s17, s20
	s_cselect_b32 s17, -1, 0
	s_cmp_eq_u32 s1, 0
	s_cselect_b32 s1, s17, -1
	s_cmp_lg_u32 s1, 0
	s_cselect_b32 s1, s16, s14
	v_readfirstlane_b32 s14, v1
	s_cselect_b32 s13, s15, s13
	s_cmp_ge_u32 s14, s20
	s_cselect_b32 s14, -1, 0
	s_cmp_eq_u32 s0, 0
	s_cselect_b32 s0, s14, -1
	s_cmp_lg_u32 s0, 0
	s_cselect_b32 s1, s1, s12
	s_cselect_b32 s0, s13, s9
	s_xor_b64 s[0:1], s[0:1], s[10:11]
	s_sub_u32 s50, s0, s10
	s_branch .LBB0_3
.LBB0_2:
	s_mov_b64 s[2:3], -1
                                        ; implicit-def: $sgpr50_sgpr51
.LBB0_3:
	s_load_dwordx2 s[0:1], s[4:5], 0x74
	v_cvt_f32_u32_e32 v1, s20
	s_andn2_b64 vcc, exec, s[2:3]
	s_waitcnt lgkmcnt(0)
	v_writelane_b32 v127, s0, 6
	v_writelane_b32 v127, s1, 7
	s_cbranch_vccnz .LBB0_5
; %bb.4:
	v_rcp_iflag_f32_e32 v3, v1
	s_sub_i32 s0, 0, s20
	v_mul_f32_e32 v3, 0x4f7ffffe, v3
	v_cvt_u32_f32_e32 v3, v3
	v_readfirstlane_b32 s1, v3
	s_mul_i32 s0, s0, s1
	s_mul_hi_u32 s0, s1, s0
	s_add_i32 s1, s1, s0
	s_mul_hi_u32 s0, s8, s1
	s_mul_i32 s2, s0, s20
	s_sub_i32 s2, s8, s2
	s_add_i32 s1, s0, 1
	s_sub_i32 s3, s2, s20
	s_cmp_ge_u32 s2, s20
	s_cselect_b32 s0, s1, s0
	s_cselect_b32 s2, s3, s2
	s_add_i32 s1, s0, 1
	s_cmp_ge_u32 s2, s20
	s_cselect_b32 s50, s1, s0
.LBB0_5:
	s_add_i32 s0, s19, 1
	s_mul_i32 s1, s7, s0
	s_mul_hi_u32 s2, s6, s0
	s_add_i32 s3, s2, s1
	s_mov_b32 s2, 0
	s_cmp_lg_u64 s[2:3], 0
	s_mul_i32 s2, s6, s0
	s_cbranch_scc0 .LBB0_7
; %bb.6:
	v_madmk_f32 v0, v2, 0x4f800000, v0
	v_rcp_f32_e32 v0, v0
	s_sub_u32 s6, 0, s20
	s_subb_u32 s7, 0, 0
	s_mov_b64 s[0:1], 0
	v_mul_f32_e32 v0, 0x5f7ffffc, v0
	v_mul_f32_e32 v2, 0x2f800000, v0
	v_trunc_f32_e32 v2, v2
	v_madmk_f32 v0, v2, 0xcf800000, v0
	v_cvt_u32_f32_e32 v2, v2
	v_cvt_u32_f32_e32 v0, v0
	v_readfirstlane_b32 s8, v2
	v_readfirstlane_b32 s9, v0
	s_mul_hi_u32 s11, s6, s9
	s_mul_i32 s12, s6, s8
	s_mul_i32 s10, s7, s9
	s_add_i32 s11, s11, s12
	s_add_i32 s11, s11, s10
	s_mul_i32 s13, s6, s9
	s_mul_hi_u32 s10, s9, s11
	s_mul_i32 s12, s9, s11
	s_mul_hi_u32 s9, s9, s13
	s_add_u32 s9, s9, s12
	s_addc_u32 s10, 0, s10
	s_mul_hi_u32 s14, s8, s13
	s_mul_i32 s13, s8, s13
	s_add_u32 s9, s9, s13
	s_mul_hi_u32 s12, s8, s11
	s_addc_u32 s9, s10, s14
	s_addc_u32 s10, s12, 0
	s_mul_i32 s11, s8, s11
	s_add_u32 s9, s9, s11
	s_addc_u32 s10, 0, s10
	v_add_co_u32_e32 v0, vcc, s9, v0
	s_cmp_lg_u64 vcc, 0
	s_addc_u32 s8, s8, s10
	v_readfirstlane_b32 s10, v0
	s_mul_i32 s9, s6, s8
	s_mul_hi_u32 s11, s6, s10
	s_add_i32 s9, s11, s9
	s_mul_i32 s7, s7, s10
	s_add_i32 s9, s9, s7
	s_mul_i32 s6, s6, s10
	s_mul_hi_u32 s11, s8, s6
	s_mul_i32 s12, s8, s6
	s_mul_i32 s14, s10, s9
	s_mul_hi_u32 s6, s10, s6
	s_mul_hi_u32 s13, s10, s9
	s_add_u32 s6, s6, s14
	s_addc_u32 s10, 0, s13
	s_add_u32 s6, s6, s12
	s_mul_hi_u32 s7, s8, s9
	s_addc_u32 s6, s10, s11
	s_addc_u32 s7, s7, 0
	s_mul_i32 s9, s8, s9
	s_add_u32 s6, s6, s9
	s_addc_u32 s7, 0, s7
	v_add_co_u32_e32 v0, vcc, s6, v0
	s_cmp_lg_u64 vcc, 0
	s_addc_u32 s10, s8, s7
	s_ashr_i32 s6, s3, 31
	s_add_u32 s8, s2, s6
	s_mov_b32 s7, s6
	s_addc_u32 s9, s3, s6
	s_xor_b64 s[8:9], s[8:9], s[6:7]
	v_readfirstlane_b32 s12, v0
	s_mul_i32 s11, s8, s10
	s_mul_hi_u32 s13, s8, s12
	s_mul_hi_u32 s3, s8, s10
	s_add_u32 s11, s13, s11
	s_addc_u32 s3, 0, s3
	s_mul_hi_u32 s14, s9, s12
	s_mul_i32 s12, s9, s12
	s_add_u32 s11, s11, s12
	s_mul_hi_u32 s13, s9, s10
	s_addc_u32 s3, s3, s14
	s_addc_u32 s11, s13, 0
	s_mul_i32 s10, s9, s10
	s_add_u32 s3, s3, s10
	s_addc_u32 s10, 0, s11
	s_add_u32 s11, s3, 1
	s_addc_u32 s12, s10, 0
	s_add_u32 s13, s3, 2
	s_mul_i32 s15, s20, s10
	s_mul_hi_u32 s16, s20, s3
	s_addc_u32 s14, s10, 0
	s_add_i32 s16, s16, s15
	s_mul_i32 s15, s20, s3
	v_mov_b32_e32 v0, s15
	v_sub_co_u32_e32 v0, vcc, s8, v0
	s_cmp_lg_u64 vcc, 0
	s_subb_u32 s8, s9, s16
	v_subrev_co_u32_e32 v2, vcc, s20, v0
	s_cmp_lg_u64 vcc, 0
	s_subb_u32 s9, s8, 0
	v_readfirstlane_b32 s15, v2
	s_cmp_ge_u32 s15, s20
	s_cselect_b32 s15, -1, 0
	s_cmp_eq_u32 s9, 0
	s_cselect_b32 s9, s15, -1
	s_cmp_lg_u32 s9, 0
	s_cselect_b32 s9, s14, s12
	v_readfirstlane_b32 s12, v0
	s_cselect_b32 s11, s13, s11
	s_cmp_ge_u32 s12, s20
	s_cselect_b32 s12, -1, 0
	s_cmp_eq_u32 s8, 0
	s_cselect_b32 s8, s12, -1
	s_cmp_lg_u32 s8, 0
	s_cselect_b32 s9, s9, s10
	s_cselect_b32 s8, s11, s3
	s_xor_b64 s[8:9], s[8:9], s[6:7]
	s_sub_u32 s54, s8, s6
	s_branch .LBB0_8
.LBB0_7:
	s_mov_b64 s[0:1], -1
                                        ; implicit-def: $sgpr54_sgpr55
.LBB0_8:
	s_load_dwordx2 s[38:39], s[4:5], 0x5c
	v_writelane_b32 v127, s19, 8
	s_andn2_b64 vcc, exec, s[0:1]
	s_cbranch_vccnz .LBB0_10
; %bb.9:
	v_rcp_iflag_f32_e32 v0, v1
	s_sub_i32 s0, 0, s20
	v_mul_f32_e32 v0, 0x4f7ffffe, v0
	v_cvt_u32_f32_e32 v0, v0
	v_readfirstlane_b32 s1, v0
	s_mul_i32 s0, s0, s1
	s_mul_hi_u32 s0, s1, s0
	s_add_i32 s1, s1, s0
	s_mul_hi_u32 s0, s2, s1
	s_mul_i32 s3, s0, s20
	s_sub_i32 s2, s2, s3
	s_add_i32 s1, s0, 1
	s_sub_i32 s3, s2, s20
	s_cmp_ge_u32 s2, s20
	s_cselect_b32 s0, s1, s0
	s_cselect_b32 s2, s3, s2
	s_add_i32 s1, s0, 1
	s_cmp_ge_u32 s2, s20
	s_cselect_b32 s54, s1, s0
.LBB0_10:
	s_abs_i32 s93, s92
	v_cvt_f32_u32_e32 v0, s93
	v_writelane_b32 v127, s20, 9
	s_load_dwordx16 s[8:23], s[4:5], 0x0
	s_load_dword s6, s[4:5], 0x40
	s_load_dwordx2 s[2:3], s[4:5], 0x8c
	s_load_dwordx4 s[28:31], s[4:5], 0x98
	s_load_dwordx2 s[0:1], s[4:5], 0xa8
	s_load_dwordx2 s[42:43], s[4:5], 0xb8
	;; [unrolled: 1-line block ×3, first 2 shown]
	v_rcp_iflag_f32_e32 v0, v0
	s_waitcnt lgkmcnt(0)
	s_ashr_i32 s36, s2, 2
	s_sub_i32 s2, 0, s93
	v_writelane_b32 v127, s0, 10
	v_mul_f32_e32 v0, 0x4f7ffffe, v0
	v_cvt_u32_f32_e32 v0, v0
	v_writelane_b32 v127, s1, 11
	v_readlane_b32 s0, v127, 6
	v_readlane_b32 s1, v127, 7
	s_mov_b32 s1, s3
	v_readfirstlane_b32 s46, v0
	s_ashr_i32 s7, s0, 3
	v_writelane_b32 v127, s0, 12
	s_mul_i32 s2, s2, s46
	v_writelane_b32 v127, s1, 13
	s_ashr_i32 s1, s92, 31
	s_mul_hi_u32 s2, s46, s2
	v_writelane_b32 v127, s1, 14
	s_abs_i32 s1, s50
	s_add_i32 s46, s46, s2
	s_mul_hi_u32 s2, s1, s46
	s_mul_i32 s2, s2, s93
	s_sub_i32 s1, s1, s2
	s_ashr_i32 s51, s27, 3
	s_ashr_i32 s40, s43, 1
	;; [unrolled: 1-line block ×4, first 2 shown]
	s_sub_i32 s2, s1, s93
	s_cmp_ge_u32 s1, s93
	s_cselect_b32 s1, s2, s1
	s_sub_i32 s2, s1, s93
	s_cmp_ge_u32 s1, s93
	s_cselect_b32 s1, s2, s1
	s_xor_b32 s1, s1, s0
	s_sub_i32 s70, s1, s0
	s_sub_i32 s0, s54, s50
	s_add_i32 s4, s0, s70
	s_min_i32 s55, s92, s4
	s_cmp_gt_i32 s54, s50
	s_cselect_b64 s[2:3], -1, 0
	s_cmp_le_i32 s54, s50
	v_cvt_f16_f32_e32 v0, s6
	s_cselect_b64 s[0:1], -1, 0
	s_cmp_gt_i32 s92, s4
	s_cselect_b64 s[4:5], -1, 0
	s_or_b64 s[0:1], s[4:5], s[0:1]
	s_mov_b32 s57, 0
	s_and_b64 vcc, exec, s[0:1]
	v_bfe_u32 v119, v4, 10, 10
	v_pack_b32_f16 v41, v0, v0
	v_writelane_b32 v127, s7, 15
	buffer_store_dword v4, off, s[96:99], 0 offset:148 ; 4-byte Folded Spill
	s_cbranch_vccnz .LBB0_199
; %bb.11:
	v_and_b32_e32 v0, 0x3ff, v4
	v_lshrrev_b32_e32 v1, 5, v0
	v_lshrrev_b32_e32 v3, 3, v0
	s_cmp_eq_u64 s[16:17], 0
	v_lshl_add_u32 v71, v119, 1, v1
	v_and_b32_e32 v1, 15, v0
	v_lshlrev_b32_e32 v7, 2, v3
	s_cselect_b64 s[0:1], -1, 0
	v_mul_u32_u24_e32 v2, 0x90, v1
	v_and_b32_e32 v4, 0x78, v7
	v_writelane_b32 v127, s0, 16
	s_cmp_lg_u64 s[18:19], 0
	v_add3_u32 v57, 0, v2, v4
	v_lshlrev_b32_e32 v2, 1, v0
	v_writelane_b32 v127, s1, 17
	s_cselect_b64 s[0:1], -1, 0
	v_and_b32_e32 v94, 62, v2
	v_lshlrev_b32_e32 v2, 2, v0
	v_lshrrev_b32_e32 v13, 2, v0
	v_lshlrev_b32_e32 v15, 4, v119
	v_writelane_b32 v127, s0, 18
	v_lshl_add_u32 v8, v119, 3, v3
	v_and_b32_e32 v6, 28, v2
	v_and_b32_e32 v14, 60, v13
	v_and_or_b32 v9, v0, 12, v15
	v_writelane_b32 v127, s1, 19
	s_movk_i32 s1, 0x90
	v_mul_u32_u24_e32 v12, 0x90, v8
	v_lshrrev_b32_e32 v16, 2, v9
	v_mul_u32_u24_e32 v17, 0x48, v14
	v_lshlrev_b32_e32 v18, 2, v6
	v_or_b32_e32 v17, v17, v1
	v_or_b32_e32 v13, 3, v13
	v_add3_u32 v67, 0, v12, v18
	v_mad_u32_u24 v12, v16, s1, 0
	v_or_b32_e32 v7, 4, v7
	v_lshl_add_u32 v95, v1, 1, 0
	v_add_u32_e32 v69, v12, v7
	v_lshlrev_b32_e32 v7, 1, v17
	v_mad_u32_u24 v72, v14, s1, v95
	v_mad_u32_u24 v73, v13, s1, v95
	s_add_i32 s1, 0, 0x900
	v_add_u32_e32 v74, s1, v7
	s_add_i32 s1, 0, 0x1200
	v_add_u32_e32 v75, s1, v7
	s_add_i32 s1, 0, 0x1b00
	v_add_u32_e32 v76, s1, v7
	s_add_i32 s1, 0, 0x920
	v_add_u32_e32 v78, s1, v7
	s_add_i32 s1, 0, 0x1220
	v_add_u32_e32 v79, s1, v7
	s_add_i32 s1, 0, 0x1b20
	v_add_u32_e32 v80, s1, v7
	s_add_i32 s1, 0, 0x940
	v_add_u32_e32 v82, s1, v7
	s_add_i32 s1, 0, 0x1240
	v_add_u32_e32 v83, s1, v7
	s_add_i32 s1, 0, 0x1b40
	v_add_u32_e32 v84, s1, v7
	s_add_i32 s1, 0, 0x60
	v_add_u32_e32 v85, s1, v7
	s_add_i32 s1, 0, 0x960
	v_cmp_gt_u32_e64 s[2:3], 16, v0
	v_add_u32_e32 v86, s1, v7
	s_add_i32 s1, 0, 0x1260
	v_writelane_b32 v127, s2, 20
	v_add_u32_e32 v87, s1, v7
	s_add_i32 s1, 0, 0x1b60
	v_writelane_b32 v127, s3, 21
	v_add_u32_e32 v88, s1, v7
	v_readlane_b32 s1, v127, 8
	v_mul_u32_u24_e32 v114, 0x90, v14
	v_lshl_add_u32 v68, v14, 1, v12
	s_lshl_b32 s56, s1, 6
	v_add_u32_e32 v14, 56, v71
	s_ashr_i32 s41, s40, 31
	s_ashr_i32 s37, s36, 31
	;; [unrolled: 1-line block ×3, first 2 shown]
	s_lshl_b64 s[2:3], s[56:57], 3
	v_lshrrev_b32_e32 v14, 2, v14
	s_add_u32 s1, s22, s2
	buffer_store_dword v14, off, s[96:99], 0 offset:8 ; 4-byte Folded Spill
	v_or_b32_e32 v14, v15, v0
	s_addc_u32 s2, s23, s3
	v_lshlrev_b32_e32 v15, 3, v14
	v_readlane_b32 s30, v127, 3
	v_add_u32_e32 v70, 0, v7
	v_add3_u32 v77, 0, 32, v7
	v_add3_u32 v81, 0, 64, v7
	v_add_u32_e32 v7, 16, v71
	v_mov_b32_e32 v16, s2
	v_add_co_u32_e32 v18, vcc, s1, v15
	v_and_b32_e32 v15, 15, v71
	s_movk_i32 s1, 0x7f0
	s_abs_i32 s94, s30
	v_lshrrev_b32_e32 v98, 2, v7
	v_addc_co_u32_e32 v19, vcc, 0, v16, vcc
	v_and_or_b32 v7, v7, s1, v15
	v_cvt_f32_u32_e32 v16, s94
	v_mul_u32_u24_e32 v7, 36, v7
	v_lshl_add_u32 v66, v94, 1, 0
	v_lshlrev_b32_e32 v7, 2, v7
	v_readlane_b32 s6, v127, 2
	v_add_u32_e32 v17, v66, v7
	s_abs_i32 s95, s6
	buffer_store_dword v18, off, s[96:99], 0 offset:92 ; 4-byte Folded Spill
	s_nop 0
	buffer_store_dword v19, off, s[96:99], 0 offset:96 ; 4-byte Folded Spill
	buffer_store_dword v17, off, s[96:99], 0 offset:144 ; 4-byte Folded Spill
	v_rcp_iflag_f32_e32 v16, v16
	v_cvt_f32_u32_e32 v17, s95
	v_mul_u32_u24_e32 v126, 0x90, v13
	v_add_u32_e32 v12, 24, v71
	v_mul_f32_e32 v16, 0x4f7ffffe, v16
	v_rcp_iflag_f32_e32 v17, v17
	v_cvt_u32_f32_e32 v16, v16
	v_add_u32_e32 v13, 40, v71
	v_lshrrev_b32_e32 v105, 2, v12
	v_add_u32_e32 v12, 32, v71
	v_lshrrev_b32_e32 v124, 2, v13
	v_add_u32_e32 v13, 48, v71
	v_readlane_b32 s5, v127, 1
	v_mul_u32_u24_e32 v1, 36, v71
	v_lshrrev_b32_e32 v106, 2, v12
	v_lshrrev_b32_e32 v125, 2, v13
	v_and_or_b32 v12, v12, s1, v15
	v_and_or_b32 v13, v13, s1, v15
	v_mul_f32_e32 v15, 0x4f7ffffe, v17
	s_abs_i32 s52, s5
	v_lshlrev_b32_e32 v1, 2, v1
	v_readfirstlane_b32 s1, v16
	v_cvt_u32_f32_e32 v15, v15
	v_cvt_f32_u32_e32 v16, s52
	s_abs_i32 s34, s42
	v_add_u32_e32 v89, v66, v1
	v_mul_u32_u24_e32 v12, 36, v12
	v_cvt_f32_u32_e32 v17, s34
	v_add_u32_e32 v1, 0, v1
	v_lshlrev_b32_e32 v12, 2, v12
	s_mov_b32 s2, s42
	v_mul_u32_u24_e32 v13, 36, v13
	buffer_store_dword v1, off, s[96:99], 0 offset:88 ; 4-byte Folded Spill
	v_add_u32_e32 v1, 0, v7
	v_writelane_b32 v127, s2, 22
	v_lshlrev_b32_e32 v13, 2, v13
	buffer_store_dword v1, off, s[96:99], 0 offset:152 ; 4-byte Folded Spill
	v_add_u32_e32 v1, 0, v12
	v_writelane_b32 v127, s3, 23
	v_readfirstlane_b32 s2, v15
	v_rcp_iflag_f32_e32 v15, v16
	v_add_u32_e32 v16, v66, v12
	buffer_store_dword v1, off, s[96:99], 0 offset:160 ; 4-byte Folded Spill
	v_add_u32_e32 v1, 0, v13
	v_and_b32_e32 v12, 31, v0
	v_mul_lo_u32 v10, s26, v8
	buffer_store_dword v16, off, s[96:99], 0 offset:156 ; 4-byte Folded Spill
	v_rcp_iflag_f32_e32 v16, v17
	buffer_store_dword v1, off, s[96:99], 0 offset:168 ; 4-byte Folded Spill
	v_lshlrev_b32_e32 v1, 2, v12
	v_ashrrev_i32_e32 v11, 31, v10
	v_lshlrev_b32_e32 v104, 2, v6
	v_mov_b32_e32 v6, s15
	v_add_co_u32_e32 v1, vcc, s14, v1
	v_mul_lo_u32 v4, s36, v8
	v_lshl_add_u32 v8, s26, 5, v10
	buffer_store_dword v1, off, s[96:99], 0 offset:100 ; 4-byte Folded Spill
	v_addc_co_u32_e32 v1, vcc, 0, v6, vcc
	v_lshlrev_b64 v[28:29], 2, v[10:11]
	v_ashrrev_i32_e32 v9, 31, v8
	buffer_store_dword v1, off, s[96:99], 0 offset:104 ; 4-byte Folded Spill
	v_mov_b32_e32 v1, s13
	v_add_co_u32_e32 v6, vcc, s12, v28
	v_mul_f32_e32 v15, 0x4f7ffffe, v15
	v_mul_f32_e32 v16, 0x4f7ffffe, v16
	v_addc_co_u32_e32 v1, vcc, v1, v29, vcc
	v_lshlrev_b64 v[30:31], 2, v[8:9]
	v_ashrrev_i32_e32 v5, 31, v4
	v_cvt_u32_f32_e32 v15, v15
	v_cvt_u32_f32_e32 v16, v16
	buffer_store_dword v6, off, s[96:99], 0 offset:108 ; 4-byte Folded Spill
	buffer_store_dword v1, off, s[96:99], 0 offset:112 ; 4-byte Folded Spill
	v_mov_b32_e32 v1, s13
	v_add_co_u32_e32 v6, vcc, s12, v30
	v_lshl_add_u32 v2, s36, 5, v4
	v_addc_co_u32_e32 v1, vcc, v1, v31, vcc
	v_lshlrev_b64 v[32:33], 2, v[4:5]
	v_ashrrev_i32_e32 v3, 31, v2
	buffer_store_dword v1, off, s[96:99], 0 offset:120 ; 4-byte Folded Spill
	v_mov_b32_e32 v1, s11
	v_add_co_u32_e32 v4, vcc, s10, v32
	s_sub_i32 s4, 0, s34
	v_addc_co_u32_e32 v1, vcc, v1, v33, vcc
	v_lshlrev_b64 v[34:35], 2, v[2:3]
	v_readfirstlane_b32 s3, v15
	v_mul_lo_u32 v15, s4, v16
	buffer_store_dword v1, off, s[96:99], 0 offset:128 ; 4-byte Folded Spill
	v_mov_b32_e32 v1, s11
	v_add_co_u32_e32 v2, vcc, s10, v34
	v_mul_hi_u32 v15, v16, v15
	v_mul_u32_u24_e32 v14, 0x90, v14
	v_addc_co_u32_e32 v1, vcc, v1, v35, vcc
	v_add_u32_e32 v15, v16, v15
	buffer_store_dword v1, off, s[96:99], 0 offset:136 ; 4-byte Folded Spill
	v_add_u32_e32 v1, 0, v14
	buffer_store_dword v15, off, s[96:99], 0 offset:24 ; 4-byte Folded Spill
	v_add_u32_e32 v15, v66, v13
	buffer_store_dword v1, off, s[96:99], 0 offset:140 ; 4-byte Folded Spill
	v_and_b32_e32 v1, 7, v0
	v_and_b32_e32 v0, 3, v0
	buffer_store_dword v15, off, s[96:99], 0 offset:164 ; 4-byte Folded Spill
	buffer_store_dword v6, off, s[96:99], 0 offset:116 ; 4-byte Folded Spill
	;; [unrolled: 1-line block ×5, first 2 shown]
	s_nop 0
	buffer_store_dword v1, off, s[96:99], 0 offset:40 ; 4-byte Folded Spill
	v_add_u32_e32 v2, 8, v71
	v_lshrrev_b32_e32 v0, 2, v71
	buffer_store_dword v0, off, s[96:99], 0 offset:16 ; 4-byte Folded Spill
	buffer_store_dword v2, off, s[96:99], 0 offset:12 ; 4-byte Folded Spill
	v_lshrrev_b32_e32 v0, 2, v2
	buffer_store_dword v0, off, s[96:99], 0 offset:20 ; 4-byte Folded Spill
	v_mbcnt_lo_u32_b32 v0, -1, 0
	v_mbcnt_hi_u32_b32 v103, -1, v0
	v_mov_b32_e32 v0, v12
	s_ashr_i32 s4, s30, 31
	v_writelane_b32 v127, s4, 24
	s_sub_i32 s4, 0, s94
	s_mul_i32 s4, s4, s1
	s_mul_hi_u32 s4, s1, s4
	s_add_i32 s1, s1, s4
	v_writelane_b32 v127, s1, 25
	s_ashr_i32 s1, s6, 31
	v_writelane_b32 v127, s1, 26
	s_sub_i32 s1, 0, s95
	s_mul_i32 s1, s1, s2
	s_mul_hi_u32 s1, s2, s1
	s_add_i32 s1, s2, s1
	v_writelane_b32 v127, s1, 27
	;; [unrolled: 7-line block ×3, first 2 shown]
	s_lshl_b64 s[2:3], s[40:41], 1
	s_movk_i32 s0, 0x900
	v_writelane_b32 v127, s2, 30
	v_and_b32_e32 v54, 3, v71
	v_writelane_b32 v127, s3, 31
	s_lshl_b64 s[64:65], s[26:27], 8
	s_lshl_b64 s[66:67], s[36:37], 8
	s_mov_b32 s41, 0x3fb8aa3b
	s_mov_b32 s63, 0xc2ce8ed0
	;; [unrolled: 1-line block ×5, first 2 shown]
	s_movk_i32 s91, 0x80
	v_mad_u32_u24 v116, v119, s0, v57
	v_mov_b32_e32 v117, 0
	v_mul_u32_u24_e32 v118, 0x90, v71
	v_add_u32_e32 v120, 0x1200, v67
	v_add_u32_e32 v121, 32, v68
	;; [unrolled: 1-line block ×4, first 2 shown]
	v_mov_b32_e32 v99, 0x7f800000
	v_mad_u64_u32 v[42:43], s[0:1], v54, s7, v[12:13]
	v_lshlrev_b32_e32 v38, 4, v1
	buffer_store_dword v0, off, s[96:99], 0 ; 4-byte Folded Spill
	s_nop 0
	buffer_store_dword v1, off, s[96:99], 0 offset:4 ; 4-byte Folded Spill
	v_mov_b32_e32 v0, v94
	buffer_store_dword v0, off, s[96:99], 0 offset:44 ; 4-byte Folded Spill
	s_nop 0
	buffer_store_dword v1, off, s[96:99], 0 offset:48 ; 4-byte Folded Spill
	buffer_store_dword v114, off, s[96:99], 0 offset:76 ; 4-byte Folded Spill
	;; [unrolled: 1-line block ×9, first 2 shown]
	v_mov_b32_e32 v0, v54
	buffer_store_dword v0, off, s[96:99], 0 offset:28 ; 4-byte Folded Spill
	s_nop 0
	buffer_store_dword v1, off, s[96:99], 0 offset:32 ; 4-byte Folded Spill
	s_branch .LBB0_13
.LBB0_12:                               ;   in Loop: Header=BB0_13 Depth=1
	s_or_b64 exec, exec, s[2:3]
	s_add_i32 s0, s50, s92
	s_abs_i32 s2, s0
	s_mul_hi_u32 s3, s2, s46
	s_mul_i32 s3, s3, s93
	s_sub_i32 s2, s2, s3
	s_ashr_i32 s1, s0, 31
	s_sub_i32 s3, s2, s93
	s_cmp_ge_u32 s2, s93
	s_cselect_b32 s2, s3, s2
	s_sub_i32 s3, s2, s93
	s_cmp_ge_u32 s2, s93
	s_cselect_b32 s2, s3, s2
	s_xor_b32 s2, s2, s1
	s_sub_i32 s1, s1, s2
	s_add_i32 s50, s0, s1
	s_sub_i32 s0, s54, s50
	s_min_i32 s55, s92, s0
	s_cmp_gt_i32 s54, s50
	s_cselect_b64 s[2:3], -1, 0
	s_cmp_le_i32 s92, s0
	s_cselect_b64 s[0:1], -1, 0
	s_and_b64 s[0:1], s[0:1], s[2:3]
	s_mov_b32 s70, 0
	s_and_b64 vcc, exec, s[0:1]
	s_cbranch_vccz .LBB0_199
.LBB0_13:                               ; =>This Loop Header: Depth=1
                                        ;     Child Loop BB0_55 Depth 2
                                        ;     Child Loop BB0_144 Depth 2
	s_ashr_i32 s0, s50, 31
	v_readlane_b32 s1, v127, 24
	s_xor_b32 s0, s0, s1
	s_abs_i32 s1, s50
	v_readlane_b32 s2, v127, 25
	s_mul_hi_u32 s2, s1, s2
	s_mul_i32 s3, s2, s94
	s_sub_i32 s1, s1, s3
	s_add_i32 s3, s2, 1
	s_sub_i32 s4, s1, s94
	s_cmp_ge_u32 s1, s94
	s_cselect_b32 s2, s3, s2
	s_cselect_b32 s1, s4, s1
	s_add_i32 s3, s2, 1
	s_cmp_ge_u32 s1, s94
	s_cselect_b32 s1, s3, s2
	s_xor_b32 s1, s1, s0
	s_sub_i32 s2, s1, s0
	v_readlane_b32 s0, v127, 3
	s_mul_i32 s0, s2, s0
	s_sub_i32 s0, s50, s0
	s_ashr_i32 s1, s0, 31
	v_readlane_b32 s3, v127, 26
	s_xor_b32 s1, s1, s3
	s_abs_i32 s3, s0
	v_readlane_b32 s4, v127, 27
	s_mul_hi_u32 s4, s3, s4
	s_mul_i32 s5, s4, s95
	s_sub_i32 s3, s3, s5
	s_add_i32 s5, s4, 1
	s_sub_i32 s6, s3, s95
	s_cmp_ge_u32 s3, s95
	s_cselect_b32 s4, s5, s4
	s_cselect_b32 s3, s6, s3
	s_add_i32 s5, s4, 1
	s_cmp_ge_u32 s3, s95
	s_cselect_b32 s3, s5, s4
	s_xor_b32 s3, s3, s1
	s_sub_i32 s3, s3, s1
	v_readlane_b32 s1, v127, 2
	s_mul_i32 s1, s3, s1
	s_sub_i32 s1, s0, s1
	;; [unrolled: 21-line block ×3, first 2 shown]
	s_ashr_i32 s4, s1, 31
	v_readlane_b32 s5, v127, 14
	s_abs_i32 s1, s1
	s_xor_b32 s4, s4, s5
	s_mul_hi_u32 s5, s1, s46
	s_mul_i32 s6, s5, s93
	s_sub_i32 s1, s1, s6
	s_add_i32 s6, s5, 1
	s_sub_i32 s7, s1, s93
	s_cmp_ge_u32 s1, s93
	s_cselect_b32 s5, s6, s5
	s_cselect_b32 s1, s7, s1
	s_add_i32 s6, s5, 1
	s_cmp_ge_u32 s1, s93
	s_cselect_b32 s1, s6, s5
	v_readlane_b32 s6, v127, 18
	s_xor_b32 s1, s1, s4
	v_readlane_b32 s7, v127, 19
	s_andn2_b64 vcc, exec, s[6:7]
	s_sub_i32 s42, s1, s4
	s_cbranch_vccnz .LBB0_15
; %bb.14:                               ;   in Loop: Header=BB0_13 Depth=1
	v_readlane_b32 s1, v127, 0
	s_mul_i32 s1, s2, s1
	s_add_i32 s4, s42, s1
	s_ashr_i32 s5, s4, 31
	s_lshl_b64 s[4:5], s[4:5], 2
	s_add_u32 s4, s18, s4
	s_addc_u32 s5, s19, s5
	global_load_dword v0, v117, s[4:5]
	s_waitcnt vmcnt(0)
	v_readfirstlane_b32 s1, v0
	s_ashr_i32 s4, s1, 31
	s_lshr_b32 s4, s4, 26
	s_add_i32 s1, s1, s4
	s_ashr_i32 s1, s1, 6
	s_min_i32 s55, s55, s1
.LBB0_15:                               ;   in Loop: Header=BB0_13 Depth=1
	buffer_load_dword v0, off, s[96:99], 0 offset:24 ; 4-byte Folded Reload
	v_readlane_b32 s6, v127, 6
	v_readlane_b32 s7, v127, 7
	s_mul_i32 s1, s3, s33
	s_lshl_b32 s43, s0, 2
	s_mul_i32 s0, s2, s7
	s_add_i32 s4, s43, s1
	s_ashr_i32 s1, s0, 31
	s_add_u32 s0, s8, s0
	s_mul_i32 s5, s4, s6
	s_addc_u32 s1, s9, s1
	s_ashr_i32 s6, s5, 31
	s_add_u32 s0, s0, s5
	s_addc_u32 s1, s1, s6
	s_ashr_i32 s5, s2, 31
	s_mul_i32 s6, s2, s29
	s_mul_hi_u32 s7, s2, s28
	s_add_i32 s6, s7, s6
	s_mul_i32 s7, s5, s28
	v_readlane_b32 s48, v127, 12
	s_add_i32 s7, s6, s7
	s_mul_i32 s6, s2, s28
	v_readlane_b32 s49, v127, 13
	s_add_u32 s30, s10, s6
	s_mul_i32 s53, s3, s49
	s_addc_u32 s35, s11, s7
	s_ashr_i32 s62, s53, 31
	s_add_u32 s61, s30, s53
	s_addc_u32 s35, s35, s62
	s_abs_i32 s30, s2
	v_readlane_b32 s68, v127, 10
	v_readlane_b32 s69, v127, 11
	s_waitcnt vmcnt(0)
	v_mul_hi_u32 v0, s30, v0
	v_mul_lo_u32 v0, v0, s34
	v_sub_u32_e32 v0, s30, v0
	s_mul_i32 s30, s24, s25
	v_subrev_u32_e32 v1, s34, v0
	v_cmp_le_u32_e32 vcc, s34, v0
	s_mul_i32 s30, s30, s2
	v_cndmask_b32_e32 v0, v0, v1, vcc
	s_add_i32 s30, s4, s30
	v_subrev_u32_e32 v1, s34, v0
	v_cmp_le_u32_e32 vcc, s34, v0
	s_lshl_b32 s56, s30, 5
	v_cndmask_b32_e32 v0, v0, v1, vcc
	s_lshl_b64 s[48:49], s[56:57], 3
	v_xor_b32_e32 v0, s5, v0
	s_add_u32 s88, s20, s48
	s_mul_i32 s30, s2, s69
	s_mul_hi_u32 s48, s2, s68
	v_subrev_u32_e32 v0, s5, v0
	s_addc_u32 s58, s21, s49
	s_add_i32 s30, s48, s30
	s_mul_i32 s5, s5, s68
	s_add_i32 s56, s30, s5
	s_mul_i32 s48, s2, s68
	s_add_u32 s2, s12, s48
	s_mul_i32 s49, s3, s31
	s_addc_u32 s5, s13, s56
	s_ashr_i32 s30, s49, 31
	s_add_u32 s59, s2, s49
	s_addc_u32 s60, s5, s30
	s_ashr_i32 s5, s4, 31
	s_lshl_b64 s[2:3], s[4:5], 2
	v_ashrrev_i32_e32 v1, 31, v0
	v_mul_lo_u32 v2, v0, s45
	v_mul_hi_u32 v3, v0, s44
	s_add_u32 s4, s16, s2
	v_add_u32_e32 v2, v3, v2
	v_mul_lo_u32 v1, v1, s44
	v_mul_lo_u32 v44, v0, s44
	s_addc_u32 s5, s17, s3
	v_readlane_b32 s2, v127, 16
	v_add_u32_e32 v45, v2, v1
	v_mov_b32_e32 v0, s15
	v_add_co_u32_e32 v102, vcc, s14, v44
	v_readlane_b32 s3, v127, 17
	v_addc_co_u32_e32 v43, vcc, v0, v45, vcc
	s_and_b64 s[2:3], s[2:3], exec
	v_or_b32_e32 v1, s43, v54
	s_cselect_b32 s69, 0, s5
	s_cselect_b32 s68, 0, s4
	s_cmp_lg_u32 s70, 0
	v_cmp_gt_i32_e32 vcc, s33, v1
	s_cbranch_scc0 .LBB0_50
; %bb.16:                               ;   in Loop: Header=BB0_13 Depth=1
	buffer_load_dword v0, off, s[96:99], 0 offset:16 ; 4-byte Folded Reload
	s_lshl_b32 s43, s42, 4
	s_xor_b64 s[4:5], vcc, -1
	s_waitcnt vmcnt(0)
	v_add_u32_e32 v63, s43, v0
	v_cmp_le_i32_e64 s[2:3], s24, v63
	s_or_b64 s[2:3], s[2:3], s[4:5]
	s_and_saveexec_b64 s[72:73], s[2:3]
	s_xor_b64 s[2:3], exec, s[72:73]
	s_cbranch_execz .LBB0_18
; %bb.17:                               ;   in Loop: Header=BB0_13 Depth=1
	ds_write_b32 v89, v117
.LBB0_18:                               ;   in Loop: Header=BB0_13 Depth=1
	s_andn2_saveexec_b64 s[2:3], s[2:3]
	s_cbranch_execz .LBB0_20
; %bb.19:                               ;   in Loop: Header=BB0_13 Depth=1
	v_mad_u64_u32 v[2:3], s[72:73], v63, s51, v[42:43]
	v_ashrrev_i32_e32 v3, 31, v2
	v_lshlrev_b64 v[2:3], 3, v[2:3]
	v_mov_b32_e32 v0, s1
	v_add_co_u32_e32 v2, vcc, s0, v2
	v_addc_co_u32_e32 v3, vcc, v0, v3, vcc
	global_load_dwordx2 v[2:3], v[2:3], off
	s_waitcnt vmcnt(0)
	v_cvt_f16_f32_e32 v0, v2
	v_cvt_f16_f32_e32 v2, v3
	v_pack_b32_f16 v0, v0, v2
	v_pk_mul_f16 v0, v41, v0
	ds_write_b32 v89, v0
.LBB0_20:                               ;   in Loop: Header=BB0_13 Depth=1
	s_or_b64 exec, exec, s[2:3]
	buffer_load_dword v0, off, s[96:99], 0 offset:20 ; 4-byte Folded Reload
	s_waitcnt vmcnt(0)
	v_add_u32_e32 v62, s43, v0
	v_cmp_le_i32_e32 vcc, s24, v62
	s_or_b64 s[2:3], vcc, s[4:5]
	s_and_saveexec_b64 s[72:73], s[2:3]
	s_xor_b64 s[2:3], exec, s[72:73]
	s_cbranch_execz .LBB0_22
; %bb.21:                               ;   in Loop: Header=BB0_13 Depth=1
	ds_write_b32 v89, v117 offset:1152
.LBB0_22:                               ;   in Loop: Header=BB0_13 Depth=1
	s_andn2_saveexec_b64 s[2:3], s[2:3]
	s_cbranch_execz .LBB0_24
; %bb.23:                               ;   in Loop: Header=BB0_13 Depth=1
	v_mad_u64_u32 v[2:3], s[72:73], v62, s51, v[42:43]
	v_ashrrev_i32_e32 v3, 31, v2
	v_lshlrev_b64 v[2:3], 3, v[2:3]
	v_mov_b32_e32 v0, s1
	v_add_co_u32_e32 v2, vcc, s0, v2
	v_addc_co_u32_e32 v3, vcc, v0, v3, vcc
	global_load_dwordx2 v[2:3], v[2:3], off
	s_waitcnt vmcnt(0)
	v_cvt_f16_f32_e32 v0, v2
	v_cvt_f16_f32_e32 v2, v3
	v_pack_b32_f16 v0, v0, v2
	v_pk_mul_f16 v0, v41, v0
	ds_write_b32 v89, v0 offset:1152
.LBB0_24:                               ;   in Loop: Header=BB0_13 Depth=1
	s_or_b64 exec, exec, s[2:3]
	v_add_u32_e32 v60, s43, v98
	v_cmp_le_i32_e32 vcc, s24, v60
	s_or_b64 s[2:3], vcc, s[4:5]
	s_and_saveexec_b64 s[72:73], s[2:3]
	s_xor_b64 s[2:3], exec, s[72:73]
	s_cbranch_execz .LBB0_26
; %bb.25:                               ;   in Loop: Header=BB0_13 Depth=1
	ds_write_b32 v89, v117 offset:2304
.LBB0_26:                               ;   in Loop: Header=BB0_13 Depth=1
	s_andn2_saveexec_b64 s[2:3], s[2:3]
	s_cbranch_execz .LBB0_28
; %bb.27:                               ;   in Loop: Header=BB0_13 Depth=1
	v_mad_u64_u32 v[2:3], s[72:73], v60, s51, v[42:43]
	v_ashrrev_i32_e32 v3, 31, v2
	v_lshlrev_b64 v[2:3], 3, v[2:3]
	v_mov_b32_e32 v0, s1
	v_add_co_u32_e32 v2, vcc, s0, v2
	v_addc_co_u32_e32 v3, vcc, v0, v3, vcc
	global_load_dwordx2 v[2:3], v[2:3], off
	s_waitcnt vmcnt(0)
	v_cvt_f16_f32_e32 v0, v2
	v_cvt_f16_f32_e32 v2, v3
	v_pack_b32_f16 v0, v0, v2
	v_pk_mul_f16 v0, v41, v0
	ds_write_b32 v89, v0 offset:2304
.LBB0_28:                               ;   in Loop: Header=BB0_13 Depth=1
	s_or_b64 exec, exec, s[2:3]
	;; [unrolled: 27-line block ×6, first 2 shown]
	buffer_load_dword v0, off, s[96:99], 0 offset:8 ; 4-byte Folded Reload
	s_waitcnt vmcnt(0)
	v_add_u32_e32 v23, s43, v0
	v_cmp_le_i32_e32 vcc, s24, v23
	s_or_b64 s[2:3], vcc, s[4:5]
	s_and_saveexec_b64 s[4:5], s[2:3]
	s_xor_b64 s[2:3], exec, s[4:5]
	s_cbranch_execz .LBB0_46
; %bb.45:                               ;   in Loop: Header=BB0_13 Depth=1
	ds_write_b32 v89, v117 offset:8064
.LBB0_46:                               ;   in Loop: Header=BB0_13 Depth=1
	s_andn2_saveexec_b64 s[2:3], s[2:3]
	s_cbranch_execz .LBB0_48
; %bb.47:                               ;   in Loop: Header=BB0_13 Depth=1
	v_mad_u64_u32 v[2:3], s[4:5], v23, s51, v[42:43]
	v_ashrrev_i32_e32 v3, 31, v2
	v_lshlrev_b64 v[2:3], 3, v[2:3]
	v_mov_b32_e32 v0, s1
	v_add_co_u32_e32 v2, vcc, s0, v2
	v_addc_co_u32_e32 v3, vcc, v0, v3, vcc
	global_load_dwordx2 v[2:3], v[2:3], off
	s_waitcnt vmcnt(0)
	v_cvt_f16_f32_e32 v0, v2
	v_cvt_f16_f32_e32 v2, v3
	v_pack_b32_f16 v0, v0, v2
	v_pk_mul_f16 v0, v41, v0
	ds_write_b32 v89, v0 offset:8064
.LBB0_48:                               ;   in Loop: Header=BB0_13 Depth=1
	s_or_b64 exec, exec, s[2:3]
	s_waitcnt lgkmcnt(0)
	s_barrier
	ds_read2_b64 v[6:9], v116 offset1:4
	ds_read2_b64 v[2:5], v116 offset0:8 offset1:12
	s_waitcnt lgkmcnt(0)
	s_barrier
	buffer_load_dword v0, off, s[96:99], 0 offset:12 ; 4-byte Folded Reload
	s_add_i32 s4, s55, -1
	v_add_u32_e32 v12, s43, v71
	s_cmp_gt_i32 s4, s70
	v_mul_hi_u32 v13, s38, v12
	s_waitcnt vmcnt(0)
	v_add_u32_e32 v10, s43, v0
	v_mul_hi_u32 v11, s38, v10
	s_cbranch_scc1 .LBB0_52
; %bb.49:                               ;   in Loop: Header=BB0_13 Depth=1
	v_add_u32_e32 v0, v12, v13
	v_lshrrev_b32_e32 v0, s39, v0
	v_mul_lo_u32 v0, v0, s24
	v_sub_u32_e32 v0, v12, v0
	v_mad_i64_i32 v[48:49], s[2:3], v0, s40, 0
	v_add_u32_e32 v0, v10, v11
	v_lshrrev_b32_e32 v0, s39, v0
	v_mul_lo_u32 v0, v0, s24
	v_sub_u32_e32 v0, v10, v0
	v_mad_i64_i32 v[50:51], s[2:3], v0, s40, 0
	v_and_b32_e32 v0, 64, v103
	s_mov_b32 s5, 0
	v_add_u32_e32 v39, 64, v0
	v_xor_b32_e32 v64, 32, v103
	v_xor_b32_e32 v65, 16, v103
	s_mov_b64 s[2:3], 0
	s_mov_b32 s43, 0xfeffffff
	s_branch .LBB0_53
.LBB0_50:                               ;   in Loop: Header=BB0_13 Depth=1
	s_mov_b64 s[4:5], 0
                                        ; implicit-def: $vgpr4_vgpr5
                                        ; implicit-def: $vgpr2
	s_cbranch_execnz .LBB0_107
.LBB0_51:                               ;   in Loop: Header=BB0_13 Depth=1
	v_readlane_b32 s42, v127, 22
	v_readlane_b32 s43, v127, 23
	s_and_saveexec_b64 s[2:3], s[4:5]
	s_cbranch_execz .LBB0_12
	s_branch .LBB0_196
.LBB0_52:                               ;   in Loop: Header=BB0_13 Depth=1
	s_mov_b64 s[2:3], -1
                                        ; implicit-def: $sgpr5
                                        ; implicit-def: $sgpr43
                                        ; implicit-def: $vgpr48_vgpr49
                                        ; implicit-def: $vgpr50_vgpr51
                                        ; implicit-def: $vgpr39
                                        ; implicit-def: $vgpr64
                                        ; implicit-def: $vgpr65
.LBB0_53:                               ;   in Loop: Header=BB0_13 Depth=1
	s_andn2_b64 vcc, exec, s[2:3]
	v_mov_b32_e32 v115, s5
	v_mov_b32_e32 v52, s5
	;; [unrolled: 1-line block ×11, first 2 shown]
	s_cbranch_vccnz .LBB0_57
; %bb.54:                               ;   in Loop: Header=BB0_13 Depth=1
	v_add_u32_e32 v11, v10, v11
	v_lshrrev_b32_e32 v11, s39, v11
	v_mul_lo_u32 v11, v11, s24
	v_sub_u32_e32 v10, v10, v11
	v_mad_i64_i32 v[50:51], s[2:3], v10, s40, 0
	v_mbcnt_lo_u32_b32 v10, -1, 0
	v_lshlrev_b32_e32 v0, 1, v94
	v_mbcnt_hi_u32_b32 v96, -1, v10
	v_add_co_u32_e32 v0, vcc, v102, v0
	v_add_u32_e32 v13, v12, v13
	v_and_b32_e32 v10, 64, v96
	v_addc_co_u32_e32 v97, vcc, 0, v43, vcc
	v_lshrrev_b32_e32 v13, s39, v13
	v_add_u32_e32 v39, 64, v10
	v_xor_b32_e32 v64, 32, v96
	v_mul_lo_u32 v13, v13, s24
	v_cmp_lt_i32_e32 vcc, v64, v39
	v_xor_b32_e32 v65, 16, v96
	v_sub_u32_e32 v12, v12, v13
	v_cndmask_b32_e32 v10, v96, v64, vcc
	v_cmp_lt_i32_e32 vcc, v65, v39
	v_mad_i64_i32 v[48:49], s[2:3], v12, s40, 0
	v_lshlrev_b32_e32 v100, 2, v10
	v_cndmask_b32_e32 v10, v96, v65, vcc
	v_mov_b32_e32 v107, 0
	v_lshlrev_b32_e32 v101, 2, v10
	s_lshl_b32 s2, s70, 6
	v_mov_b32_e32 v52, 0
	v_mov_b32_e32 v46, 0xfeffffff
	;; [unrolled: 1-line block ×9, first 2 shown]
.LBB0_55:                               ;   Parent Loop BB0_13 Depth=1
                                        ; =>  This Inner Loop Header: Depth=2
	s_ashr_i32 s3, s2, 31
	s_lshl_b64 s[72:73], s[2:3], 1
	s_nop 1
	v_add_co_u32_e32 v12, vcc, s72, v0
	v_mov_b32_e32 v10, s73
	v_addc_co_u32_e32 v13, vcc, v97, v10, vcc
	v_lshlrev_b64 v[10:11], 1, v[48:49]
	v_add_co_u32_e32 v10, vcc, v12, v10
	v_addc_co_u32_e32 v11, vcc, v13, v11, vcc
	global_load_dword v10, v[10:11], off
	v_add_u32_e32 v14, v66, v118
	s_mul_hi_i32 s73, s2, s36
	s_mul_i32 s72, s2, s36
	s_lshl_b64 s[72:73], s[72:73], 2
	s_add_u32 s3, s61, s72
	s_addc_u32 s5, s35, s73
	v_add_u32_e32 v22, 0x800, v57
	v_mov_b32_e32 v24, v52
	v_add_u32_e32 v36, 0x2400, v121
	v_mov_b32_e32 v25, v46
	s_mul_hi_i32 s73, s2, s26
	s_mul_i32 s72, s2, s26
	s_lshl_b64 s[72:73], s[72:73], 2
	s_waitcnt vmcnt(0)
	ds_write_b32 v14, v10 offset:9216
	v_lshlrev_b64 v[10:11], 1, v[50:51]
	v_add_co_u32_e32 v10, vcc, v12, v10
	v_addc_co_u32_e32 v11, vcc, v13, v11, vcc
	global_load_dword v10, v[10:11], off
	v_mov_b32_e32 v11, s5
	s_waitcnt vmcnt(0)
	ds_write_b32 v14, v10 offset:10368
	v_add_co_u32_e32 v10, vcc, s3, v32
	v_addc_co_u32_e32 v11, vcc, v11, v33, vcc
	v_add_co_u32_e32 v10, vcc, v10, v104
	v_addc_co_u32_e32 v11, vcc, 0, v11, vcc
	global_load_dwordx4 v[10:13], v[10:11], off
	s_waitcnt vmcnt(0)
	ds_write_b128 v67, v[10:13]
	v_add_co_u32_e32 v10, vcc, s3, v34
	v_mov_b32_e32 v11, s5
	v_addc_co_u32_e32 v11, vcc, v11, v35, vcc
	v_add_co_u32_e32 v10, vcc, v10, v104
	v_addc_co_u32_e32 v11, vcc, 0, v11, vcc
	global_load_dwordx4 v[10:13], v[10:11], off
	s_add_u32 s3, s59, s72
	s_addc_u32 s5, s60, s73
	s_add_i32 s70, s70, 1
	s_add_i32 s2, s2, 64
	s_cmp_lt_i32 s70, s4
	s_waitcnt vmcnt(0)
	ds_write_b128 v120, v[10:13]
	s_waitcnt lgkmcnt(0)
	s_barrier
	ds_read2_b64 v[10:13], v57 offset1:4
	s_waitcnt lgkmcnt(0)
	v_mfma_f32_16x16x16f16 v[14:17], v[10:11], v[6:7], 0
	v_mfma_f32_16x16x16f16 v[10:13], v[12:13], v[8:9], v[14:17]
	s_nop 7
	s_nop 1
	ds_read2_b64 v[14:17], v57 offset0:8 offset1:12
	s_waitcnt lgkmcnt(0)
	v_mfma_f32_16x16x16f16 v[10:13], v[14:15], v[2:3], v[10:13]
	v_mfma_f32_16x16x16f16 v[10:13], v[16:17], v[4:5], v[10:13]
	ds_read2_b64 v[14:17], v22 offset0:32 offset1:36
	s_waitcnt lgkmcnt(0)
	v_mfma_f32_16x16x16f16 v[18:21], v[14:15], v[6:7], 0
	v_mfma_f32_16x16x16f16 v[14:17], v[16:17], v[8:9], v[18:21]
	s_nop 7
	s_nop 1
	ds_read2_b64 v[18:21], v22 offset0:40 offset1:44
	s_waitcnt lgkmcnt(0)
	v_mfma_f32_16x16x16f16 v[14:17], v[18:19], v[2:3], v[14:17]
	v_add_u32_e32 v22, 0x1000, v57
	v_mfma_f32_16x16x16f16 v[14:17], v[20:21], v[4:5], v[14:17]
	ds_read2_b64 v[18:21], v22 offset0:64 offset1:68
	s_waitcnt lgkmcnt(0)
	v_mfma_f32_16x16x16f16 v[52:55], v[18:19], v[6:7], 0
	v_mfma_f32_16x16x16f16 v[18:21], v[20:21], v[8:9], v[52:55]
	s_nop 7
	s_nop 1
	ds_read2_b64 v[52:55], v22 offset0:72 offset1:76
	s_waitcnt lgkmcnt(0)
	v_mfma_f32_16x16x16f16 v[18:21], v[52:53], v[2:3], v[18:21]
	v_add_u32_e32 v22, 0x1800, v57
	v_mfma_f32_16x16x16f16 v[18:21], v[54:55], v[4:5], v[18:21]
	ds_read2_b64 v[52:55], v22 offset0:96 offset1:100
	s_waitcnt lgkmcnt(0)
	v_mfma_f32_16x16x16f16 v[90:93], v[52:53], v[6:7], 0
	v_mfma_f32_16x16x16f16 v[52:55], v[54:55], v[8:9], v[90:93]
	s_nop 7
	s_nop 1
	ds_read2_b64 v[90:93], v22 offset0:104 offset1:108
	s_waitcnt lgkmcnt(0)
	v_mfma_f32_16x16x16f16 v[52:55], v[90:91], v[2:3], v[52:55]
	s_barrier
	ds_read_b32 v22, v68 offset:9216
	ds_read_b32 v26, v69 offset:9216
	ds_read2_b32 v[94:95], v36 offset1:1
	v_add_u32_e32 v36, 0x2400, v122
	ds_read2_b32 v[124:125], v36 offset1:1
	v_add_u32_e32 v36, 0x2400, v123
	v_mfma_f32_16x16x16f16 v[90:93], v[92:93], v[4:5], v[52:55]
	s_nop 6
	ds_read2_b32 v[54:55], v36 offset1:1
	s_waitcnt lgkmcnt(0)
	v_cvt_f32_f16_e32 v52, v55
	v_cvt_f32_f16_sdwa v53, v55 dst_sel:DWORD dst_unused:UNUSED_PAD src0_sel:WORD_1
	v_pk_add_f32 v[52:53], v[92:93], v[52:53]
	v_cvt_f32_f16_e32 v92, v54
	v_cvt_f32_f16_sdwa v93, v54 dst_sel:DWORD dst_unused:UNUSED_PAD src0_sel:WORD_1
	v_add_f32_e32 v36, 0x40051340, v52
	v_add_f32_e32 v40, 0x40051340, v53
	v_pk_add_f32 v[54:55], v[90:91], v[92:93]
	v_cvt_f32_f16_e32 v90, v125
	v_cvt_f32_f16_sdwa v91, v125 dst_sel:DWORD dst_unused:UNUSED_PAD src0_sel:WORD_1
	v_add_f32_e32 v46, 0x40051340, v54
	v_add_f32_e32 v47, 0x40051340, v55
	;; [unrolled: 5-line block ×5, first 2 shown]
	v_pk_add_f32 v[14:15], v[14:15], v[90:91]
	v_cvt_f32_f16_sdwa v91, v26 dst_sel:DWORD dst_unused:UNUSED_PAD src0_sel:WORD_1
	v_cvt_f32_f16_e32 v90, v26
	v_add_f32_e32 v94, 0x40051340, v14
	v_add_f32_e32 v105, 0x40051340, v15
	v_pk_add_f32 v[12:13], v[12:13], v[90:91]
	v_cvt_f32_f16_sdwa v91, v22 dst_sel:DWORD dst_unused:UNUSED_PAD src0_sel:WORD_1
	v_cvt_f32_f16_e32 v90, v22
	v_add_f32_e32 v26, 0x40051340, v12
	v_add_f32_e32 v106, 0x40051340, v13
	v_pk_add_f32 v[10:11], v[10:11], v[90:91]
	v_add_f32_e32 v22, 0x40051340, v10
	v_add_f32_e32 v90, 0x40051340, v11
	v_max3_f32 v22, v25, v22, v90
	v_max3_f32 v22, v22, v26, v106
	;; [unrolled: 1-line block ×8, first 2 shown]
	ds_bpermute_b32 v26, v100, v22
	s_waitcnt lgkmcnt(0)
	v_max_f32_e32 v26, v26, v26
	v_max_f32_e32 v22, v22, v26
	ds_bpermute_b32 v26, v101, v22
	s_waitcnt lgkmcnt(0)
	v_max_f32_e32 v26, v26, v26
	v_max_f32_e32 v46, v22, v26
	v_pk_add_f32 v[10:11], v[10:11], v[46:47] op_sel_hi:[1,0] neg_lo:[0,1] neg_hi:[0,1]
	v_mul_f32_e32 v22, 0x3fb8aa3b, v11
	v_fma_f32 v26, v11, s41, -v22
	v_rndne_f32_e32 v36, v22
	v_fmac_f32_e32 v26, 0x32a5705f, v11
	v_sub_f32_e32 v22, v22, v36
	v_add_f32_e32 v22, v22, v26
	v_exp_f32_e32 v22, v22
	v_cvt_i32_f32_e32 v26, v36
	v_cmp_ngt_f32_e32 vcc, s63, v11
	v_ldexp_f32 v22, v22, v26
	v_cndmask_b32_e32 v22, 0, v22, vcc
	v_cmp_nlt_f32_e32 vcc, s47, v11
	v_mul_f32_e32 v11, 0x3fb8aa3b, v10
	v_fma_f32 v26, v10, s41, -v11
	v_rndne_f32_e32 v36, v11
	v_fmac_f32_e32 v26, 0x32a5705f, v10
	v_sub_f32_e32 v11, v11, v36
	v_add_f32_e32 v11, v11, v26
	v_exp_f32_e32 v11, v11
	v_cvt_i32_f32_e32 v26, v36
	v_cndmask_b32_e32 v22, v99, v22, vcc
	v_cmp_ngt_f32_e32 vcc, s63, v10
	v_ldexp_f32 v11, v11, v26
	v_cndmask_b32_e32 v11, 0, v11, vcc
	v_cmp_nlt_f32_e32 vcc, s47, v10
	v_cndmask_b32_e32 v26, v99, v11, vcc
	v_pk_add_f32 v[10:11], v[12:13], v[46:47] op_sel_hi:[1,0] neg_lo:[0,1] neg_hi:[0,1]
	v_mul_f32_e32 v12, 0x3fb8aa3b, v11
	v_fma_f32 v13, v11, s41, -v12
	v_rndne_f32_e32 v36, v12
	v_fmac_f32_e32 v13, 0x32a5705f, v11
	v_sub_f32_e32 v12, v12, v36
	v_add_f32_e32 v12, v12, v13
	v_exp_f32_e32 v12, v12
	v_cvt_i32_f32_e32 v13, v36
	v_cmp_ngt_f32_e32 vcc, s63, v11
	v_ldexp_f32 v12, v12, v13
	v_cndmask_b32_e32 v12, 0, v12, vcc
	v_cmp_nlt_f32_e32 vcc, s47, v11
	v_mul_f32_e32 v11, 0x3fb8aa3b, v10
	v_fma_f32 v13, v10, s41, -v11
	v_rndne_f32_e32 v36, v11
	v_fmac_f32_e32 v13, 0x32a5705f, v10
	v_sub_f32_e32 v11, v11, v36
	v_add_f32_e32 v11, v11, v13
	v_exp_f32_e32 v11, v11
	v_cvt_i32_f32_e32 v13, v36
	v_cndmask_b32_e32 v12, v99, v12, vcc
	v_cmp_ngt_f32_e32 vcc, s63, v10
	v_ldexp_f32 v11, v11, v13
	v_cndmask_b32_e32 v11, 0, v11, vcc
	v_cmp_nlt_f32_e32 vcc, s47, v10
	v_cndmask_b32_e32 v13, v99, v11, vcc
	;; [unrolled: 27-line block ×4, first 2 shown]
	v_pk_add_f32 v[10:11], v[18:19], v[46:47] op_sel_hi:[1,0] neg_lo:[0,1] neg_hi:[0,1]
	v_mul_f32_e32 v18, 0x3fb8aa3b, v11
	v_fma_f32 v19, v11, s41, -v18
	v_rndne_f32_e32 v36, v18
	v_fmac_f32_e32 v19, 0x32a5705f, v11
	v_sub_f32_e32 v18, v18, v36
	v_add_f32_e32 v18, v18, v19
	v_exp_f32_e32 v18, v18
	v_cvt_i32_f32_e32 v19, v36
	v_cmp_ngt_f32_e32 vcc, s63, v11
	v_ldexp_f32 v18, v18, v19
	v_cndmask_b32_e32 v18, 0, v18, vcc
	v_cmp_nlt_f32_e32 vcc, s47, v11
	v_mul_f32_e32 v11, 0x3fb8aa3b, v10
	v_cndmask_b32_e32 v40, v99, v18, vcc
	v_fma_f32 v18, v10, s41, -v11
	v_rndne_f32_e32 v19, v11
	v_fmac_f32_e32 v18, 0x32a5705f, v10
	v_sub_f32_e32 v11, v11, v19
	v_add_f32_e32 v11, v11, v18
	v_exp_f32_e32 v11, v11
	v_cvt_i32_f32_e32 v18, v19
	v_cmp_ngt_f32_e32 vcc, s63, v10
	v_ldexp_f32 v11, v11, v18
	v_cndmask_b32_e32 v11, 0, v11, vcc
	v_cmp_nlt_f32_e32 vcc, s47, v10
	v_cndmask_b32_e32 v47, v99, v11, vcc
	v_pk_add_f32 v[10:11], v[20:21], v[46:47] op_sel_hi:[1,0] neg_lo:[0,1] neg_hi:[0,1]
	v_mul_f32_e32 v18, 0x3fb8aa3b, v11
	v_fma_f32 v19, v11, s41, -v18
	v_rndne_f32_e32 v20, v18
	v_fmac_f32_e32 v19, 0x32a5705f, v11
	v_sub_f32_e32 v18, v18, v20
	v_add_f32_e32 v18, v18, v19
	v_exp_f32_e32 v18, v18
	v_cvt_i32_f32_e32 v19, v20
	v_cmp_ngt_f32_e32 vcc, s63, v11
	v_ldexp_f32 v18, v18, v19
	v_cndmask_b32_e32 v18, 0, v18, vcc
	v_cmp_nlt_f32_e32 vcc, s47, v11
	v_mul_f32_e32 v11, 0x3fb8aa3b, v10
	v_cndmask_b32_e32 v59, v99, v18, vcc
	v_fma_f32 v18, v10, s41, -v11
	v_rndne_f32_e32 v19, v11
	v_fmac_f32_e32 v18, 0x32a5705f, v10
	v_sub_f32_e32 v11, v11, v19
	v_add_f32_e32 v11, v11, v18
	v_exp_f32_e32 v11, v11
	v_cvt_i32_f32_e32 v18, v19
	v_cmp_ngt_f32_e32 vcc, s63, v10
	v_ldexp_f32 v11, v11, v18
	v_cndmask_b32_e32 v11, 0, v11, vcc
	v_cmp_nlt_f32_e32 vcc, s47, v10
	v_cndmask_b32_e32 v61, v99, v11, vcc
	v_pk_add_f32 v[10:11], v[54:55], v[46:47] op_sel_hi:[1,0] neg_lo:[0,1] neg_hi:[0,1]
	v_mul_f32_e32 v18, 0x3fb8aa3b, v11
	v_fma_f32 v19, v11, s41, -v18
	v_rndne_f32_e32 v20, v18
	v_fmac_f32_e32 v19, 0x32a5705f, v11
	v_sub_f32_e32 v18, v18, v20
	v_add_f32_e32 v18, v18, v19
	v_exp_f32_e32 v18, v18
	v_cvt_i32_f32_e32 v19, v20
	v_cmp_ngt_f32_e32 vcc, s63, v11
	v_ldexp_f32 v18, v18, v19
	v_cndmask_b32_e32 v18, 0, v18, vcc
	v_cmp_nlt_f32_e32 vcc, s47, v11
	v_mul_f32_e32 v11, 0x3fb8aa3b, v10
	v_cndmask_b32_e32 v90, v99, v18, vcc
	v_fma_f32 v18, v10, s41, -v11
	v_rndne_f32_e32 v19, v11
	v_fmac_f32_e32 v18, 0x32a5705f, v10
	v_sub_f32_e32 v11, v11, v19
	v_add_f32_e32 v11, v11, v18
	v_exp_f32_e32 v11, v11
	v_cvt_i32_f32_e32 v18, v19
	v_cmp_ngt_f32_e32 vcc, s63, v10
	v_ldexp_f32 v11, v11, v18
	v_cndmask_b32_e32 v11, 0, v11, vcc
	v_cmp_nlt_f32_e32 vcc, s47, v10
	v_cndmask_b32_e32 v91, v99, v11, vcc
	v_pk_add_f32 v[10:11], v[52:53], v[46:47] op_sel_hi:[1,0] neg_lo:[0,1] neg_hi:[0,1]
	v_mul_f32_e32 v18, 0x3fb8aa3b, v11
	v_fma_f32 v19, v11, s41, -v18
	v_rndne_f32_e32 v20, v18
	v_fmac_f32_e32 v19, 0x32a5705f, v11
	v_sub_f32_e32 v18, v18, v20
	v_add_f32_e32 v18, v18, v19
	v_exp_f32_e32 v18, v18
	v_cvt_i32_f32_e32 v19, v20
	v_cmp_ngt_f32_e32 vcc, s63, v11
	v_ldexp_f32 v18, v18, v19
	v_cndmask_b32_e32 v18, 0, v18, vcc
	v_cmp_nlt_f32_e32 vcc, s47, v11
	v_cndmask_b32_e32 v11, v99, v18, vcc
	v_mul_f32_e32 v18, 0x3fb8aa3b, v10
	v_fma_f32 v19, v10, s41, -v18
	v_rndne_f32_e32 v20, v18
	v_fmac_f32_e32 v19, 0x32a5705f, v10
	v_sub_f32_e32 v18, v18, v20
	v_add_f32_e32 v18, v18, v19
	v_exp_f32_e32 v18, v18
	v_cvt_i32_f32_e32 v19, v20
	v_cmp_ngt_f32_e32 vcc, s63, v10
	v_ldexp_f32 v18, v18, v19
	v_cndmask_b32_e32 v18, 0, v18, vcc
	v_cmp_nlt_f32_e32 vcc, s47, v10
	v_cndmask_b32_e32 v10, v99, v18, vcc
	v_add_f32_e32 v18, v26, v22
	v_add_f32_e32 v18, v13, v18
	;; [unrolled: 1-line block ×15, first 2 shown]
	v_sub_f32_e32 v18, v25, v46
	v_mul_f32_e32 v19, 0x3fb8aa3b, v18
	v_fma_f32 v20, v18, s41, -v19
	v_rndne_f32_e32 v21, v19
	v_fmac_f32_e32 v20, 0x32a5705f, v18
	v_sub_f32_e32 v19, v19, v21
	v_add_f32_e32 v19, v19, v20
	v_exp_f32_e32 v19, v19
	v_cvt_i32_f32_e32 v20, v21
	v_cmp_ngt_f32_e32 vcc, s63, v18
	v_cvt_f16_f32_e32 v12, v12
	v_cvt_f16_f32_e32 v13, v13
	v_ldexp_f32 v19, v19, v20
	v_cndmask_b32_e32 v19, 0, v19, vcc
	v_cmp_nlt_f32_e32 vcc, s47, v18
	v_cndmask_b32_e32 v19, v99, v19, vcc
	v_cmp_le_f32_e32 vcc, s89, v18
	v_cndmask_b32_e32 v18, 0, v19, vcc
	v_fmac_f32_e32 v52, v24, v18
	v_cvt_f16_f32_e32 v18, v18
	v_cvt_f16_f32_e32 v19, v26
	v_pack_b32_f16 v21, v13, v12
	v_cvt_f16_f32_e32 v12, v14
	v_pk_mul_f16 v107, v18, v107 op_sel_hi:[0,1]
	v_pk_mul_f16 v98, v18, v108 op_sel_hi:[0,1]
	;; [unrolled: 1-line block ×8, first 2 shown]
	v_cvt_f16_f32_e32 v18, v22
	v_cvt_f16_f32_e32 v13, v15
	;; [unrolled: 1-line block ×4, first 2 shown]
	v_pack_b32_f16 v20, v19, v18
	v_pack_b32_f16 v18, v13, v12
	v_cvt_f16_f32_e32 v12, v16
	v_cvt_f16_f32_e32 v13, v17
	v_pack_b32_f16 v15, v10, v11
	v_add_co_u32_e32 v10, vcc, s3, v28
	v_pack_b32_f16 v19, v13, v12
	v_cvt_f16_f32_e32 v12, v40
	v_cvt_f16_f32_e32 v13, v47
	v_mov_b32_e32 v11, s5
	v_addc_co_u32_e32 v11, vcc, v11, v29, vcc
	v_pack_b32_f16 v16, v13, v12
	v_cvt_f16_f32_e32 v12, v59
	v_cvt_f16_f32_e32 v13, v61
	v_add_co_u32_e32 v10, vcc, v10, v104
	v_addc_co_u32_e32 v11, vcc, 0, v11, vcc
	v_pack_b32_f16 v17, v13, v12
	v_cvt_f16_f32_e32 v12, v90
	v_cvt_f16_f32_e32 v13, v91
	v_pack_b32_f16 v14, v13, v12
	v_add_co_u32_e32 v12, vcc, s3, v30
	v_mov_b32_e32 v13, s5
	v_addc_co_u32_e32 v13, vcc, v13, v31, vcc
	v_add_co_u32_e32 v90, vcc, v12, v104
	v_addc_co_u32_e32 v91, vcc, 0, v13, vcc
	global_load_dwordx4 v[10:13], v[10:11], off
	s_waitcnt vmcnt(0)
	ds_write_b128 v67, v[10:13]
	global_load_dwordx4 v[10:13], v[90:91], off
	s_waitcnt vmcnt(0)
	ds_write_b128 v120, v[10:13]
	s_waitcnt lgkmcnt(0)
	s_barrier
	ds_read_u16 v22, v72 offset:288
	ds_read_u16 v26, v73
	ds_read_u16 v40, v73 offset:32
	v_cvt_f32_f16_e32 v10, v107
	v_cvt_f32_f16_sdwa v11, v107 dst_sel:DWORD dst_unused:UNUSED_PAD src0_sel:WORD_1
	v_cvt_f32_f16_e32 v12, v98
	s_waitcnt lgkmcnt(1)
	v_perm_b32 v91, v26, v22, s90
	ds_read_u16 v22, v70
	ds_read_u16 v26, v70 offset:32
	ds_read_u16 v47, v72 offset:144
	;; [unrolled: 1-line block ×3, first 2 shown]
	v_cvt_f32_f16_sdwa v13, v98 dst_sel:DWORD dst_unused:UNUSED_PAD src0_sel:WORD_1
	s_waitcnt lgkmcnt(1)
	v_perm_b32 v90, v47, v22, s90
	s_nop 1
	v_mfma_f32_16x16x16f16 v[10:13], v[90:91], v[20:21], v[10:13]
	ds_read_u16 v22, v70 offset:2304
	ds_read_u16 v47, v72 offset:2448
	ds_read_u16 v61, v74 offset:288
	ds_read_u16 v90, v73 offset:2304
	s_waitcnt lgkmcnt(0)
	v_perm_b32 v91, v90, v61, s90
	v_perm_b32 v90, v47, v22, s90
	s_nop 3
	v_cvt_f16_f32_e32 v10, v10
	v_cvt_f16_f32_e32 v11, v11
	v_cvt_f16_f32_e32 v12, v12
	v_cvt_f16_f32_e32 v13, v13
	v_cvt_f32_f16_e32 v10, v10
	v_cvt_f32_f16_e32 v11, v11
	v_cvt_f32_f16_e32 v12, v12
	v_cvt_f32_f16_e32 v13, v13
	s_nop 1
	v_mfma_f32_16x16x16f16 v[10:13], v[90:91], v[18:19], v[10:13]
	ds_read_u16 v22, v70 offset:4608
	ds_read_u16 v47, v72 offset:4752
	ds_read_u16 v61, v75 offset:288
	ds_read_u16 v90, v73 offset:4608
	s_waitcnt lgkmcnt(0)
	v_perm_b32 v91, v90, v61, s90
	v_perm_b32 v90, v47, v22, s90
	s_nop 3
	v_cvt_f16_f32_e32 v10, v10
	v_cvt_f16_f32_e32 v11, v11
	v_cvt_f16_f32_e32 v12, v12
	v_cvt_f16_f32_e32 v13, v13
	v_cvt_f32_f16_e32 v10, v10
	v_cvt_f32_f16_e32 v11, v11
	v_cvt_f32_f16_e32 v12, v12
	v_cvt_f32_f16_e32 v13, v13
	;; [unrolled: 18-line block ×3, first 2 shown]
	ds_read_u16 v22, v77 offset:288
	s_nop 0
	v_mfma_f32_16x16x16f16 v[10:13], v[90:91], v[14:15], v[10:13]
	s_nop 7
	s_nop 2
	v_cvt_f16_f32_e32 v10, v10
	v_cvt_f16_f32_e32 v11, v11
	v_cvt_f16_f32_e32 v12, v12
	v_cvt_f16_f32_e32 v13, v13
	v_pack_b32_f16 v107, v10, v11
	v_cvt_f32_f16_e32 v10, v55
	v_pack_b32_f16 v108, v12, v13
	v_cvt_f32_f16_sdwa v11, v55 dst_sel:DWORD dst_unused:UNUSED_PAD src0_sel:WORD_1
	v_cvt_f32_f16_e32 v12, v54
	v_cvt_f32_f16_sdwa v13, v54 dst_sel:DWORD dst_unused:UNUSED_PAD src0_sel:WORD_1
	s_waitcnt lgkmcnt(0)
	v_perm_b32 v55, v40, v22, s90
	v_perm_b32 v54, v59, v26, s90
	ds_read_u16 v22, v70 offset:2336
	ds_read_u16 v26, v72 offset:2480
	;; [unrolled: 1-line block ×4, first 2 shown]
	v_mfma_f32_16x16x16f16 v[10:13], v[54:55], v[20:21], v[10:13]
	s_waitcnt lgkmcnt(0)
	v_perm_b32 v55, v47, v40, s90
	v_perm_b32 v54, v26, v22, s90
	ds_read_u16 v22, v70 offset:4640
	ds_read_u16 v26, v72 offset:4784
	ds_read_u16 v40, v79 offset:288
	ds_read_u16 v47, v73 offset:4640
	s_nop 3
	v_cvt_f16_f32_e32 v10, v10
	v_cvt_f16_f32_e32 v11, v11
	v_cvt_f16_f32_e32 v12, v12
	v_cvt_f16_f32_e32 v13, v13
	v_cvt_f32_f16_e32 v10, v10
	v_cvt_f32_f16_e32 v11, v11
	v_cvt_f32_f16_e32 v12, v12
	v_cvt_f32_f16_e32 v13, v13
	s_nop 1
	v_mfma_f32_16x16x16f16 v[10:13], v[54:55], v[18:19], v[10:13]
	s_waitcnt lgkmcnt(0)
	v_perm_b32 v55, v47, v40, s90
	v_perm_b32 v54, v26, v22, s90
	ds_read_u16 v22, v70 offset:6944
	ds_read_u16 v26, v72 offset:7088
	ds_read_u16 v40, v80 offset:288
	ds_read_u16 v47, v73 offset:6944
	s_nop 3
	v_cvt_f16_f32_e32 v10, v10
	v_cvt_f16_f32_e32 v11, v11
	v_cvt_f16_f32_e32 v12, v12
	v_cvt_f16_f32_e32 v13, v13
	v_cvt_f32_f16_e32 v10, v10
	v_cvt_f32_f16_e32 v11, v11
	v_cvt_f32_f16_e32 v12, v12
	v_cvt_f32_f16_e32 v13, v13
	s_nop 1
	;; [unrolled: 18-line block ×3, first 2 shown]
	v_mfma_f32_16x16x16f16 v[10:13], v[54:55], v[14:15], v[10:13]
	s_waitcnt lgkmcnt(0)
	v_perm_b32 v55, v47, v40, s90
	v_perm_b32 v54, v26, v22, s90
	s_nop 7
	v_cvt_f16_f32_e32 v10, v10
	v_cvt_f16_f32_e32 v11, v11
	;; [unrolled: 1-line block ×4, first 2 shown]
	v_pack_b32_f16 v110, v10, v11
	v_cvt_f32_f16_e32 v10, v53
	v_pack_b32_f16 v109, v12, v13
	v_cvt_f32_f16_sdwa v11, v53 dst_sel:DWORD dst_unused:UNUSED_PAD src0_sel:WORD_1
	v_cvt_f32_f16_e32 v12, v36
	v_cvt_f32_f16_sdwa v13, v36 dst_sel:DWORD dst_unused:UNUSED_PAD src0_sel:WORD_1
	ds_read_u16 v22, v70 offset:2368
	ds_read_u16 v26, v72 offset:2512
	;; [unrolled: 1-line block ×4, first 2 shown]
	v_mfma_f32_16x16x16f16 v[10:13], v[54:55], v[20:21], v[10:13]
	s_waitcnt lgkmcnt(2)
	v_perm_b32 v54, v26, v22, s90
	s_waitcnt lgkmcnt(0)
	v_perm_b32 v55, v40, v36, s90
	ds_read_u16 v22, v70 offset:4672
	ds_read_u16 v26, v72 offset:4816
	;; [unrolled: 1-line block ×4, first 2 shown]
	s_nop 2
	v_cvt_f16_f32_e32 v10, v10
	v_cvt_f16_f32_e32 v11, v11
	;; [unrolled: 1-line block ×4, first 2 shown]
	v_cvt_f32_f16_e32 v10, v10
	v_cvt_f32_f16_e32 v11, v11
	;; [unrolled: 1-line block ×4, first 2 shown]
	s_nop 1
	v_mfma_f32_16x16x16f16 v[10:13], v[54:55], v[18:19], v[10:13]
	s_waitcnt lgkmcnt(0)
	v_perm_b32 v55, v40, v36, s90
	v_perm_b32 v54, v26, v22, s90
	ds_read_u16 v22, v70 offset:6976
	ds_read_u16 v26, v72 offset:7120
	;; [unrolled: 1-line block ×4, first 2 shown]
	s_nop 3
	v_cvt_f16_f32_e32 v10, v10
	v_cvt_f16_f32_e32 v11, v11
	;; [unrolled: 1-line block ×4, first 2 shown]
	v_cvt_f32_f16_e32 v10, v10
	v_cvt_f32_f16_e32 v11, v11
	;; [unrolled: 1-line block ×4, first 2 shown]
	s_nop 1
	v_mfma_f32_16x16x16f16 v[10:13], v[54:55], v[16:17], v[10:13]
	s_waitcnt lgkmcnt(0)
	v_perm_b32 v55, v40, v36, s90
	v_perm_b32 v54, v26, v22, s90
	ds_read_u16 v22, v70 offset:96
	ds_read_u16 v26, v72 offset:240
	;; [unrolled: 1-line block ×4, first 2 shown]
	s_nop 3
	v_cvt_f16_f32_e32 v10, v10
	v_cvt_f16_f32_e32 v11, v11
	;; [unrolled: 1-line block ×4, first 2 shown]
	v_cvt_f32_f16_e32 v10, v10
	v_cvt_f32_f16_e32 v11, v11
	;; [unrolled: 1-line block ×4, first 2 shown]
	s_nop 1
	v_mfma_f32_16x16x16f16 v[10:13], v[54:55], v[14:15], v[10:13]
	s_nop 7
	s_nop 2
	v_cvt_f16_f32_e32 v10, v10
	v_cvt_f16_f32_e32 v11, v11
	;; [unrolled: 1-line block ×4, first 2 shown]
	v_pack_b32_f16 v111, v10, v11
	v_cvt_f32_f16_e32 v10, v25
	v_pack_b32_f16 v112, v12, v13
	v_cvt_f32_f16_sdwa v11, v25 dst_sel:DWORD dst_unused:UNUSED_PAD src0_sel:WORD_1
	v_cvt_f32_f16_e32 v12, v24
	v_cvt_f32_f16_sdwa v13, v24 dst_sel:DWORD dst_unused:UNUSED_PAD src0_sel:WORD_1
	s_waitcnt lgkmcnt(0)
	v_perm_b32 v25, v40, v36, s90
	v_perm_b32 v24, v26, v22, s90
	s_nop 1
	v_mfma_f32_16x16x16f16 v[10:13], v[24:25], v[20:21], v[10:13]
	ds_read_u16 v20, v70 offset:2400
	ds_read_u16 v22, v72 offset:2544
	;; [unrolled: 1-line block ×4, first 2 shown]
	s_waitcnt lgkmcnt(2)
	v_perm_b32 v20, v22, v20, s90
	s_waitcnt lgkmcnt(0)
	v_perm_b32 v21, v24, v21, s90
	s_nop 2
	v_cvt_f16_f32_e32 v10, v10
	v_cvt_f16_f32_e32 v11, v11
	;; [unrolled: 1-line block ×4, first 2 shown]
	v_cvt_f32_f16_e32 v10, v10
	v_cvt_f32_f16_e32 v11, v11
	;; [unrolled: 1-line block ×4, first 2 shown]
	s_nop 1
	v_mfma_f32_16x16x16f16 v[10:13], v[20:21], v[18:19], v[10:13]
	ds_read_u16 v18, v70 offset:4704
	ds_read_u16 v20, v72 offset:4848
	;; [unrolled: 1-line block ×4, first 2 shown]
	s_waitcnt lgkmcnt(2)
	v_perm_b32 v18, v20, v18, s90
	s_waitcnt lgkmcnt(0)
	v_perm_b32 v19, v21, v19, s90
	s_nop 2
	v_cvt_f16_f32_e32 v10, v10
	v_cvt_f16_f32_e32 v11, v11
	;; [unrolled: 1-line block ×4, first 2 shown]
	v_cvt_f32_f16_e32 v10, v10
	v_cvt_f32_f16_e32 v11, v11
	;; [unrolled: 1-line block ×4, first 2 shown]
	s_nop 1
	v_mfma_f32_16x16x16f16 v[10:13], v[18:19], v[16:17], v[10:13]
	ds_read_u16 v16, v70 offset:7008
	ds_read_u16 v18, v72 offset:7152
	;; [unrolled: 1-line block ×4, first 2 shown]
	s_waitcnt lgkmcnt(0)
	s_barrier
	v_perm_b32 v16, v18, v16, s90
	v_perm_b32 v17, v19, v17, s90
	s_nop 2
	v_cvt_f16_f32_e32 v10, v10
	v_cvt_f16_f32_e32 v11, v11
	;; [unrolled: 1-line block ×4, first 2 shown]
	v_cvt_f32_f16_e32 v10, v10
	v_cvt_f32_f16_e32 v11, v11
	;; [unrolled: 1-line block ×4, first 2 shown]
	s_nop 1
	v_mfma_f32_16x16x16f16 v[10:13], v[16:17], v[14:15], v[10:13]
	s_nop 7
	s_nop 2
	v_cvt_f16_f32_e32 v10, v10
	v_cvt_f16_f32_e32 v11, v11
	;; [unrolled: 1-line block ×4, first 2 shown]
	v_pack_b32_f16 v113, v10, v11
	v_pack_b32_f16 v115, v12, v13
	s_cbranch_scc1 .LBB0_55
; %bb.56:                               ;   in Loop: Header=BB0_13 Depth=1
	buffer_load_dword v94, off, s[96:99], 0 offset:44 ; 4-byte Folded Reload
	buffer_load_dword v95, off, s[96:99], 0 offset:48 ; 4-byte Folded Reload
	;; [unrolled: 1-line block ×8, first 2 shown]
.LBB0_57:                               ;   in Loop: Header=BB0_13 Depth=1
	s_lshl_b32 s2, s70, 6
	s_ashr_i32 s3, s2, 31
	s_lshl_b64 s[4:5], s[2:3], 1
	v_add_co_u32_e32 v0, vcc, s4, v102
	v_mov_b32_e32 v10, s5
	v_addc_co_u32_e32 v10, vcc, v43, v10, vcc
	s_waitcnt vmcnt(7)
	v_lshlrev_b32_e32 v11, 1, v94
	v_add_co_u32_e32 v0, vcc, v0, v11
	v_addc_co_u32_e32 v12, vcc, 0, v10, vcc
	v_lshlrev_b64 v[10:11], 1, v[48:49]
	v_add_co_u32_e32 v10, vcc, v0, v10
	v_addc_co_u32_e32 v11, vcc, v12, v11, vcc
	global_load_dword v10, v[10:11], off
	v_add_u32_e32 v13, v66, v118
	s_mul_hi_i32 s5, s36, s2
	s_mul_i32 s4, s36, s2
	s_lshl_b64 s[4:5], s[4:5], 2
	s_add_u32 s3, s61, s4
	s_addc_u32 s4, s35, s5
	s_waitcnt vmcnt(0)
	ds_write_b32 v13, v10 offset:9216
	v_lshlrev_b64 v[10:11], 1, v[50:51]
	v_add_co_u32_e32 v10, vcc, v0, v10
	v_addc_co_u32_e32 v11, vcc, v12, v11, vcc
	global_load_dword v0, v[10:11], off
	v_mov_b32_e32 v10, s4
	s_waitcnt vmcnt(0)
	ds_write_b32 v13, v0 offset:10368
	v_add_co_u32_e32 v0, vcc, s3, v32
	v_addc_co_u32_e32 v11, vcc, v10, v33, vcc
	v_add_co_u32_e32 v10, vcc, v0, v104
	v_addc_co_u32_e32 v11, vcc, 0, v11, vcc
	global_load_dwordx4 v[10:13], v[10:11], off
	v_add_co_u32_e32 v0, vcc, s3, v34
	s_mul_hi_i32 s3, s26, s2
	s_mul_i32 s2, s26, s2
	s_lshl_b64 s[2:3], s[2:3], 2
	s_add_u32 s2, s59, s2
	s_addc_u32 s3, s60, s3
	s_cmp_lg_u64 s[68:69], 0
	s_waitcnt vmcnt(0)
	ds_write_b128 v67, v[10:13]
	v_mov_b32_e32 v10, s4
	v_addc_co_u32_e32 v11, vcc, v10, v35, vcc
	v_add_co_u32_e32 v10, vcc, v0, v104
	v_addc_co_u32_e32 v11, vcc, 0, v11, vcc
	global_load_dwordx4 v[10:13], v[10:11], off
	v_add_u32_e32 v0, 0x800, v57
	v_cmp_lt_i32_e32 vcc, v64, v39
	s_waitcnt vmcnt(0)
	ds_write_b128 v120, v[10:13]
	s_waitcnt lgkmcnt(0)
	s_barrier
	ds_read2_b64 v[10:13], v57 offset1:4
	s_waitcnt lgkmcnt(0)
	v_mfma_f32_16x16x16f16 v[14:17], v[10:11], v[6:7], 0
	v_mfma_f32_16x16x16f16 v[10:13], v[12:13], v[8:9], v[14:17]
	s_nop 7
	s_nop 1
	ds_read2_b64 v[14:17], v57 offset0:8 offset1:12
	s_waitcnt lgkmcnt(0)
	v_mfma_f32_16x16x16f16 v[10:13], v[14:15], v[2:3], v[10:13]
	v_mfma_f32_16x16x16f16 v[10:13], v[16:17], v[4:5], v[10:13]
	ds_read2_b64 v[14:17], v0 offset0:32 offset1:36
	s_waitcnt lgkmcnt(0)
	v_mfma_f32_16x16x16f16 v[18:21], v[14:15], v[6:7], 0
	v_mfma_f32_16x16x16f16 v[14:17], v[16:17], v[8:9], v[18:21]
	s_nop 7
	s_nop 1
	ds_read2_b64 v[18:21], v0 offset0:40 offset1:44
	s_waitcnt lgkmcnt(0)
	v_mfma_f32_16x16x16f16 v[14:17], v[18:19], v[2:3], v[14:17]
	v_add_u32_e32 v0, 0x1000, v57
	v_mfma_f32_16x16x16f16 v[14:17], v[20:21], v[4:5], v[14:17]
	ds_read2_b64 v[18:21], v0 offset0:64 offset1:68
	s_waitcnt lgkmcnt(0)
	v_mfma_f32_16x16x16f16 v[48:51], v[18:19], v[6:7], 0
	v_mfma_f32_16x16x16f16 v[18:21], v[20:21], v[8:9], v[48:51]
	s_nop 7
	s_nop 1
	ds_read2_b64 v[48:51], v0 offset0:72 offset1:76
	s_waitcnt lgkmcnt(0)
	v_mfma_f32_16x16x16f16 v[18:21], v[48:49], v[2:3], v[18:21]
	v_add_u32_e32 v0, 0x1800, v57
	v_mfma_f32_16x16x16f16 v[18:21], v[50:51], v[4:5], v[18:21]
	ds_read2_b64 v[48:51], v0 offset0:96 offset1:100
	s_waitcnt lgkmcnt(0)
	v_mfma_f32_16x16x16f16 v[90:93], v[48:49], v[6:7], 0
	v_mfma_f32_16x16x16f16 v[6:9], v[50:51], v[8:9], v[90:93]
	ds_read2_b64 v[48:51], v0 offset0:104 offset1:108
	v_add_u32_e32 v0, 0x2400, v121
	s_waitcnt lgkmcnt(0)
	s_barrier
	ds_read_b32 v24, v68 offset:9216
	ds_read_b32 v22, v69 offset:9216
	v_mfma_f32_16x16x16f16 v[6:9], v[48:49], v[2:3], v[6:9]
	v_mfma_f32_16x16x16f16 v[90:93], v[50:51], v[4:5], v[6:9]
	s_nop 7
	s_nop 1
	ds_read2_b32 v[6:7], v0 offset1:1
	v_add_u32_e32 v0, 0x2400, v122
	ds_read2_b32 v[50:51], v0 offset1:1
	v_add_u32_e32 v0, 0x2400, v123
	ds_read2_b32 v[4:5], v0 offset1:1
	v_cndmask_b32_e32 v0, v96, v64, vcc
	v_cmp_lt_i32_e32 vcc, v65, v39
	v_lshlrev_b32_e32 v48, 2, v0
	v_cndmask_b32_e32 v0, v96, v65, vcc
	s_waitcnt lgkmcnt(0)
	v_cvt_f32_f16_e32 v8, v4
	v_cvt_f32_f16_sdwa v9, v4 dst_sel:DWORD dst_unused:UNUSED_PAD src0_sel:WORD_1
	v_cvt_f32_f16_e32 v2, v5
	v_cvt_f32_f16_sdwa v3, v5 dst_sel:DWORD dst_unused:UNUSED_PAD src0_sel:WORD_1
	v_lshlrev_b32_e32 v0, 2, v0
	v_pk_add_f32 v[4:5], v[90:91], v[8:9]
	v_cvt_f32_f16_e32 v8, v51
	v_cvt_f32_f16_sdwa v9, v51 dst_sel:DWORD dst_unused:UNUSED_PAD src0_sel:WORD_1
	v_pk_add_f32 v[2:3], v[92:93], v[2:3]
	v_add_f32_e32 v36, 0x40051340, v4
	v_add_f32_e32 v39, 0x40051340, v5
	v_pk_add_f32 v[8:9], v[20:21], v[8:9]
	v_cvt_f32_f16_e32 v20, v50
	v_cvt_f32_f16_sdwa v21, v50 dst_sel:DWORD dst_unused:UNUSED_PAD src0_sel:WORD_1
	v_add_f32_e32 v40, 0x40051340, v8
	v_add_f32_e32 v47, 0x40051340, v9
	;; [unrolled: 1-line block ×3, first 2 shown]
	v_pk_add_f32 v[18:19], v[18:19], v[20:21]
	v_cvt_f32_f16_e32 v20, v7
	v_cvt_f32_f16_sdwa v21, v7 dst_sel:DWORD dst_unused:UNUSED_PAD src0_sel:WORD_1
	v_cvt_f32_f16_sdwa v7, v22 dst_sel:DWORD dst_unused:UNUSED_PAD src0_sel:WORD_1
	v_add_f32_e32 v49, 0x40051340, v18
	v_add_f32_e32 v50, 0x40051340, v19
	v_pk_add_f32 v[16:17], v[16:17], v[20:21]
	v_cvt_f32_f16_e32 v20, v6
	v_cvt_f32_f16_sdwa v21, v6 dst_sel:DWORD dst_unused:UNUSED_PAD src0_sel:WORD_1
	v_cvt_f32_f16_e32 v6, v22
	v_add_f32_e32 v51, 0x40051340, v16
	v_add_f32_e32 v53, 0x40051340, v17
	v_pk_add_f32 v[14:15], v[14:15], v[20:21]
	v_pk_add_f32 v[12:13], v[12:13], v[6:7]
	v_cvt_f32_f16_sdwa v7, v24 dst_sel:DWORD dst_unused:UNUSED_PAD src0_sel:WORD_1
	v_cvt_f32_f16_e32 v6, v24
	v_add_f32_e32 v22, 0x40051340, v12
	v_add_f32_e32 v54, 0x40051340, v13
	;; [unrolled: 1-line block ×3, first 2 shown]
	v_pk_add_f32 v[10:11], v[10:11], v[6:7]
	v_add_f32_e32 v6, 0x40051340, v10
	v_add_f32_e32 v7, 0x40051340, v11
	v_max3_f32 v6, v46, v6, v7
	v_add_f32_e32 v21, 0x40051340, v15
	v_max3_f32 v6, v6, v22, v54
	v_max3_f32 v6, v6, v20, v21
	;; [unrolled: 1-line block ×5, first 2 shown]
	v_add_f32_e32 v26, 0x40051340, v3
	v_max3_f32 v6, v6, v36, v39
	v_max3_f32 v6, v6, v25, v26
	ds_bpermute_b32 v7, v48, v6
	s_waitcnt lgkmcnt(0)
	v_max_f32_e32 v7, v7, v7
	v_max_f32_e32 v6, v6, v7
	ds_bpermute_b32 v7, v0, v6
	s_waitcnt lgkmcnt(0)
	v_max_f32_e32 v7, v7, v7
	v_max_f32_e32 v6, v6, v7
	v_pk_add_f32 v[20:21], v[10:11], v[6:7] op_sel_hi:[1,0] neg_lo:[0,1] neg_hi:[0,1]
	v_mul_f32_e32 v7, 0x3fb8aa3b, v21
	v_fma_f32 v10, v21, s41, -v7
	v_rndne_f32_e32 v11, v7
	v_fmac_f32_e32 v10, 0x32a5705f, v21
	v_sub_f32_e32 v7, v7, v11
	v_add_f32_e32 v7, v7, v10
	v_exp_f32_e32 v7, v7
	v_cvt_i32_f32_e32 v10, v11
	v_cmp_ngt_f32_e32 vcc, s63, v21
	v_ldexp_f32 v7, v7, v10
	v_cndmask_b32_e32 v7, 0, v7, vcc
	v_cmp_nlt_f32_e32 vcc, s47, v21
	v_cndmask_b32_e32 v10, v99, v7, vcc
	v_mul_f32_e32 v7, 0x3fb8aa3b, v20
	v_fma_f32 v11, v20, s41, -v7
	v_rndne_f32_e32 v21, v7
	v_fmac_f32_e32 v11, 0x32a5705f, v20
	v_sub_f32_e32 v7, v7, v21
	v_add_f32_e32 v7, v7, v11
	v_exp_f32_e32 v7, v7
	v_cvt_i32_f32_e32 v11, v21
	v_cmp_ngt_f32_e32 vcc, s63, v20
	v_ldexp_f32 v7, v7, v11
	v_cndmask_b32_e32 v7, 0, v7, vcc
	v_cmp_nlt_f32_e32 vcc, s47, v20
	v_pk_add_f32 v[20:21], v[12:13], v[6:7] op_sel_hi:[1,0] neg_lo:[0,1] neg_hi:[0,1]
	v_cndmask_b32_e32 v11, v99, v7, vcc
	v_mul_f32_e32 v7, 0x3fb8aa3b, v21
	v_fma_f32 v12, v21, s41, -v7
	v_rndne_f32_e32 v13, v7
	v_fmac_f32_e32 v12, 0x32a5705f, v21
	v_sub_f32_e32 v7, v7, v13
	v_add_f32_e32 v7, v7, v12
	v_exp_f32_e32 v7, v7
	v_cvt_i32_f32_e32 v12, v13
	v_cmp_ngt_f32_e32 vcc, s63, v21
	v_ldexp_f32 v7, v7, v12
	v_cndmask_b32_e32 v7, 0, v7, vcc
	v_cmp_nlt_f32_e32 vcc, s47, v21
	v_cndmask_b32_e32 v12, v99, v7, vcc
	v_mul_f32_e32 v7, 0x3fb8aa3b, v20
	v_fma_f32 v13, v20, s41, -v7
	v_rndne_f32_e32 v21, v7
	v_fmac_f32_e32 v13, 0x32a5705f, v20
	v_sub_f32_e32 v7, v7, v21
	v_add_f32_e32 v7, v7, v13
	v_exp_f32_e32 v7, v7
	v_cvt_i32_f32_e32 v13, v21
	v_cmp_ngt_f32_e32 vcc, s63, v20
	v_ldexp_f32 v7, v7, v13
	v_cndmask_b32_e32 v7, 0, v7, vcc
	v_cmp_nlt_f32_e32 vcc, s47, v20
	v_pk_add_f32 v[14:15], v[14:15], v[6:7] op_sel_hi:[1,0] neg_lo:[0,1] neg_hi:[0,1]
	v_cndmask_b32_e32 v13, v99, v7, vcc
	;; [unrolled: 27-line block ×7, first 2 shown]
	v_mul_f32_e32 v7, 0x3fb8aa3b, v3
	v_fma_f32 v14, v3, s41, -v7
	v_rndne_f32_e32 v15, v7
	v_fmac_f32_e32 v14, 0x32a5705f, v3
	v_sub_f32_e32 v7, v7, v15
	v_add_f32_e32 v7, v7, v14
	v_exp_f32_e32 v7, v7
	v_cvt_i32_f32_e32 v14, v15
	v_cmp_ngt_f32_e32 vcc, s63, v3
	v_ldexp_f32 v7, v7, v14
	v_cndmask_b32_e32 v7, 0, v7, vcc
	v_cmp_nlt_f32_e32 vcc, s47, v3
	v_cndmask_b32_e32 v3, v99, v7, vcc
	v_mul_f32_e32 v7, 0x3fb8aa3b, v2
	v_fma_f32 v14, v2, s41, -v7
	v_rndne_f32_e32 v15, v7
	v_fmac_f32_e32 v14, 0x32a5705f, v2
	v_sub_f32_e32 v7, v7, v15
	v_add_f32_e32 v7, v7, v14
	v_exp_f32_e32 v7, v7
	v_cvt_i32_f32_e32 v14, v15
	v_cmp_ngt_f32_e32 vcc, s63, v2
	v_ldexp_f32 v7, v7, v14
	v_cndmask_b32_e32 v7, 0, v7, vcc
	v_cmp_nlt_f32_e32 vcc, s47, v2
	v_cndmask_b32_e32 v2, v99, v7, vcc
	v_add_f32_e32 v7, v11, v10
	v_add_f32_e32 v7, v13, v7
	;; [unrolled: 1-line block ×3, first 2 shown]
	v_sub_f32_e32 v14, v46, v6
	v_add_f32_e32 v7, v22, v7
	v_mul_f32_e32 v15, 0x3fb8aa3b, v14
	v_add_f32_e32 v7, v24, v7
	v_fma_f32 v16, v14, s41, -v15
	v_rndne_f32_e32 v17, v15
	v_add_f32_e32 v7, v26, v7
	v_fmac_f32_e32 v16, 0x32a5705f, v14
	v_sub_f32_e32 v15, v15, v17
	v_add_f32_e32 v7, v25, v7
	v_add_f32_e32 v15, v15, v16
	;; [unrolled: 1-line block ×3, first 2 shown]
	v_exp_f32_e32 v15, v15
	v_cvt_i32_f32_e32 v16, v17
	v_add_f32_e32 v7, v40, v7
	v_add_f32_e32 v7, v8, v7
	;; [unrolled: 1-line block ×4, first 2 shown]
	v_ldexp_f32 v15, v15, v16
	v_cmp_ngt_f32_e32 vcc, s63, v14
	v_add_f32_e32 v7, v5, v7
	v_cndmask_b32_e32 v15, 0, v15, vcc
	v_cmp_nlt_f32_e32 vcc, s47, v14
	v_add_f32_e32 v7, v2, v7
	v_cndmask_b32_e32 v15, v99, v15, vcc
	v_cmp_le_f32_e32 vcc, s89, v14
	v_add_f32_e32 v7, v3, v7
	v_cndmask_b32_e32 v14, 0, v15, vcc
	v_fmac_f32_e32 v7, v52, v14
	v_cvt_f16_f32_e32 v14, v14
	v_cvt_f16_f32_e32 v10, v10
	;; [unrolled: 1-line block ×4, first 2 shown]
	v_pk_mul_f16 v39, v14, v107 op_sel_hi:[0,1]
	v_pk_mul_f16 v36, v14, v108 op_sel_hi:[0,1]
	;; [unrolled: 1-line block ×8, first 2 shown]
	v_pack_b32_f16 v14, v11, v10
	v_cvt_f16_f32_e32 v10, v12
	v_cvt_f16_f32_e32 v11, v13
	;; [unrolled: 1-line block ×5, first 2 shown]
	v_pack_b32_f16 v15, v11, v10
	v_cvt_f16_f32_e32 v10, v24
	v_cvt_f16_f32_e32 v11, v22
	;; [unrolled: 1-line block ×4, first 2 shown]
	v_cvt_f32_f16_e32 v52, v20
	v_pack_b32_f16 v12, v11, v10
	v_cvt_f16_f32_e32 v10, v25
	v_cvt_f16_f32_e32 v11, v26
	v_cvt_f32_f16_sdwa v53, v20 dst_sel:DWORD dst_unused:UNUSED_PAD src0_sel:WORD_1
	v_pack_b32_f16 v13, v11, v10
	v_cvt_f16_f32_e32 v10, v40
	v_cvt_f16_f32_e32 v11, v47
	v_pack_b32_f16 v10, v11, v10
	v_pack_b32_f16 v11, v8, v9
	;; [unrolled: 1-line block ×3, first 2 shown]
	v_add_co_u32_e32 v2, vcc, s2, v28
	v_mov_b32_e32 v3, s3
	v_addc_co_u32_e32 v3, vcc, v3, v29, vcc
	v_add_co_u32_e32 v2, vcc, v2, v104
	v_addc_co_u32_e32 v3, vcc, 0, v3, vcc
	v_pack_b32_f16 v8, v4, v5
	v_add_co_u32_e32 v4, vcc, s2, v30
	v_mov_b32_e32 v5, s3
	v_addc_co_u32_e32 v5, vcc, v5, v31, vcc
	v_add_co_u32_e32 v24, vcc, v4, v104
	v_addc_co_u32_e32 v25, vcc, 0, v5, vcc
	global_load_dwordx4 v[2:5], v[2:3], off
	s_waitcnt vmcnt(0)
	ds_write_b128 v67, v[2:5]
	global_load_dwordx4 v[2:5], v[24:25], off
	v_add_u32_e32 v24, v95, v126
	v_add_u32_e32 v25, v95, v114
	s_waitcnt vmcnt(0)
	ds_write_b128 v120, v[2:5]
	s_waitcnt lgkmcnt(0)
	s_barrier
	ds_read_u16 v22, v72 offset:288
	v_cvt_f32_f16_e32 v4, v36
	v_cvt_f32_f16_sdwa v5, v36 dst_sel:DWORD dst_unused:UNUSED_PAD src0_sel:WORD_1
	ds_read_u16 v26, v24
	ds_read_u16 v36, v24 offset:32
	v_cvt_f32_f16_e32 v2, v39
	v_cvt_f32_f16_sdwa v3, v39 dst_sel:DWORD dst_unused:UNUSED_PAD src0_sel:WORD_1
	s_waitcnt lgkmcnt(1)
	v_perm_b32 v51, v26, v22, s90
	ds_read_u16 v22, v70
	ds_read_u16 v26, v70 offset:32
	ds_read_u16 v39, v25 offset:144
	;; [unrolled: 1-line block ×3, first 2 shown]
	s_waitcnt lgkmcnt(1)
	v_perm_b32 v50, v39, v22, s90
	s_nop 1
	v_mfma_f32_16x16x16f16 v[2:5], v[50:51], v[14:15], v[2:5]
	ds_read_u16 v22, v70 offset:2304
	ds_read_u16 v39, v25 offset:2448
	;; [unrolled: 1-line block ×4, first 2 shown]
	s_waitcnt lgkmcnt(2)
	v_perm_b32 v50, v39, v22, s90
	s_waitcnt lgkmcnt(0)
	v_perm_b32 v51, v47, v46, s90
	ds_read_u16 v22, v70 offset:4608
	ds_read_u16 v39, v25 offset:4752
	;; [unrolled: 1-line block ×4, first 2 shown]
	v_cvt_f16_f32_e32 v2, v2
	v_cvt_f16_f32_e32 v3, v3
	;; [unrolled: 1-line block ×4, first 2 shown]
	v_cvt_f32_f16_e32 v2, v2
	v_cvt_f32_f16_e32 v3, v3
	;; [unrolled: 1-line block ×4, first 2 shown]
	s_nop 1
	v_mfma_f32_16x16x16f16 v[2:5], v[50:51], v[12:13], v[2:5]
	s_waitcnt lgkmcnt(0)
	v_perm_b32 v51, v47, v46, s90
	v_perm_b32 v50, v39, v22, s90
	ds_read_u16 v22, v70 offset:6912
	ds_read_u16 v39, v25 offset:7056
	;; [unrolled: 1-line block ×4, first 2 shown]
	s_nop 3
	v_cvt_f16_f32_e32 v2, v2
	v_cvt_f16_f32_e32 v3, v3
	;; [unrolled: 1-line block ×4, first 2 shown]
	v_cvt_f32_f16_e32 v2, v2
	v_cvt_f32_f16_e32 v3, v3
	;; [unrolled: 1-line block ×4, first 2 shown]
	s_nop 1
	v_mfma_f32_16x16x16f16 v[2:5], v[50:51], v[10:11], v[2:5]
	s_waitcnt lgkmcnt(0)
	v_perm_b32 v51, v47, v46, s90
	v_perm_b32 v50, v39, v22, s90
	s_nop 7
	v_cvt_f16_f32_e32 v2, v2
	v_cvt_f16_f32_e32 v3, v3
	;; [unrolled: 1-line block ×4, first 2 shown]
	v_cvt_f32_f16_e32 v2, v2
	v_cvt_f32_f16_e32 v3, v3
	;; [unrolled: 1-line block ×4, first 2 shown]
	s_nop 1
	v_mfma_f32_16x16x16f16 v[2:5], v[50:51], v[8:9], v[2:5]
	v_cvt_f32_f16_e32 v50, v21
	v_cvt_f32_f16_sdwa v51, v21 dst_sel:DWORD dst_unused:UNUSED_PAD src0_sel:WORD_1
	s_nop 7
	s_nop 0
	v_cvt_f16_f32_e32 v2, v2
	v_cvt_f16_f32_e32 v3, v3
	v_cvt_f16_f32_e32 v4, v4
	v_cvt_f16_f32_e32 v5, v5
	v_pack_b32_f16 v2, v2, v3
	v_pack_b32_f16 v3, v4, v5
	ds_read_u16 v4, v77 offset:288
	s_waitcnt lgkmcnt(0)
	v_perm_b32 v5, v36, v4, s90
	v_perm_b32 v4, v40, v26, s90
	ds_read_u16 v22, v70 offset:2336
	ds_read_u16 v26, v25 offset:2480
	ds_read_u16 v36, v78 offset:288
	ds_read_u16 v39, v24 offset:2336
	v_mfma_f32_16x16x16f16 v[50:53], v[4:5], v[14:15], v[50:53]
	s_nop 7
	s_nop 2
	v_cvt_f16_f32_e32 v4, v50
	v_cvt_f16_f32_e32 v5, v51
	v_cvt_f16_f32_e32 v20, v52
	v_cvt_f16_f32_e32 v21, v53
	v_cvt_f32_f16_e32 v50, v4
	v_cvt_f32_f16_e32 v51, v5
	s_waitcnt lgkmcnt(0)
	v_perm_b32 v5, v39, v36, s90
	v_perm_b32 v4, v26, v22, s90
	v_cvt_f32_f16_e32 v52, v20
	v_cvt_f32_f16_e32 v53, v21
	ds_read_u16 v22, v70 offset:4640
	ds_read_u16 v26, v25 offset:4784
	ds_read_u16 v36, v79 offset:288
	ds_read_u16 v39, v24 offset:4640
	v_mfma_f32_16x16x16f16 v[50:53], v[4:5], v[12:13], v[50:53]
	s_nop 7
	s_nop 2
	v_cvt_f16_f32_e32 v4, v50
	v_cvt_f16_f32_e32 v5, v51
	v_cvt_f16_f32_e32 v20, v52
	v_cvt_f16_f32_e32 v21, v53
	v_cvt_f32_f16_e32 v50, v4
	v_cvt_f32_f16_e32 v51, v5
	s_waitcnt lgkmcnt(0)
	v_perm_b32 v5, v39, v36, s90
	v_perm_b32 v4, v26, v22, s90
	v_cvt_f32_f16_e32 v52, v20
	v_cvt_f32_f16_e32 v53, v21
	;; [unrolled: 18-line block ×3, first 2 shown]
	s_nop 1
	v_mfma_f32_16x16x16f16 v[50:53], v[4:5], v[8:9], v[50:53]
	s_nop 7
	s_nop 2
	v_cvt_f16_f32_e32 v4, v50
	v_cvt_f16_f32_e32 v5, v51
	;; [unrolled: 1-line block ×4, first 2 shown]
	v_cvt_f32_f16_e32 v50, v17
	v_pack_b32_f16 v4, v4, v5
	v_cvt_f32_f16_sdwa v51, v17 dst_sel:DWORD dst_unused:UNUSED_PAD src0_sel:WORD_1
	v_pack_b32_f16 v5, v20, v21
	ds_read_u16 v20, v70 offset:64
	ds_read_u16 v21, v25 offset:208
	;; [unrolled: 1-line block ×4, first 2 shown]
	v_cvt_f32_f16_e32 v52, v16
	v_cvt_f32_f16_sdwa v53, v16 dst_sel:DWORD dst_unused:UNUSED_PAD src0_sel:WORD_1
	s_waitcnt lgkmcnt(2)
	v_perm_b32 v16, v21, v20, s90
	s_waitcnt lgkmcnt(0)
	v_perm_b32 v17, v26, v22, s90
	ds_read_u16 v22, v70 offset:2368
	ds_read_u16 v26, v25 offset:2512
	ds_read_u16 v36, v82 offset:288
	ds_read_u16 v39, v24 offset:2368
	v_mfma_f32_16x16x16f16 v[50:53], v[16:17], v[14:15], v[50:53]
	s_nop 7
	s_nop 2
	v_cvt_f16_f32_e32 v16, v50
	v_cvt_f16_f32_e32 v17, v51
	v_cvt_f16_f32_e32 v20, v52
	v_cvt_f16_f32_e32 v21, v53
	v_cvt_f32_f16_e32 v50, v16
	v_cvt_f32_f16_e32 v51, v17
	s_waitcnt lgkmcnt(0)
	v_perm_b32 v17, v39, v36, s90
	v_perm_b32 v16, v26, v22, s90
	v_cvt_f32_f16_e32 v52, v20
	v_cvt_f32_f16_e32 v53, v21
	ds_read_u16 v22, v70 offset:4672
	ds_read_u16 v26, v25 offset:4816
	ds_read_u16 v36, v83 offset:288
	ds_read_u16 v39, v24 offset:4672
	v_mfma_f32_16x16x16f16 v[50:53], v[16:17], v[12:13], v[50:53]
	s_nop 7
	s_nop 2
	v_cvt_f16_f32_e32 v16, v50
	v_cvt_f16_f32_e32 v17, v51
	v_cvt_f16_f32_e32 v20, v52
	v_cvt_f16_f32_e32 v21, v53
	v_cvt_f32_f16_e32 v50, v16
	v_cvt_f32_f16_e32 v51, v17
	s_waitcnt lgkmcnt(0)
	v_perm_b32 v17, v39, v36, s90
	v_perm_b32 v16, v26, v22, s90
	v_cvt_f32_f16_e32 v52, v20
	v_cvt_f32_f16_e32 v53, v21
	;; [unrolled: 18-line block ×3, first 2 shown]
	s_nop 1
	v_mfma_f32_16x16x16f16 v[50:53], v[16:17], v[8:9], v[50:53]
	s_nop 7
	s_nop 2
	v_cvt_f16_f32_e32 v16, v50
	v_cvt_f16_f32_e32 v17, v51
	v_cvt_f16_f32_e32 v20, v52
	v_cvt_f16_f32_e32 v21, v53
	v_cvt_f32_f16_e32 v50, v19
	v_pack_b32_f16 v16, v16, v17
	v_cvt_f32_f16_sdwa v51, v19 dst_sel:DWORD dst_unused:UNUSED_PAD src0_sel:WORD_1
	v_pack_b32_f16 v17, v20, v21
	ds_read_u16 v20, v70 offset:96
	ds_read_u16 v21, v25 offset:240
	ds_read_u16 v22, v85 offset:288
	ds_read_u16 v26, v24 offset:96
	v_cvt_f32_f16_e32 v52, v18
	v_cvt_f32_f16_sdwa v53, v18 dst_sel:DWORD dst_unused:UNUSED_PAD src0_sel:WORD_1
	s_waitcnt lgkmcnt(2)
	v_perm_b32 v18, v21, v20, s90
	s_waitcnt lgkmcnt(0)
	v_perm_b32 v19, v26, v22, s90
	ds_read_u16 v22, v70 offset:2400
	ds_read_u16 v26, v25 offset:2544
	;; [unrolled: 1-line block ×4, first 2 shown]
	v_mfma_f32_16x16x16f16 v[18:21], v[18:19], v[14:15], v[50:53]
	s_nop 7
	s_nop 2
	v_cvt_f16_f32_e32 v14, v18
	v_cvt_f16_f32_e32 v15, v19
	;; [unrolled: 1-line block ×4, first 2 shown]
	v_cvt_f32_f16_e32 v18, v14
	v_cvt_f32_f16_e32 v19, v15
	s_waitcnt lgkmcnt(0)
	v_perm_b32 v15, v39, v36, s90
	v_perm_b32 v14, v26, v22, s90
	v_cvt_f32_f16_e32 v20, v20
	v_cvt_f32_f16_e32 v21, v21
	s_nop 1
	v_mfma_f32_16x16x16f16 v[12:15], v[14:15], v[12:13], v[18:21]
	s_nop 6
	ds_read_u16 v18, v70 offset:4704
	ds_read_u16 v20, v25 offset:4848
	;; [unrolled: 1-line block ×4, first 2 shown]
	s_waitcnt lgkmcnt(2)
	v_perm_b32 v18, v20, v18, s90
	s_waitcnt lgkmcnt(0)
	v_perm_b32 v19, v21, v19, s90
	v_cvt_f16_f32_e32 v12, v12
	v_cvt_f16_f32_e32 v13, v13
	;; [unrolled: 1-line block ×4, first 2 shown]
	v_cvt_f32_f16_e32 v12, v12
	v_cvt_f32_f16_e32 v13, v13
	;; [unrolled: 1-line block ×4, first 2 shown]
	s_nop 1
	v_mfma_f32_16x16x16f16 v[18:21], v[18:19], v[10:11], v[12:15]
	s_nop 7
	s_nop 2
	v_cvt_f16_f32_e32 v14, v19
	ds_read_u16 v10, v70 offset:7008
	ds_read_u16 v11, v25 offset:7152
	;; [unrolled: 1-line block ×4, first 2 shown]
	v_cvt_f16_f32_e32 v13, v18
	v_cvt_f16_f32_e32 v15, v20
	;; [unrolled: 1-line block ×3, first 2 shown]
	v_cvt_f32_f16_e32 v51, v14
	v_cvt_f32_f16_e32 v50, v13
	s_waitcnt lgkmcnt(0)
	v_perm_b32 v13, v19, v12, s90
	v_perm_b32 v12, v11, v10, s90
	v_cvt_f32_f16_e32 v52, v15
	v_cvt_f32_f16_e32 v53, v18
	s_barrier
	s_nop 0
	v_mfma_f32_16x16x16f16 v[8:11], v[12:13], v[8:9], v[50:53]
	s_nop 7
	s_nop 2
	v_cvt_f16_f32_e32 v8, v8
	v_cvt_f16_f32_e32 v9, v9
	v_cvt_f16_f32_e32 v10, v10
	v_cvt_f16_f32_e32 v11, v11
	v_pack_b32_f16 v8, v8, v9
	v_pack_b32_f16 v9, v10, v11
	ds_bpermute_b32 v10, v48, v7
	s_waitcnt lgkmcnt(0)
	v_add_f32_e32 v7, v7, v10
	ds_bpermute_b32 v0, v0, v7
	s_waitcnt lgkmcnt(0)
	v_add_f32_e32 v7, v7, v0
	s_cbranch_scc0 .LBB0_197
; %bb.58:                               ;   in Loop: Header=BB0_13 Depth=1
	buffer_load_dword v10, off, s[96:99], 0 offset:36 ; 4-byte Folded Reload
	buffer_load_dword v11, off, s[96:99], 0 offset:40 ; 4-byte Folded Reload
	s_waitcnt vmcnt(1)
	v_lshlrev_b32_e32 v0, 2, v10
	global_load_dword v0, v0, s[68:69]
	v_max_f32_e32 v10, v6, v6
	s_waitcnt vmcnt(0)
	v_max_f32_e32 v11, v0, v0
	v_max_f32_e32 v10, v10, v11
	v_sub_f32_e32 v11, v6, v10
	v_sub_f32_e32 v0, v0, v10
	v_mul_f32_e32 v12, 0x3fb8aa3b, v11
	v_mul_f32_e32 v13, 0x3fb8aa3b, v0
	v_fma_f32 v14, v11, s41, -v12
	v_rndne_f32_e32 v15, v12
	v_fma_f32 v18, v0, s41, -v13
	v_rndne_f32_e32 v19, v13
	v_fmac_f32_e32 v14, 0x32a5705f, v11
	v_sub_f32_e32 v12, v12, v15
	v_fmac_f32_e32 v18, 0x32a5705f, v0
	v_sub_f32_e32 v13, v13, v19
	v_add_f32_e32 v12, v12, v14
	v_cvt_i32_f32_e32 v15, v15
	v_add_f32_e32 v13, v13, v18
	v_exp_f32_e32 v12, v12
	v_cvt_i32_f32_e32 v19, v19
	v_exp_f32_e32 v13, v13
	v_cmp_ngt_f32_e32 vcc, s63, v11
	v_ldexp_f32 v12, v12, v15
	v_cndmask_b32_e32 v12, 0, v12, vcc
	v_ldexp_f32 v13, v13, v19
	v_cmp_ngt_f32_e32 vcc, s63, v0
	v_cndmask_b32_e32 v13, 0, v13, vcc
	v_cmp_nlt_f32_e32 vcc, s47, v11
	v_cndmask_b32_e32 v12, v99, v12, vcc
	v_cmp_le_f32_e32 vcc, s89, v11
	v_cndmask_b32_e32 v12, 0, v12, vcc
	v_cvt_f16_f32_e32 v21, v12
	v_cmp_nlt_f32_e32 vcc, s47, v0
	v_cndmask_b32_e32 v11, v99, v13, vcc
	v_fmac_f32_e32 v11, v7, v12
	v_pk_mul_f16 v12, v21, v2 op_sel_hi:[0,1]
	v_pk_mul_f16 v13, v21, v3 op_sel_hi:[0,1]
	;; [unrolled: 1-line block ×8, first 2 shown]
	buffer_load_dword v54, off, s[96:99], 0 offset:28 ; 4-byte Folded Reload
	buffer_load_dword v55, off, s[96:99], 0 offset:32 ; 4-byte Folded Reload
	s_cbranch_execnz .LBB0_60
.LBB0_59:                               ;   in Loop: Header=BB0_13 Depth=1
	v_pk_mov_b32 v[12:13], v[2:3], v[2:3] op_sel:[0,1]
	v_pk_mov_b32 v[14:15], v[4:5], v[4:5] op_sel:[0,1]
	;; [unrolled: 1-line block ×5, first 2 shown]
.LBB0_60:                               ;   in Loop: Header=BB0_13 Depth=1
	s_barrier
	s_mov_b64 s[2:3], exec
	v_readlane_b32 s4, v127, 20
	v_readlane_b32 s5, v127, 21
	s_and_b64 s[4:5], s[2:3], s[4:5]
	s_mov_b64 exec, s[4:5]
	s_cbranch_execz .LBB0_62
; %bb.61:                               ;   in Loop: Header=BB0_13 Depth=1
	buffer_load_dword v2, off, s[96:99], 0 offset:92 ; 4-byte Folded Reload
	buffer_load_dword v3, off, s[96:99], 0 offset:96 ; 4-byte Folded Reload
	s_waitcnt vmcnt(0)
	global_store_dwordx2 v[2:3], v[10:11], off
.LBB0_62:                               ;   in Loop: Header=BB0_13 Depth=1
	s_or_b64 exec, exec, s[2:3]
	v_cmp_gt_i32_e64 s[2:3], s24, v63
	v_cmp_gt_i32_e64 s[4:5], s33, v1
	v_cmp_le_i32_e32 vcc, s33, v1
	s_and_b64 s[2:3], s[2:3], s[4:5]
	v_mov_b32_e32 v0, 50
	ds_write2_b32 v116, v12, v13 offset1:1
	ds_write2_b32 v116, v14, v15 offset0:8 offset1:9
	ds_write2_b32 v116, v18, v19 offset0:16 offset1:17
	;; [unrolled: 1-line block ×3, first 2 shown]
	s_waitcnt lgkmcnt(0)
	s_barrier
	s_and_saveexec_b64 s[4:5], s[2:3]
	s_cbranch_execz .LBB0_64
; %bb.63:                               ;   in Loop: Header=BB0_13 Depth=1
	ds_read_b32 v0, v89
	buffer_load_dword v4, off, s[96:99], 0  ; 4-byte Folded Reload
	buffer_load_dword v5, off, s[96:99], 0 offset:4 ; 4-byte Folded Reload
	s_waitcnt vmcnt(2)
	v_mad_u64_u32 v[2:3], s[2:3], v63, s25, v[54:55]
	v_mov_b32_e32 v6, s58
	s_waitcnt vmcnt(0) lgkmcnt(0)
	v_cvt_f32_f16_sdwa v5, v0 dst_sel:DWORD dst_unused:UNUSED_PAD src0_sel:WORD_1
	v_lshl_or_b32 v2, v2, 5, v4
	v_cvt_f32_f16_e32 v4, v0
	v_ashrrev_i32_e32 v3, 31, v2
	v_lshlrev_b64 v[2:3], 3, v[2:3]
	v_add_co_u32_e64 v2, s[2:3], s88, v2
	v_addc_co_u32_e64 v3, s[2:3], v6, v3, s[2:3]
	v_pk_add_f32 v[4:5], v[4:5], 0 op_sel_hi:[1,0]
	v_mov_b32_e32 v0, 0
	global_store_dwordx2 v[2:3], v[4:5], off
.LBB0_64:                               ;   in Loop: Header=BB0_13 Depth=1
	s_or_b64 exec, exec, s[4:5]
	v_cmp_gt_i32_e64 s[2:3], 50, v0
	s_mov_b64 s[74:75], -1
	s_and_saveexec_b64 s[4:5], s[2:3]
; %bb.65:                               ;   in Loop: Header=BB0_13 Depth=1
	v_cmp_eq_u32_e64 s[2:3], 0, v0
	s_orn2_b64 s[74:75], s[2:3], exec
; %bb.66:                               ;   in Loop: Header=BB0_13 Depth=1
	s_or_b64 exec, exec, s[4:5]
	s_mov_b64 s[70:71], 0
	s_mov_b64 s[4:5], 0
                                        ; implicit-def: $vgpr4_vgpr5
                                        ; implicit-def: $vgpr2
	s_and_saveexec_b64 s[72:73], s[74:75]
	s_cbranch_execz .LBB0_106
; %bb.67:                               ;   in Loop: Header=BB0_13 Depth=1
	v_cmp_gt_i32_e64 s[2:3], s24, v62
	s_xor_b64 s[4:5], vcc, -1
	s_and_b64 s[74:75], s[2:3], s[4:5]
	v_mov_b32_e32 v0, 50
	s_and_saveexec_b64 s[2:3], s[74:75]
	s_cbranch_execz .LBB0_69
; %bb.68:                               ;   in Loop: Header=BB0_13 Depth=1
	ds_read_b32 v0, v89 offset:1152
	buffer_load_dword v4, off, s[96:99], 0  ; 4-byte Folded Reload
	buffer_load_dword v5, off, s[96:99], 0 offset:4 ; 4-byte Folded Reload
	s_waitcnt vmcnt(2)
	v_mad_u64_u32 v[2:3], s[74:75], v62, s25, v[54:55]
	v_mov_b32_e32 v6, s58
	s_waitcnt vmcnt(0) lgkmcnt(0)
	v_cvt_f32_f16_sdwa v5, v0 dst_sel:DWORD dst_unused:UNUSED_PAD src0_sel:WORD_1
	v_lshl_or_b32 v2, v2, 5, v4
	v_cvt_f32_f16_e32 v4, v0
	v_ashrrev_i32_e32 v3, 31, v2
	v_lshlrev_b64 v[2:3], 3, v[2:3]
	v_add_co_u32_e32 v2, vcc, s88, v2
	v_addc_co_u32_e32 v3, vcc, v6, v3, vcc
	v_pk_add_f32 v[4:5], v[4:5], 0 op_sel_hi:[1,0]
	v_mov_b32_e32 v0, 0
	global_store_dwordx2 v[2:3], v[4:5], off
.LBB0_69:                               ;   in Loop: Header=BB0_13 Depth=1
	s_or_b64 exec, exec, s[2:3]
	v_cmp_gt_i32_e32 vcc, 50, v0
	s_mov_b64 s[76:77], -1
	s_and_saveexec_b64 s[2:3], vcc
; %bb.70:                               ;   in Loop: Header=BB0_13 Depth=1
	v_cmp_eq_u32_e32 vcc, 0, v0
	s_orn2_b64 s[76:77], vcc, exec
; %bb.71:                               ;   in Loop: Header=BB0_13 Depth=1
	s_or_b64 exec, exec, s[2:3]
	s_mov_b64 s[74:75], 0
                                        ; implicit-def: $vgpr4_vgpr5
                                        ; implicit-def: $vgpr2
	s_and_saveexec_b64 s[2:3], s[76:77]
	s_cbranch_execz .LBB0_105
; %bb.72:                               ;   in Loop: Header=BB0_13 Depth=1
	v_cmp_gt_i32_e32 vcc, s24, v60
	s_and_b64 s[76:77], vcc, s[4:5]
	v_mov_b32_e32 v0, 50
	s_and_saveexec_b64 s[74:75], s[76:77]
	s_cbranch_execz .LBB0_74
; %bb.73:                               ;   in Loop: Header=BB0_13 Depth=1
	buffer_load_dword v0, off, s[96:99], 0 offset:144 ; 4-byte Folded Reload
	s_waitcnt vmcnt(1)
	v_mad_u64_u32 v[2:3], s[76:77], v60, s25, v[54:55]
	v_mov_b32_e32 v6, s58
	s_waitcnt vmcnt(0)
	ds_read_b32 v0, v0
	buffer_load_dword v4, off, s[96:99], 0  ; 4-byte Folded Reload
	buffer_load_dword v5, off, s[96:99], 0 offset:4 ; 4-byte Folded Reload
	s_waitcnt vmcnt(0) lgkmcnt(0)
	v_cvt_f32_f16_sdwa v5, v0 dst_sel:DWORD dst_unused:UNUSED_PAD src0_sel:WORD_1
	v_lshl_or_b32 v2, v2, 5, v4
	v_cvt_f32_f16_e32 v4, v0
	v_ashrrev_i32_e32 v3, 31, v2
	v_lshlrev_b64 v[2:3], 3, v[2:3]
	v_add_co_u32_e32 v2, vcc, s88, v2
	v_addc_co_u32_e32 v3, vcc, v6, v3, vcc
	v_pk_add_f32 v[4:5], v[4:5], 0 op_sel_hi:[1,0]
	v_mov_b32_e32 v0, 0
	global_store_dwordx2 v[2:3], v[4:5], off
.LBB0_74:                               ;   in Loop: Header=BB0_13 Depth=1
	s_or_b64 exec, exec, s[74:75]
	v_cmp_gt_i32_e32 vcc, 50, v0
	s_mov_b64 s[78:79], -1
	s_and_saveexec_b64 s[74:75], vcc
; %bb.75:                               ;   in Loop: Header=BB0_13 Depth=1
	v_cmp_eq_u32_e32 vcc, 0, v0
	s_orn2_b64 s[78:79], vcc, exec
; %bb.76:                               ;   in Loop: Header=BB0_13 Depth=1
	s_or_b64 exec, exec, s[74:75]
	s_mov_b64 s[76:77], 0
                                        ; implicit-def: $vgpr4_vgpr5
                                        ; implicit-def: $vgpr2
	s_and_saveexec_b64 s[74:75], s[78:79]
	s_cbranch_execz .LBB0_104
; %bb.77:                               ;   in Loop: Header=BB0_13 Depth=1
	v_cmp_gt_i32_e32 vcc, s24, v58
	s_and_b64 s[78:79], vcc, s[4:5]
	v_mov_b32_e32 v0, 50
	s_and_saveexec_b64 s[76:77], s[78:79]
	s_cbranch_execz .LBB0_79
; %bb.78:                               ;   in Loop: Header=BB0_13 Depth=1
	ds_read_b32 v0, v89 offset:3456
	buffer_load_dword v4, off, s[96:99], 0  ; 4-byte Folded Reload
	buffer_load_dword v5, off, s[96:99], 0 offset:4 ; 4-byte Folded Reload
	s_waitcnt vmcnt(2)
	v_mad_u64_u32 v[2:3], s[78:79], v58, s25, v[54:55]
	v_mov_b32_e32 v6, s58
	s_waitcnt vmcnt(0) lgkmcnt(0)
	v_cvt_f32_f16_sdwa v5, v0 dst_sel:DWORD dst_unused:UNUSED_PAD src0_sel:WORD_1
	v_lshl_or_b32 v2, v2, 5, v4
	v_cvt_f32_f16_e32 v4, v0
	v_ashrrev_i32_e32 v3, 31, v2
	v_lshlrev_b64 v[2:3], 3, v[2:3]
	v_add_co_u32_e32 v2, vcc, s88, v2
	v_addc_co_u32_e32 v3, vcc, v6, v3, vcc
	v_pk_add_f32 v[4:5], v[4:5], 0 op_sel_hi:[1,0]
	v_mov_b32_e32 v0, 0
	global_store_dwordx2 v[2:3], v[4:5], off
.LBB0_79:                               ;   in Loop: Header=BB0_13 Depth=1
	s_or_b64 exec, exec, s[76:77]
	v_cmp_gt_i32_e32 vcc, 50, v0
	s_mov_b64 s[80:81], -1
	s_and_saveexec_b64 s[76:77], vcc
; %bb.80:                               ;   in Loop: Header=BB0_13 Depth=1
	v_cmp_eq_u32_e32 vcc, 0, v0
	s_orn2_b64 s[80:81], vcc, exec
; %bb.81:                               ;   in Loop: Header=BB0_13 Depth=1
	s_or_b64 exec, exec, s[76:77]
	s_mov_b64 s[78:79], 0
                                        ; implicit-def: $vgpr4_vgpr5
                                        ; implicit-def: $vgpr2
	s_and_saveexec_b64 s[76:77], s[80:81]
	s_cbranch_execz .LBB0_103
; %bb.82:                               ;   in Loop: Header=BB0_13 Depth=1
	v_cmp_gt_i32_e32 vcc, s24, v56
	s_and_b64 s[80:81], vcc, s[4:5]
	v_mov_b32_e32 v0, 50
	s_and_saveexec_b64 s[78:79], s[80:81]
	s_cbranch_execz .LBB0_84
; %bb.83:                               ;   in Loop: Header=BB0_13 Depth=1
	buffer_load_dword v0, off, s[96:99], 0 offset:156 ; 4-byte Folded Reload
	s_waitcnt vmcnt(1)
	v_mad_u64_u32 v[2:3], s[80:81], v56, s25, v[54:55]
	v_mov_b32_e32 v6, s58
	s_waitcnt vmcnt(0)
	ds_read_b32 v0, v0
	buffer_load_dword v4, off, s[96:99], 0  ; 4-byte Folded Reload
	buffer_load_dword v5, off, s[96:99], 0 offset:4 ; 4-byte Folded Reload
	s_waitcnt vmcnt(0) lgkmcnt(0)
	v_cvt_f32_f16_sdwa v5, v0 dst_sel:DWORD dst_unused:UNUSED_PAD src0_sel:WORD_1
	v_lshl_or_b32 v2, v2, 5, v4
	v_cvt_f32_f16_e32 v4, v0
	v_ashrrev_i32_e32 v3, 31, v2
	v_lshlrev_b64 v[2:3], 3, v[2:3]
	v_add_co_u32_e32 v2, vcc, s88, v2
	v_addc_co_u32_e32 v3, vcc, v6, v3, vcc
	v_pk_add_f32 v[4:5], v[4:5], 0 op_sel_hi:[1,0]
	v_mov_b32_e32 v0, 0
	global_store_dwordx2 v[2:3], v[4:5], off
.LBB0_84:                               ;   in Loop: Header=BB0_13 Depth=1
	s_or_b64 exec, exec, s[78:79]
	v_cmp_gt_i32_e32 vcc, 50, v0
	s_mov_b64 s[82:83], -1
	s_and_saveexec_b64 s[78:79], vcc
; %bb.85:                               ;   in Loop: Header=BB0_13 Depth=1
	v_cmp_eq_u32_e32 vcc, 0, v0
	s_orn2_b64 s[82:83], vcc, exec
; %bb.86:                               ;   in Loop: Header=BB0_13 Depth=1
	s_or_b64 exec, exec, s[78:79]
	s_mov_b64 s[80:81], 0
                                        ; implicit-def: $vgpr4_vgpr5
                                        ; implicit-def: $vgpr2
	s_and_saveexec_b64 s[78:79], s[82:83]
	s_cbranch_execz .LBB0_102
; %bb.87:                               ;   in Loop: Header=BB0_13 Depth=1
	v_cmp_gt_i32_e32 vcc, s24, v37
	s_and_b64 s[82:83], vcc, s[4:5]
	v_mov_b32_e32 v0, 50
	s_and_saveexec_b64 s[80:81], s[82:83]
	s_cbranch_execz .LBB0_89
; %bb.88:                               ;   in Loop: Header=BB0_13 Depth=1
	ds_read_b32 v0, v89 offset:5760
	buffer_load_dword v4, off, s[96:99], 0  ; 4-byte Folded Reload
	buffer_load_dword v5, off, s[96:99], 0 offset:4 ; 4-byte Folded Reload
	s_waitcnt vmcnt(2)
	v_mad_u64_u32 v[2:3], s[82:83], v37, s25, v[54:55]
	v_mov_b32_e32 v6, s58
	s_waitcnt vmcnt(0) lgkmcnt(0)
	v_cvt_f32_f16_sdwa v5, v0 dst_sel:DWORD dst_unused:UNUSED_PAD src0_sel:WORD_1
	v_lshl_or_b32 v2, v2, 5, v4
	v_cvt_f32_f16_e32 v4, v0
	v_ashrrev_i32_e32 v3, 31, v2
	v_lshlrev_b64 v[2:3], 3, v[2:3]
	v_add_co_u32_e32 v2, vcc, s88, v2
	v_addc_co_u32_e32 v3, vcc, v6, v3, vcc
	v_pk_add_f32 v[4:5], v[4:5], 0 op_sel_hi:[1,0]
	v_mov_b32_e32 v0, 0
	global_store_dwordx2 v[2:3], v[4:5], off
.LBB0_89:                               ;   in Loop: Header=BB0_13 Depth=1
	s_or_b64 exec, exec, s[80:81]
	v_cmp_gt_i32_e32 vcc, 50, v0
	s_mov_b64 s[84:85], -1
	s_and_saveexec_b64 s[80:81], vcc
; %bb.90:                               ;   in Loop: Header=BB0_13 Depth=1
	v_cmp_eq_u32_e32 vcc, 0, v0
	s_orn2_b64 s[84:85], vcc, exec
; %bb.91:                               ;   in Loop: Header=BB0_13 Depth=1
	s_or_b64 exec, exec, s[80:81]
	s_mov_b64 s[82:83], 0
                                        ; implicit-def: $vgpr4_vgpr5
                                        ; implicit-def: $vgpr2
	s_and_saveexec_b64 s[80:81], s[84:85]
	s_cbranch_execz .LBB0_101
; %bb.92:                               ;   in Loop: Header=BB0_13 Depth=1
	v_cmp_gt_i32_e32 vcc, s24, v27
	s_and_b64 s[84:85], vcc, s[4:5]
	v_mov_b32_e32 v0, 50
	s_and_saveexec_b64 s[82:83], s[84:85]
	s_cbranch_execz .LBB0_94
; %bb.93:                               ;   in Loop: Header=BB0_13 Depth=1
	buffer_load_dword v0, off, s[96:99], 0 offset:164 ; 4-byte Folded Reload
	s_waitcnt vmcnt(1)
	v_mad_u64_u32 v[2:3], s[84:85], v27, s25, v[54:55]
	v_mov_b32_e32 v6, s58
	s_waitcnt vmcnt(0)
	ds_read_b32 v0, v0
	buffer_load_dword v4, off, s[96:99], 0  ; 4-byte Folded Reload
	buffer_load_dword v5, off, s[96:99], 0 offset:4 ; 4-byte Folded Reload
	s_waitcnt vmcnt(0) lgkmcnt(0)
	v_cvt_f32_f16_sdwa v5, v0 dst_sel:DWORD dst_unused:UNUSED_PAD src0_sel:WORD_1
	v_lshl_or_b32 v2, v2, 5, v4
	v_cvt_f32_f16_e32 v4, v0
	v_ashrrev_i32_e32 v3, 31, v2
	v_lshlrev_b64 v[2:3], 3, v[2:3]
	v_add_co_u32_e32 v2, vcc, s88, v2
	v_addc_co_u32_e32 v3, vcc, v6, v3, vcc
	v_pk_add_f32 v[4:5], v[4:5], 0 op_sel_hi:[1,0]
	v_mov_b32_e32 v0, 0
	global_store_dwordx2 v[2:3], v[4:5], off
.LBB0_94:                               ;   in Loop: Header=BB0_13 Depth=1
	s_or_b64 exec, exec, s[82:83]
	v_cmp_gt_i32_e32 vcc, 50, v0
	s_mov_b64 s[86:87], -1
	s_and_saveexec_b64 s[82:83], vcc
; %bb.95:                               ;   in Loop: Header=BB0_13 Depth=1
	v_cmp_eq_u32_e32 vcc, 0, v0
	s_orn2_b64 s[86:87], vcc, exec
; %bb.96:                               ;   in Loop: Header=BB0_13 Depth=1
	s_or_b64 exec, exec, s[82:83]
	s_mov_b64 s[84:85], 0
                                        ; implicit-def: $vgpr4_vgpr5
                                        ; implicit-def: $vgpr2
	s_and_saveexec_b64 s[82:83], s[86:87]
	s_cbranch_execz .LBB0_100
; %bb.97:                               ;   in Loop: Header=BB0_13 Depth=1
	v_cmp_gt_i32_e32 vcc, s24, v23
	s_and_b64 s[84:85], vcc, s[4:5]
	s_mov_b64 s[4:5], 0
                                        ; implicit-def: $vgpr4_vgpr5
                                        ; implicit-def: $vgpr2
	s_and_saveexec_b64 s[86:87], s[84:85]
	s_xor_b64 s[84:85], exec, s[86:87]
	s_cbranch_execz .LBB0_99
; %bb.98:                               ;   in Loop: Header=BB0_13 Depth=1
	ds_read_b32 v0, v89 offset:8064
	s_waitcnt vmcnt(0)
	v_mad_u64_u32 v[2:3], s[4:5], v23, s25, v[54:55]
	s_mov_b64 s[4:5], exec
	s_waitcnt lgkmcnt(0)
	v_cvt_f32_f16_sdwa v5, v0 dst_sel:DWORD dst_unused:UNUSED_PAD src0_sel:WORD_1
	v_cvt_f32_f16_e32 v4, v0
	v_pk_add_f32 v[4:5], v[4:5], 0 op_sel_hi:[1,0]
.LBB0_99:                               ;   in Loop: Header=BB0_13 Depth=1
	s_or_b64 exec, exec, s[84:85]
	s_and_b64 s[84:85], s[4:5], exec
.LBB0_100:                              ;   in Loop: Header=BB0_13 Depth=1
	s_or_b64 exec, exec, s[82:83]
	s_and_b64 s[82:83], s[84:85], exec
.LBB0_101:                              ;   in Loop: Header=BB0_13 Depth=1
	s_or_b64 exec, exec, s[80:81]
	s_and_b64 s[80:81], s[82:83], exec
.LBB0_102:                              ;   in Loop: Header=BB0_13 Depth=1
	s_or_b64 exec, exec, s[78:79]
	s_and_b64 s[78:79], s[80:81], exec
.LBB0_103:                              ;   in Loop: Header=BB0_13 Depth=1
	s_or_b64 exec, exec, s[76:77]
	s_and_b64 s[76:77], s[78:79], exec
.LBB0_104:                              ;   in Loop: Header=BB0_13 Depth=1
	s_or_b64 exec, exec, s[74:75]
	s_and_b64 s[74:75], s[76:77], exec
.LBB0_105:                              ;   in Loop: Header=BB0_13 Depth=1
	s_or_b64 exec, exec, s[2:3]
	s_and_b64 s[4:5], s[74:75], exec
.LBB0_106:                              ;   in Loop: Header=BB0_13 Depth=1
	s_or_b64 exec, exec, s[72:73]
	s_and_b64 vcc, exec, s[70:71]
	s_cbranch_vccz .LBB0_51
.LBB0_107:                              ;   in Loop: Header=BB0_13 Depth=1
	buffer_load_dword v0, off, s[96:99], 0 offset:16 ; 4-byte Folded Reload
	s_lshl_b32 s42, s42, 4
	v_cmp_gt_i32_e32 vcc, s33, v1
	s_waitcnt vmcnt(0)
	v_add_u32_e32 v39, s42, v0
	v_cmp_gt_i32_e64 s[2:3], s24, v39
	s_and_b64 s[82:83], s[2:3], vcc
	s_xor_b64 s[2:3], s[82:83], -1
	s_and_saveexec_b64 s[70:71], s[2:3]
	s_xor_b64 s[2:3], exec, s[70:71]
	s_cbranch_execz .LBB0_109
; %bb.108:                              ;   in Loop: Header=BB0_13 Depth=1
	ds_write_b32 v89, v117
.LBB0_109:                              ;   in Loop: Header=BB0_13 Depth=1
	s_andn2_saveexec_b64 s[70:71], s[2:3]
	s_cbranch_execz .LBB0_111
; %bb.110:                              ;   in Loop: Header=BB0_13 Depth=1
	v_mad_u64_u32 v[0:1], s[2:3], v39, s51, v[42:43]
	v_ashrrev_i32_e32 v1, 31, v0
	v_lshlrev_b64 v[0:1], 3, v[0:1]
	v_mov_b32_e32 v2, s1
	v_add_co_u32_e64 v0, s[2:3], s0, v0
	v_addc_co_u32_e64 v1, s[2:3], v2, v1, s[2:3]
	global_load_dwordx2 v[0:1], v[0:1], off
	s_waitcnt vmcnt(0)
	v_cvt_f16_f32_e32 v0, v0
	v_cvt_f16_f32_e32 v1, v1
	v_pack_b32_f16 v0, v0, v1
	v_pk_mul_f16 v0, v41, v0
	ds_write_b32 v89, v0
.LBB0_111:                              ;   in Loop: Header=BB0_13 Depth=1
	s_or_b64 exec, exec, s[70:71]
	buffer_load_dword v0, off, s[96:99], 0 offset:20 ; 4-byte Folded Reload
	s_waitcnt vmcnt(0)
	v_add_u32_e32 v115, s42, v0
	v_cmp_gt_i32_e64 s[2:3], s24, v115
	s_and_b64 s[80:81], s[2:3], vcc
	s_xor_b64 s[2:3], s[80:81], -1
	s_and_saveexec_b64 s[70:71], s[2:3]
	s_xor_b64 s[2:3], exec, s[70:71]
	s_cbranch_execz .LBB0_113
; %bb.112:                              ;   in Loop: Header=BB0_13 Depth=1
	ds_write_b32 v89, v117 offset:1152
.LBB0_113:                              ;   in Loop: Header=BB0_13 Depth=1
	s_andn2_saveexec_b64 s[70:71], s[2:3]
	s_cbranch_execz .LBB0_115
; %bb.114:                              ;   in Loop: Header=BB0_13 Depth=1
	v_mad_u64_u32 v[0:1], s[2:3], v115, s51, v[42:43]
	v_ashrrev_i32_e32 v1, 31, v0
	v_lshlrev_b64 v[0:1], 3, v[0:1]
	v_mov_b32_e32 v2, s1
	v_add_co_u32_e64 v0, s[2:3], s0, v0
	v_addc_co_u32_e64 v1, s[2:3], v2, v1, s[2:3]
	global_load_dwordx2 v[0:1], v[0:1], off
	s_waitcnt vmcnt(0)
	v_cvt_f16_f32_e32 v0, v0
	v_cvt_f16_f32_e32 v1, v1
	v_pack_b32_f16 v0, v0, v1
	v_pk_mul_f16 v0, v41, v0
	ds_write_b32 v89, v0 offset:1152
.LBB0_115:                              ;   in Loop: Header=BB0_13 Depth=1
	s_or_b64 exec, exec, s[70:71]
	v_add_u32_e32 v96, s42, v98
	v_cmp_gt_i32_e64 s[2:3], s24, v96
	s_and_b64 s[78:79], s[2:3], vcc
	s_xor_b64 s[2:3], s[78:79], -1
	s_and_saveexec_b64 s[70:71], s[2:3]
	s_xor_b64 s[2:3], exec, s[70:71]
	s_cbranch_execz .LBB0_117
; %bb.116:                              ;   in Loop: Header=BB0_13 Depth=1
	ds_write_b32 v89, v117 offset:2304
.LBB0_117:                              ;   in Loop: Header=BB0_13 Depth=1
	s_andn2_saveexec_b64 s[70:71], s[2:3]
	s_cbranch_execz .LBB0_119
; %bb.118:                              ;   in Loop: Header=BB0_13 Depth=1
	v_mad_u64_u32 v[0:1], s[2:3], v96, s51, v[42:43]
	v_ashrrev_i32_e32 v1, 31, v0
	v_lshlrev_b64 v[0:1], 3, v[0:1]
	v_mov_b32_e32 v2, s1
	v_add_co_u32_e64 v0, s[2:3], s0, v0
	v_addc_co_u32_e64 v1, s[2:3], v2, v1, s[2:3]
	global_load_dwordx2 v[0:1], v[0:1], off
	s_waitcnt vmcnt(0)
	v_cvt_f16_f32_e32 v0, v0
	v_cvt_f16_f32_e32 v1, v1
	v_pack_b32_f16 v0, v0, v1
	v_pk_mul_f16 v0, v41, v0
	ds_write_b32 v89, v0 offset:2304
.LBB0_119:                              ;   in Loop: Header=BB0_13 Depth=1
	s_or_b64 exec, exec, s[70:71]
	;; [unrolled: 28-line block ×6, first 2 shown]
	buffer_load_dword v0, off, s[96:99], 0 offset:8 ; 4-byte Folded Reload
	s_waitcnt vmcnt(0)
	v_add_u32_e32 v49, s42, v0
	v_cmp_gt_i32_e64 s[2:3], s24, v49
	s_and_b64 s[2:3], s[2:3], vcc
	s_xor_b64 s[84:85], s[2:3], -1
	s_and_saveexec_b64 s[86:87], s[84:85]
	s_xor_b64 s[84:85], exec, s[86:87]
	s_cbranch_execz .LBB0_137
; %bb.136:                              ;   in Loop: Header=BB0_13 Depth=1
	ds_write_b32 v89, v117 offset:8064
.LBB0_137:                              ;   in Loop: Header=BB0_13 Depth=1
	s_andn2_saveexec_b64 s[84:85], s[84:85]
	s_cbranch_execz .LBB0_139
; %bb.138:                              ;   in Loop: Header=BB0_13 Depth=1
	v_mad_u64_u32 v[0:1], s[86:87], v49, s51, v[42:43]
	v_ashrrev_i32_e32 v1, 31, v0
	v_lshlrev_b64 v[0:1], 3, v[0:1]
	v_mov_b32_e32 v2, s1
	v_add_co_u32_e32 v0, vcc, s0, v0
	v_addc_co_u32_e32 v1, vcc, v2, v1, vcc
	global_load_dwordx2 v[0:1], v[0:1], off
	s_waitcnt vmcnt(0)
	v_cvt_f16_f32_e32 v0, v0
	v_cvt_f16_f32_e32 v1, v1
	v_pack_b32_f16 v0, v0, v1
	v_pk_mul_f16 v0, v41, v0
	ds_write_b32 v89, v0 offset:8064
.LBB0_139:                              ;   in Loop: Header=BB0_13 Depth=1
	s_or_b64 exec, exec, s[84:85]
	s_waitcnt lgkmcnt(0)
	s_barrier
	ds_read2_b64 v[6:9], v116 offset1:4
	ds_read2_b64 v[2:5], v116 offset0:8 offset1:12
	s_cmp_gt_i32 s55, 1
	s_waitcnt lgkmcnt(0)
	s_barrier
	s_cbranch_scc1 .LBB0_141
; %bb.140:                              ;   in Loop: Header=BB0_13 Depth=1
	v_add_u32_e32 v0, s42, v71
	v_mul_hi_u32 v1, s38, v0
	v_add_u32_e32 v1, v0, v1
	v_lshrrev_b32_e32 v1, s39, v1
	v_mul_lo_u32 v1, v1, s24
	v_sub_u32_e32 v0, v0, v1
	v_mad_i64_i32 v[12:13], s[0:1], v0, s40, 0
	buffer_load_dword v0, off, s[96:99], 0 offset:12 ; 4-byte Folded Reload
	s_mov_b64 s[86:87], 0
	s_mov_b64 s[84:85], 0
	s_waitcnt vmcnt(0)
	v_add_u32_e32 v0, s42, v0
	v_mul_hi_u32 v1, s38, v0
	v_add_u32_e32 v1, v0, v1
	v_lshrrev_b32_e32 v1, s39, v1
	v_mul_lo_u32 v1, v1, s24
	v_sub_u32_e32 v0, v0, v1
	v_mad_i64_i32 v[10:11], s[0:1], v0, s40, 0
	v_mbcnt_lo_u32_b32 v0, -1, 0
	v_mbcnt_hi_u32_b32 v100, -1, v0
	v_and_b32_e32 v0, 64, v100
	s_mov_b32 s0, 0
	v_add_u32_e32 v0, 64, v0
	v_xor_b32_e32 v107, 32, v100
	v_xor_b32_e32 v108, 16, v100
	s_mov_b32 s1, 0xfeffffff
	s_branch .LBB0_142
.LBB0_141:                              ;   in Loop: Header=BB0_13 Depth=1
	s_mov_b64 s[86:87], -1
                                        ; implicit-def: $sgpr0
                                        ; implicit-def: $sgpr84_sgpr85
                                        ; implicit-def: $sgpr1
                                        ; implicit-def: $vgpr12_vgpr13
                                        ; implicit-def: $vgpr10_vgpr11
                                        ; implicit-def: $vgpr100
                                        ; implicit-def: $vgpr0
                                        ; implicit-def: $vgpr107
                                        ; implicit-def: $vgpr108
.LBB0_142:                              ;   in Loop: Header=BB0_13 Depth=1
	s_andn2_b64 vcc, exec, s[86:87]
	v_mov_b32_e32 v25, s0
	v_mov_b32_e32 v62, s0
	;; [unrolled: 1-line block ×10, first 2 shown]
	s_cbranch_vccnz .LBB0_146
; %bb.143:                              ;   in Loop: Header=BB0_13 Depth=1
	v_mov_b32_e32 v0, v71
	v_add_u32_e32 v0, s42, v0
	v_mul_hi_u32 v1, s38, v0
	v_add_u32_e32 v1, v0, v1
	v_lshrrev_b32_e32 v1, s39, v1
	v_mul_lo_u32 v1, v1, s24
	v_sub_u32_e32 v48, v0, v1
	buffer_load_dword v0, off, s[96:99], 0 offset:12 ; 4-byte Folded Reload
	buffer_load_dword v12, off, s[96:99], 0 offset:104 ; 4-byte Folded Reload
	s_add_i32 s0, s55, -1
	s_add_u32 s1, s48, s49
	s_addc_u32 s30, s56, s30
	buffer_store_dword v49, off, s[96:99], 0 offset:84 ; 4-byte Folded Spill
	v_mov_b32_e32 v49, v119
	v_mov_b32_e32 v111, 0
	;; [unrolled: 1-line block ×11, first 2 shown]
	s_waitcnt vmcnt(2)
	v_add_u32_e32 v0, s42, v0
	v_mul_hi_u32 v1, s38, v0
	v_add_u32_e32 v1, v0, v1
	v_lshrrev_b32_e32 v1, s39, v1
	v_mul_lo_u32 v1, v1, s24
	v_sub_u32_e32 v50, v0, v1
	v_mbcnt_lo_u32_b32 v0, -1, 0
	v_mbcnt_hi_u32_b32 v100, -1, v0
	v_and_b32_e32 v0, 64, v100
	v_add_u32_e32 v0, 64, v0
	v_xor_b32_e32 v107, 32, v100
	v_cmp_lt_i32_e32 vcc, v107, v0
	v_xor_b32_e32 v108, 16, v100
	v_cndmask_b32_e32 v1, v100, v107, vcc
	v_cmp_lt_i32_e32 vcc, v108, v0
	v_lshlrev_b32_e32 v109, 2, v1
	v_cndmask_b32_e32 v1, v100, v108, vcc
	v_lshlrev_b32_e32 v110, 2, v1
	buffer_load_dword v1, off, s[96:99], 0 offset:100 ; 4-byte Folded Reload
	v_readlane_b32 s42, v127, 30
	v_readlane_b32 s43, v127, 31
	s_mov_b32 s84, s42
	v_mad_i64_i32 v[10:11], s[42:43], s84, v48, v[44:45]
	s_waitcnt vmcnt(0)
	v_add_co_u32_e32 v52, vcc, v1, v10
	v_addc_co_u32_e32 v53, vcc, v12, v11, vcc
	v_mad_i64_i32 v[10:11], s[42:43], s84, v50, v[44:45]
	v_add_co_u32_e32 v44, vcc, v1, v10
	buffer_load_dword v10, off, s[96:99], 0 offset:108 ; 4-byte Folded Reload
	v_addc_co_u32_e32 v45, vcc, v12, v11, vcc
	buffer_load_dword v11, off, s[96:99], 0 offset:116 ; 4-byte Folded Reload
	v_mov_b32_e32 v1, s30
	s_waitcnt vmcnt(1)
	v_add_co_u32_e32 v54, vcc, s1, v10
	buffer_load_dword v10, off, s[96:99], 0 offset:112 ; 4-byte Folded Reload
	s_waitcnt vmcnt(0)
	v_addc_co_u32_e32 v1, vcc, v10, v1, vcc
	v_add_co_u32_e32 v56, vcc, s1, v11
	buffer_load_dword v11, off, s[96:99], 0 offset:120 ; 4-byte Folded Reload
	v_mov_b32_e32 v10, s30
	s_add_u32 s1, s6, s53
	s_addc_u32 s6, s7, s62
	s_waitcnt vmcnt(0)
	v_addc_co_u32_e32 v23, vcc, v11, v10, vcc
	buffer_load_dword v11, off, s[96:99], 0 offset:124 ; 4-byte Folded Reload
	v_mov_b32_e32 v10, s6
	s_waitcnt vmcnt(0)
	v_add_co_u32_e32 v58, vcc, s1, v11
	buffer_load_dword v11, off, s[96:99], 0 offset:128 ; 4-byte Folded Reload
	s_waitcnt vmcnt(0)
	v_addc_co_u32_e32 v27, vcc, v11, v10, vcc
	buffer_load_dword v11, off, s[96:99], 0 offset:132 ; 4-byte Folded Reload
	s_waitcnt vmcnt(0)
	v_add_co_u32_e32 v60, vcc, s1, v11
	buffer_load_dword v11, off, s[96:99], 0 offset:136 ; 4-byte Folded Reload
	s_mov_b32 s1, s0
	s_waitcnt vmcnt(0)
	v_addc_co_u32_e32 v37, vcc, v11, v10, vcc
.LBB0_144:                              ;   Parent Loop BB0_13 Depth=1
                                        ; =>  This Inner Loop Header: Depth=2
	global_load_dword v10, v[52:53], off
	v_add_u32_e32 v11, v66, v118
	v_mov_b32_e32 v105, v46
	v_add_u32_e32 v46, 0x800, v57
	v_mov_b32_e32 v98, v62
	v_add_u32_e32 v61, 0x2400, v121
	s_add_i32 s1, s1, -1
	s_cmp_lg_u32 s1, 0
	s_waitcnt vmcnt(0)
	ds_write_b32 v11, v10 offset:9216
	global_load_dword v10, v[44:45], off
	s_waitcnt vmcnt(0)
	ds_write_b32 v11, v10 offset:10368
	v_add_co_u32_e32 v10, vcc, v58, v38
	v_addc_co_u32_e32 v11, vcc, 0, v27, vcc
	global_load_dwordx4 v[10:13], v[10:11], off
	s_waitcnt vmcnt(0)
	ds_write_b128 v67, v[10:13]
	v_add_co_u32_e32 v10, vcc, v60, v38
	v_addc_co_u32_e32 v11, vcc, 0, v37, vcc
	global_load_dwordx4 v[10:13], v[10:11], off
	s_waitcnt vmcnt(0)
	ds_write_b128 v120, v[10:13]
	s_waitcnt lgkmcnt(0)
	s_barrier
	ds_read2_b64 v[10:13], v57 offset1:4
	s_waitcnt lgkmcnt(0)
	v_mfma_f32_16x16x16f16 v[14:17], v[10:11], v[6:7], 0
	v_mfma_f32_16x16x16f16 v[10:13], v[12:13], v[8:9], v[14:17]
	s_nop 7
	s_nop 1
	ds_read2_b64 v[14:17], v57 offset0:8 offset1:12
	s_waitcnt lgkmcnt(0)
	v_mfma_f32_16x16x16f16 v[10:13], v[14:15], v[2:3], v[10:13]
	v_mfma_f32_16x16x16f16 v[10:13], v[16:17], v[4:5], v[10:13]
	ds_read2_b64 v[14:17], v46 offset0:32 offset1:36
	s_waitcnt lgkmcnt(0)
	v_mfma_f32_16x16x16f16 v[18:21], v[14:15], v[6:7], 0
	v_mfma_f32_16x16x16f16 v[14:17], v[16:17], v[8:9], v[18:21]
	s_nop 7
	s_nop 1
	ds_read2_b64 v[18:21], v46 offset0:40 offset1:44
	s_waitcnt lgkmcnt(0)
	v_mfma_f32_16x16x16f16 v[14:17], v[18:19], v[2:3], v[14:17]
	v_add_u32_e32 v46, 0x1000, v57
	v_mfma_f32_16x16x16f16 v[14:17], v[20:21], v[4:5], v[14:17]
	ds_read2_b64 v[18:21], v46 offset0:64 offset1:68
	s_waitcnt lgkmcnt(0)
	v_mfma_f32_16x16x16f16 v[62:65], v[18:19], v[6:7], 0
	v_mfma_f32_16x16x16f16 v[18:21], v[20:21], v[8:9], v[62:65]
	s_nop 7
	s_nop 1
	ds_read2_b64 v[62:65], v46 offset0:72 offset1:76
	s_waitcnt lgkmcnt(0)
	v_mfma_f32_16x16x16f16 v[18:21], v[62:63], v[2:3], v[18:21]
	v_add_u32_e32 v46, 0x1800, v57
	v_mfma_f32_16x16x16f16 v[18:21], v[64:65], v[4:5], v[18:21]
	ds_read2_b64 v[62:65], v46 offset0:96 offset1:100
	s_waitcnt lgkmcnt(0)
	v_mfma_f32_16x16x16f16 v[90:93], v[62:63], v[6:7], 0
	v_mfma_f32_16x16x16f16 v[62:65], v[64:65], v[8:9], v[90:93]
	s_nop 7
	s_nop 1
	ds_read2_b64 v[90:93], v46 offset0:104 offset1:108
	s_waitcnt lgkmcnt(0)
	v_mfma_f32_16x16x16f16 v[62:65], v[90:91], v[2:3], v[62:65]
	s_barrier
	ds_read_b32 v46, v68 offset:9216
	ds_read_b32 v59, v69 offset:9216
	ds_read2_b32 v[94:95], v61 offset1:1
	v_add_u32_e32 v61, 0x2400, v122
	ds_read2_b32 v[124:125], v61 offset1:1
	v_add_u32_e32 v61, 0x2400, v123
	v_mfma_f32_16x16x16f16 v[90:93], v[92:93], v[4:5], v[62:65]
	s_nop 6
	ds_read2_b32 v[64:65], v61 offset1:1
	s_waitcnt lgkmcnt(0)
	v_cvt_f32_f16_e32 v62, v65
	v_cvt_f32_f16_sdwa v63, v65 dst_sel:DWORD dst_unused:UNUSED_PAD src0_sel:WORD_1
	v_pk_add_f32 v[62:63], v[92:93], v[62:63]
	v_cvt_f32_f16_e32 v92, v64
	v_cvt_f32_f16_sdwa v93, v64 dst_sel:DWORD dst_unused:UNUSED_PAD src0_sel:WORD_1
	v_add_f32_e32 v61, 0x40051340, v62
	v_add_f32_e32 v106, 0x40051340, v63
	v_pk_add_f32 v[64:65], v[90:91], v[92:93]
	v_cvt_f32_f16_e32 v90, v125
	v_cvt_f32_f16_sdwa v91, v125 dst_sel:DWORD dst_unused:UNUSED_PAD src0_sel:WORD_1
	v_add_f32_e32 v92, 0x40051340, v64
	v_add_f32_e32 v93, 0x40051340, v65
	;; [unrolled: 5-line block ×5, first 2 shown]
	v_pk_add_f32 v[14:15], v[14:15], v[90:91]
	v_cvt_f32_f16_sdwa v91, v59 dst_sel:DWORD dst_unused:UNUSED_PAD src0_sel:WORD_1
	v_cvt_f32_f16_e32 v90, v59
	v_add_f32_e32 v94, 0x40051340, v14
	v_add_f32_e32 v26, 0x40051340, v15
	v_pk_add_f32 v[12:13], v[12:13], v[90:91]
	v_cvt_f32_f16_sdwa v91, v46 dst_sel:DWORD dst_unused:UNUSED_PAD src0_sel:WORD_1
	v_cvt_f32_f16_e32 v90, v46
	v_add_f32_e32 v59, 0x40051340, v12
	v_add_f32_e32 v40, 0x40051340, v13
	v_pk_add_f32 v[10:11], v[10:11], v[90:91]
	v_add_f32_e32 v46, 0x40051340, v10
	v_add_f32_e32 v90, 0x40051340, v11
	v_max3_f32 v46, v105, v46, v90
	v_max3_f32 v40, v46, v59, v40
	;; [unrolled: 1-line block ×8, first 2 shown]
	ds_bpermute_b32 v26, v109, v22
	s_waitcnt lgkmcnt(0)
	v_max_f32_e32 v26, v26, v26
	v_max_f32_e32 v22, v22, v26
	ds_bpermute_b32 v26, v110, v22
	s_waitcnt lgkmcnt(0)
	v_max_f32_e32 v26, v26, v26
	v_max_f32_e32 v46, v22, v26
	v_pk_add_f32 v[10:11], v[10:11], v[46:47] op_sel_hi:[1,0] neg_lo:[0,1] neg_hi:[0,1]
	v_mul_f32_e32 v22, 0x3fb8aa3b, v11
	v_fma_f32 v26, v11, s41, -v22
	v_rndne_f32_e32 v40, v22
	v_fmac_f32_e32 v26, 0x32a5705f, v11
	v_sub_f32_e32 v22, v22, v40
	v_add_f32_e32 v22, v22, v26
	v_exp_f32_e32 v22, v22
	v_cvt_i32_f32_e32 v26, v40
	v_cmp_ngt_f32_e32 vcc, s63, v11
	v_ldexp_f32 v22, v22, v26
	v_cndmask_b32_e32 v22, 0, v22, vcc
	v_cmp_nlt_f32_e32 vcc, s47, v11
	v_mul_f32_e32 v11, 0x3fb8aa3b, v10
	v_fma_f32 v26, v10, s41, -v11
	v_rndne_f32_e32 v40, v11
	v_fmac_f32_e32 v26, 0x32a5705f, v10
	v_sub_f32_e32 v11, v11, v40
	v_add_f32_e32 v11, v11, v26
	v_exp_f32_e32 v11, v11
	v_cvt_i32_f32_e32 v26, v40
	v_cndmask_b32_e32 v22, v99, v22, vcc
	v_cmp_ngt_f32_e32 vcc, s63, v10
	v_ldexp_f32 v11, v11, v26
	v_cndmask_b32_e32 v11, 0, v11, vcc
	v_cmp_nlt_f32_e32 vcc, s47, v10
	v_cndmask_b32_e32 v26, v99, v11, vcc
	v_pk_add_f32 v[10:11], v[12:13], v[46:47] op_sel_hi:[1,0] neg_lo:[0,1] neg_hi:[0,1]
	v_mul_f32_e32 v12, 0x3fb8aa3b, v11
	v_fma_f32 v13, v11, s41, -v12
	v_rndne_f32_e32 v40, v12
	v_fmac_f32_e32 v13, 0x32a5705f, v11
	v_sub_f32_e32 v12, v12, v40
	v_add_f32_e32 v12, v12, v13
	v_exp_f32_e32 v12, v12
	v_cvt_i32_f32_e32 v13, v40
	v_cmp_ngt_f32_e32 vcc, s63, v11
	v_ldexp_f32 v12, v12, v13
	v_cndmask_b32_e32 v12, 0, v12, vcc
	v_cmp_nlt_f32_e32 vcc, s47, v11
	v_mul_f32_e32 v11, 0x3fb8aa3b, v10
	v_fma_f32 v13, v10, s41, -v11
	v_rndne_f32_e32 v40, v11
	v_fmac_f32_e32 v13, 0x32a5705f, v10
	v_sub_f32_e32 v11, v11, v40
	v_add_f32_e32 v11, v11, v13
	v_exp_f32_e32 v11, v11
	v_cvt_i32_f32_e32 v13, v40
	v_cndmask_b32_e32 v12, v99, v12, vcc
	v_cmp_ngt_f32_e32 vcc, s63, v10
	v_ldexp_f32 v11, v11, v13
	v_cndmask_b32_e32 v11, 0, v11, vcc
	v_cmp_nlt_f32_e32 vcc, s47, v10
	v_cndmask_b32_e32 v13, v99, v11, vcc
	;; [unrolled: 27-line block ×4, first 2 shown]
	v_pk_add_f32 v[10:11], v[18:19], v[46:47] op_sel_hi:[1,0] neg_lo:[0,1] neg_hi:[0,1]
	v_mul_f32_e32 v18, 0x3fb8aa3b, v11
	v_fma_f32 v19, v11, s41, -v18
	v_rndne_f32_e32 v40, v18
	v_fmac_f32_e32 v19, 0x32a5705f, v11
	v_sub_f32_e32 v18, v18, v40
	v_add_f32_e32 v18, v18, v19
	v_exp_f32_e32 v18, v18
	v_cvt_i32_f32_e32 v19, v40
	v_cmp_ngt_f32_e32 vcc, s63, v11
	v_ldexp_f32 v18, v18, v19
	v_cndmask_b32_e32 v18, 0, v18, vcc
	v_cmp_nlt_f32_e32 vcc, s47, v11
	v_mul_f32_e32 v11, 0x3fb8aa3b, v10
	v_cndmask_b32_e32 v40, v99, v18, vcc
	v_fma_f32 v18, v10, s41, -v11
	v_rndne_f32_e32 v19, v11
	v_fmac_f32_e32 v18, 0x32a5705f, v10
	v_sub_f32_e32 v11, v11, v19
	v_add_f32_e32 v11, v11, v18
	v_exp_f32_e32 v11, v11
	v_cvt_i32_f32_e32 v18, v19
	v_cmp_ngt_f32_e32 vcc, s63, v10
	v_ldexp_f32 v11, v11, v18
	v_cndmask_b32_e32 v11, 0, v11, vcc
	v_cmp_nlt_f32_e32 vcc, s47, v10
	v_cndmask_b32_e32 v47, v99, v11, vcc
	v_pk_add_f32 v[10:11], v[20:21], v[46:47] op_sel_hi:[1,0] neg_lo:[0,1] neg_hi:[0,1]
	v_mul_f32_e32 v18, 0x3fb8aa3b, v11
	v_fma_f32 v19, v11, s41, -v18
	v_rndne_f32_e32 v20, v18
	v_fmac_f32_e32 v19, 0x32a5705f, v11
	v_sub_f32_e32 v18, v18, v20
	v_add_f32_e32 v18, v18, v19
	v_exp_f32_e32 v18, v18
	v_cvt_i32_f32_e32 v19, v20
	v_cmp_ngt_f32_e32 vcc, s63, v11
	v_ldexp_f32 v18, v18, v19
	v_cndmask_b32_e32 v18, 0, v18, vcc
	v_cmp_nlt_f32_e32 vcc, s47, v11
	v_mul_f32_e32 v11, 0x3fb8aa3b, v10
	v_cndmask_b32_e32 v59, v99, v18, vcc
	v_fma_f32 v18, v10, s41, -v11
	v_rndne_f32_e32 v19, v11
	v_fmac_f32_e32 v18, 0x32a5705f, v10
	v_sub_f32_e32 v11, v11, v19
	v_add_f32_e32 v11, v11, v18
	v_exp_f32_e32 v11, v11
	v_cvt_i32_f32_e32 v18, v19
	v_cmp_ngt_f32_e32 vcc, s63, v10
	v_ldexp_f32 v11, v11, v18
	v_cndmask_b32_e32 v11, 0, v11, vcc
	v_cmp_nlt_f32_e32 vcc, s47, v10
	v_cndmask_b32_e32 v61, v99, v11, vcc
	;; [unrolled: 27-line block ×3, first 2 shown]
	v_pk_add_f32 v[10:11], v[62:63], v[46:47] op_sel_hi:[1,0] neg_lo:[0,1] neg_hi:[0,1]
	v_mul_f32_e32 v18, 0x3fb8aa3b, v11
	v_fma_f32 v19, v11, s41, -v18
	v_rndne_f32_e32 v20, v18
	v_fmac_f32_e32 v19, 0x32a5705f, v11
	v_sub_f32_e32 v18, v18, v20
	v_add_f32_e32 v18, v18, v19
	v_exp_f32_e32 v18, v18
	v_cvt_i32_f32_e32 v19, v20
	v_cmp_ngt_f32_e32 vcc, s63, v11
	v_ldexp_f32 v18, v18, v19
	v_cndmask_b32_e32 v18, 0, v18, vcc
	v_cmp_nlt_f32_e32 vcc, s47, v11
	v_cndmask_b32_e32 v11, v99, v18, vcc
	v_mul_f32_e32 v18, 0x3fb8aa3b, v10
	v_fma_f32 v19, v10, s41, -v18
	v_rndne_f32_e32 v20, v18
	v_fmac_f32_e32 v19, 0x32a5705f, v10
	v_sub_f32_e32 v18, v18, v20
	v_add_f32_e32 v18, v18, v19
	v_exp_f32_e32 v18, v18
	v_cvt_i32_f32_e32 v19, v20
	v_cmp_ngt_f32_e32 vcc, s63, v10
	v_ldexp_f32 v18, v18, v19
	v_cndmask_b32_e32 v18, 0, v18, vcc
	v_cmp_nlt_f32_e32 vcc, s47, v10
	v_cndmask_b32_e32 v10, v99, v18, vcc
	v_add_f32_e32 v18, v26, v22
	v_add_f32_e32 v18, v13, v18
	;; [unrolled: 1-line block ×15, first 2 shown]
	v_sub_f32_e32 v18, v105, v46
	v_mul_f32_e32 v19, 0x3fb8aa3b, v18
	v_fma_f32 v20, v18, s41, -v19
	v_rndne_f32_e32 v21, v19
	v_fmac_f32_e32 v20, 0x32a5705f, v18
	v_sub_f32_e32 v19, v19, v21
	v_add_f32_e32 v19, v19, v20
	v_exp_f32_e32 v19, v19
	v_cvt_i32_f32_e32 v20, v21
	v_cmp_ngt_f32_e32 vcc, s63, v18
	v_cvt_f16_f32_e32 v12, v12
	v_cvt_f16_f32_e32 v13, v13
	v_ldexp_f32 v19, v19, v20
	v_cndmask_b32_e32 v19, 0, v19, vcc
	v_cmp_nlt_f32_e32 vcc, s47, v18
	v_cndmask_b32_e32 v19, v99, v19, vcc
	v_cmp_le_f32_e32 vcc, s89, v18
	v_cndmask_b32_e32 v18, 0, v19, vcc
	v_fmac_f32_e32 v62, v98, v18
	v_cvt_f16_f32_e32 v18, v18
	v_cvt_f16_f32_e32 v19, v26
	v_pack_b32_f16 v21, v13, v12
	v_cvt_f16_f32_e32 v12, v14
	v_pk_mul_f16 v98, v18, v111 op_sel_hi:[0,1]
	v_pk_mul_f16 v111, v18, v112 op_sel_hi:[0,1]
	;; [unrolled: 1-line block ×8, first 2 shown]
	v_cvt_f16_f32_e32 v18, v22
	v_cvt_f16_f32_e32 v13, v15
	;; [unrolled: 1-line block ×4, first 2 shown]
	v_pack_b32_f16 v20, v19, v18
	v_pack_b32_f16 v18, v13, v12
	v_cvt_f16_f32_e32 v12, v16
	v_cvt_f16_f32_e32 v13, v17
	v_pack_b32_f16 v15, v10, v11
	v_add_co_u32_e32 v10, vcc, v54, v38
	v_pack_b32_f16 v19, v13, v12
	v_cvt_f16_f32_e32 v12, v40
	v_cvt_f16_f32_e32 v13, v47
	v_addc_co_u32_e32 v11, vcc, 0, v1, vcc
	v_pack_b32_f16 v16, v13, v12
	v_cvt_f16_f32_e32 v12, v59
	v_cvt_f16_f32_e32 v13, v61
	v_pack_b32_f16 v17, v13, v12
	v_cvt_f16_f32_e32 v12, v90
	v_cvt_f16_f32_e32 v13, v91
	v_add_co_u32_e32 v90, vcc, v56, v38
	v_addc_co_u32_e32 v91, vcc, 0, v23, vcc
	v_pack_b32_f16 v14, v13, v12
	global_load_dwordx4 v[10:13], v[10:11], off
	v_add_co_u32_e32 v52, vcc, s91, v52
	v_addc_co_u32_e32 v53, vcc, 0, v53, vcc
	v_add_co_u32_e32 v44, vcc, s91, v44
	v_addc_co_u32_e32 v45, vcc, 0, v45, vcc
	v_add_co_u32_e32 v54, vcc, s64, v54
	s_waitcnt vmcnt(0)
	ds_write_b128 v67, v[10:13]
	global_load_dwordx4 v[10:13], v[90:91], off
	s_waitcnt vmcnt(0)
	ds_write_b128 v120, v[10:13]
	s_waitcnt lgkmcnt(0)
	s_barrier
	ds_read_u16 v22, v72 offset:288
	ds_read_u16 v26, v73
	ds_read_u16 v36, v73 offset:32
	v_cvt_f32_f16_e32 v10, v98
	v_cvt_f32_f16_sdwa v11, v98 dst_sel:DWORD dst_unused:UNUSED_PAD src0_sel:WORD_1
	v_cvt_f32_f16_e32 v12, v111
	s_waitcnt lgkmcnt(1)
	v_perm_b32 v91, v26, v22, s90
	ds_read_u16 v22, v70
	ds_read_u16 v26, v70 offset:32
	ds_read_u16 v40, v72 offset:144
	;; [unrolled: 1-line block ×3, first 2 shown]
	v_cvt_f32_f16_sdwa v13, v111 dst_sel:DWORD dst_unused:UNUSED_PAD src0_sel:WORD_1
	s_waitcnt lgkmcnt(1)
	v_perm_b32 v90, v40, v22, s90
	s_nop 1
	v_mfma_f32_16x16x16f16 v[10:13], v[90:91], v[20:21], v[10:13]
	ds_read_u16 v22, v70 offset:2304
	ds_read_u16 v40, v72 offset:2448
	;; [unrolled: 1-line block ×4, first 2 shown]
	s_waitcnt lgkmcnt(2)
	v_perm_b32 v90, v40, v22, s90
	s_waitcnt lgkmcnt(0)
	v_perm_b32 v91, v61, v59, s90
	ds_read_u16 v22, v70 offset:4608
	ds_read_u16 v40, v72 offset:4752
	;; [unrolled: 1-line block ×4, first 2 shown]
	v_cvt_f16_f32_e32 v10, v10
	v_cvt_f16_f32_e32 v11, v11
	;; [unrolled: 1-line block ×4, first 2 shown]
	v_cvt_f32_f16_e32 v10, v10
	v_cvt_f32_f16_e32 v11, v11
	;; [unrolled: 1-line block ×4, first 2 shown]
	s_nop 1
	v_mfma_f32_16x16x16f16 v[10:13], v[90:91], v[18:19], v[10:13]
	s_waitcnt lgkmcnt(0)
	v_perm_b32 v91, v61, v59, s90
	v_perm_b32 v90, v40, v22, s90
	ds_read_u16 v22, v70 offset:6912
	ds_read_u16 v40, v72 offset:7056
	;; [unrolled: 1-line block ×4, first 2 shown]
	s_nop 3
	v_cvt_f16_f32_e32 v10, v10
	v_cvt_f16_f32_e32 v11, v11
	;; [unrolled: 1-line block ×4, first 2 shown]
	v_cvt_f32_f16_e32 v10, v10
	v_cvt_f32_f16_e32 v11, v11
	;; [unrolled: 1-line block ×4, first 2 shown]
	s_nop 1
	v_mfma_f32_16x16x16f16 v[10:13], v[90:91], v[16:17], v[10:13]
	s_waitcnt lgkmcnt(0)
	v_perm_b32 v91, v61, v59, s90
	v_perm_b32 v90, v40, v22, s90
	ds_read_u16 v22, v77 offset:288
	s_nop 6
	v_cvt_f16_f32_e32 v10, v10
	v_cvt_f16_f32_e32 v11, v11
	;; [unrolled: 1-line block ×4, first 2 shown]
	v_cvt_f32_f16_e32 v10, v10
	v_cvt_f32_f16_e32 v11, v11
	;; [unrolled: 1-line block ×4, first 2 shown]
	s_nop 1
	v_mfma_f32_16x16x16f16 v[10:13], v[90:91], v[14:15], v[10:13]
	s_waitcnt lgkmcnt(0)
	v_perm_b32 v91, v36, v22, s90
	v_perm_b32 v90, v47, v26, s90
	ds_read_u16 v22, v70 offset:2336
	ds_read_u16 v26, v72 offset:2480
	;; [unrolled: 1-line block ×4, first 2 shown]
	s_nop 3
	v_cvt_f16_f32_e32 v10, v10
	v_cvt_f16_f32_e32 v11, v11
	;; [unrolled: 1-line block ×4, first 2 shown]
	v_pack_b32_f16 v111, v10, v11
	v_cvt_f32_f16_e32 v10, v114
	v_pack_b32_f16 v112, v12, v13
	v_cvt_f32_f16_sdwa v11, v114 dst_sel:DWORD dst_unused:UNUSED_PAD src0_sel:WORD_1
	v_cvt_f32_f16_e32 v12, v65
	v_cvt_f32_f16_sdwa v13, v65 dst_sel:DWORD dst_unused:UNUSED_PAD src0_sel:WORD_1
	s_nop 1
	v_mfma_f32_16x16x16f16 v[10:13], v[90:91], v[20:21], v[10:13]
	s_waitcnt lgkmcnt(0)
	v_perm_b32 v91, v40, v36, s90
	v_perm_b32 v90, v26, v22, s90
	ds_read_u16 v22, v70 offset:4640
	ds_read_u16 v26, v72 offset:4784
	ds_read_u16 v36, v79 offset:288
	ds_read_u16 v40, v73 offset:4640
	s_nop 3
	v_cvt_f16_f32_e32 v10, v10
	v_cvt_f16_f32_e32 v11, v11
	v_cvt_f16_f32_e32 v12, v12
	v_cvt_f16_f32_e32 v13, v13
	v_cvt_f32_f16_e32 v10, v10
	v_cvt_f32_f16_e32 v11, v11
	v_cvt_f32_f16_e32 v12, v12
	v_cvt_f32_f16_e32 v13, v13
	s_nop 1
	v_mfma_f32_16x16x16f16 v[10:13], v[90:91], v[18:19], v[10:13]
	s_waitcnt lgkmcnt(0)
	v_perm_b32 v91, v40, v36, s90
	v_perm_b32 v90, v26, v22, s90
	ds_read_u16 v22, v70 offset:6944
	ds_read_u16 v26, v72 offset:7088
	ds_read_u16 v36, v80 offset:288
	ds_read_u16 v40, v73 offset:6944
	s_nop 3
	v_cvt_f16_f32_e32 v10, v10
	v_cvt_f16_f32_e32 v11, v11
	v_cvt_f16_f32_e32 v12, v12
	v_cvt_f16_f32_e32 v13, v13
	v_cvt_f32_f16_e32 v10, v10
	v_cvt_f32_f16_e32 v11, v11
	v_cvt_f32_f16_e32 v12, v12
	v_cvt_f32_f16_e32 v13, v13
	;; [unrolled: 18-line block ×3, first 2 shown]
	s_waitcnt lgkmcnt(0)
	v_perm_b32 v65, v40, v36, s90
	v_mfma_f32_16x16x16f16 v[10:13], v[90:91], v[14:15], v[10:13]
	s_nop 7
	s_nop 2
	v_cvt_f16_f32_e32 v10, v10
	v_cvt_f16_f32_e32 v11, v11
	;; [unrolled: 1-line block ×4, first 2 shown]
	v_pack_b32_f16 v114, v10, v11
	v_cvt_f32_f16_e32 v10, v64
	v_cvt_f32_f16_sdwa v11, v64 dst_sel:DWORD dst_unused:UNUSED_PAD src0_sel:WORD_1
	v_perm_b32 v64, v26, v22, s90
	v_pack_b32_f16 v113, v12, v13
	v_cvt_f32_f16_e32 v12, v24
	v_cvt_f32_f16_sdwa v13, v24 dst_sel:DWORD dst_unused:UNUSED_PAD src0_sel:WORD_1
	ds_read_u16 v22, v70 offset:2368
	ds_read_u16 v24, v72 offset:2512
	;; [unrolled: 1-line block ×4, first 2 shown]
	v_mfma_f32_16x16x16f16 v[10:13], v[64:65], v[20:21], v[10:13]
	s_waitcnt lgkmcnt(2)
	v_perm_b32 v64, v24, v22, s90
	s_waitcnt lgkmcnt(0)
	v_perm_b32 v65, v36, v26, s90
	ds_read_u16 v22, v70 offset:4672
	ds_read_u16 v24, v72 offset:4816
	ds_read_u16 v26, v83 offset:288
	ds_read_u16 v36, v73 offset:4672
	s_nop 2
	v_cvt_f16_f32_e32 v10, v10
	v_cvt_f16_f32_e32 v11, v11
	v_cvt_f16_f32_e32 v12, v12
	v_cvt_f16_f32_e32 v13, v13
	v_cvt_f32_f16_e32 v10, v10
	v_cvt_f32_f16_e32 v11, v11
	v_cvt_f32_f16_e32 v12, v12
	v_cvt_f32_f16_e32 v13, v13
	s_nop 1
	v_mfma_f32_16x16x16f16 v[10:13], v[64:65], v[18:19], v[10:13]
	s_waitcnt lgkmcnt(0)
	v_perm_b32 v65, v36, v26, s90
	v_perm_b32 v64, v24, v22, s90
	ds_read_u16 v22, v70 offset:6976
	ds_read_u16 v24, v72 offset:7120
	ds_read_u16 v26, v84 offset:288
	ds_read_u16 v36, v73 offset:6976
	s_nop 3
	v_cvt_f16_f32_e32 v10, v10
	v_cvt_f16_f32_e32 v11, v11
	v_cvt_f16_f32_e32 v12, v12
	v_cvt_f16_f32_e32 v13, v13
	v_cvt_f32_f16_e32 v10, v10
	v_cvt_f32_f16_e32 v11, v11
	v_cvt_f32_f16_e32 v12, v12
	v_cvt_f32_f16_e32 v13, v13
	s_nop 1
	v_mfma_f32_16x16x16f16 v[10:13], v[64:65], v[16:17], v[10:13]
	s_waitcnt lgkmcnt(0)
	v_perm_b32 v65, v36, v26, s90
	;; [unrolled: 18-line block ×3, first 2 shown]
	v_perm_b32 v64, v26, v22, s90
	s_nop 7
	v_cvt_f16_f32_e32 v10, v10
	v_cvt_f16_f32_e32 v11, v11
	;; [unrolled: 1-line block ×4, first 2 shown]
	v_pack_b32_f16 v24, v10, v11
	v_cvt_f32_f16_e32 v10, v63
	v_pack_b32_f16 v36, v12, v13
	v_cvt_f32_f16_sdwa v11, v63 dst_sel:DWORD dst_unused:UNUSED_PAD src0_sel:WORD_1
	v_cvt_f32_f16_e32 v12, v25
	v_cvt_f32_f16_sdwa v13, v25 dst_sel:DWORD dst_unused:UNUSED_PAD src0_sel:WORD_1
	s_nop 1
	v_mfma_f32_16x16x16f16 v[10:13], v[64:65], v[20:21], v[10:13]
	ds_read_u16 v20, v70 offset:2400
	ds_read_u16 v22, v72 offset:2544
	;; [unrolled: 1-line block ×4, first 2 shown]
	s_waitcnt lgkmcnt(2)
	v_perm_b32 v20, v22, v20, s90
	s_waitcnt lgkmcnt(0)
	v_perm_b32 v21, v25, v21, s90
	s_nop 2
	v_cvt_f16_f32_e32 v10, v10
	v_cvt_f16_f32_e32 v11, v11
	v_cvt_f16_f32_e32 v12, v12
	v_cvt_f16_f32_e32 v13, v13
	v_cvt_f32_f16_e32 v10, v10
	v_cvt_f32_f16_e32 v11, v11
	;; [unrolled: 1-line block ×4, first 2 shown]
	s_nop 1
	v_mfma_f32_16x16x16f16 v[10:13], v[20:21], v[18:19], v[10:13]
	ds_read_u16 v18, v70 offset:4704
	ds_read_u16 v20, v72 offset:4848
	;; [unrolled: 1-line block ×4, first 2 shown]
	s_waitcnt lgkmcnt(2)
	v_perm_b32 v18, v20, v18, s90
	s_waitcnt lgkmcnt(0)
	v_perm_b32 v19, v21, v19, s90
	s_nop 2
	v_cvt_f16_f32_e32 v10, v10
	v_cvt_f16_f32_e32 v11, v11
	;; [unrolled: 1-line block ×4, first 2 shown]
	v_cvt_f32_f16_e32 v10, v10
	v_cvt_f32_f16_e32 v11, v11
	;; [unrolled: 1-line block ×4, first 2 shown]
	s_nop 1
	v_mfma_f32_16x16x16f16 v[10:13], v[18:19], v[16:17], v[10:13]
	ds_read_u16 v16, v70 offset:7008
	ds_read_u16 v18, v72 offset:7152
	;; [unrolled: 1-line block ×4, first 2 shown]
	s_waitcnt lgkmcnt(0)
	s_barrier
	v_perm_b32 v16, v18, v16, s90
	v_perm_b32 v17, v19, v17, s90
	s_nop 2
	v_cvt_f16_f32_e32 v10, v10
	v_cvt_f16_f32_e32 v11, v11
	;; [unrolled: 1-line block ×4, first 2 shown]
	v_cvt_f32_f16_e32 v10, v10
	v_cvt_f32_f16_e32 v11, v11
	;; [unrolled: 1-line block ×4, first 2 shown]
	s_nop 1
	v_mfma_f32_16x16x16f16 v[10:13], v[16:17], v[14:15], v[10:13]
	s_nop 7
	s_nop 2
	v_cvt_f16_f32_e32 v10, v10
	v_cvt_f16_f32_e32 v11, v11
	v_cvt_f16_f32_e32 v12, v12
	v_cvt_f16_f32_e32 v13, v13
	v_pack_b32_f16 v126, v10, v11
	v_mov_b32_e32 v10, s65
	v_addc_co_u32_e32 v1, vcc, v1, v10, vcc
	v_add_co_u32_e32 v56, vcc, s64, v56
	v_addc_co_u32_e32 v23, vcc, v23, v10, vcc
	v_add_co_u32_e32 v58, vcc, s66, v58
	v_mov_b32_e32 v10, s67
	v_addc_co_u32_e32 v27, vcc, v27, v10, vcc
	v_add_co_u32_e32 v60, vcc, s66, v60
	v_pack_b32_f16 v25, v12, v13
	v_addc_co_u32_e32 v37, vcc, v37, v10, vcc
	s_cbranch_scc1 .LBB0_144
; %bb.145:                              ;   in Loop: Header=BB0_13 Depth=1
	buffer_load_dword v94, off, s[96:99], 0 offset:44 ; 4-byte Folded Reload
	buffer_load_dword v95, off, s[96:99], 0 offset:48 ; 4-byte Folded Reload
	;; [unrolled: 1-line block ×10, first 2 shown]
	v_mov_b32_e32 v119, v49
	buffer_load_dword v49, off, s[96:99], 0 offset:84 ; 4-byte Folded Reload
	s_lshl_b32 s56, s0, 6
	v_mad_i64_i32 v[12:13], s[6:7], v48, s40, 0
	v_mad_i64_i32 v[10:11], s[6:7], v50, s40, 0
	s_mov_b64 s[84:85], s[56:57]
	s_waitcnt vmcnt(2)
	v_mov_b32_e32 v54, v14
.LBB0_146:                              ;   in Loop: Header=BB0_13 Depth=1
	s_lshl_b64 s[0:1], s[84:85], 1
	v_add_co_u32_e32 v1, vcc, s0, v102
	v_mov_b32_e32 v14, s1
	v_addc_co_u32_e32 v14, vcc, v43, v14, vcc
	s_waitcnt vmcnt(1)
	v_lshlrev_b32_e32 v15, 1, v94
	v_add_co_u32_e32 v1, vcc, v1, v15
	v_addc_co_u32_e32 v14, vcc, 0, v14, vcc
	v_lshlrev_b64 v[12:13], 1, v[12:13]
	v_add_co_u32_e32 v12, vcc, v1, v12
	v_addc_co_u32_e32 v13, vcc, v14, v13, vcc
	v_lshlrev_b64 v[10:11], 1, v[10:11]
	v_add_co_u32_e32 v10, vcc, v1, v10
	v_addc_co_u32_e32 v11, vcc, v14, v11, vcc
	global_load_dword v12, v[12:13], off
	s_mul_i32 s0, s84, s37
	global_load_dword v1, v[10:11], off
	s_mul_hi_u32 s1, s84, s36
	s_add_i32 s0, s1, s0
	s_mul_i32 s1, s85, s36
	s_add_i32 s1, s0, s1
	s_mul_i32 s0, s84, s36
	s_lshl_b64 s[0:1], s[0:1], 2
	s_add_u32 s0, s61, s0
	v_add_u32_e32 v13, v66, v118
	s_addc_u32 s1, s35, s1
	v_mov_b32_e32 v10, s1
	v_readlane_b32 s42, v127, 22
	v_readlane_b32 s43, v127, 23
	s_waitcnt vmcnt(1)
	ds_write_b32 v13, v12 offset:9216
	s_waitcnt vmcnt(0)
	ds_write_b32 v13, v1 offset:10368
	v_add_co_u32_e32 v1, vcc, s0, v32
	v_addc_co_u32_e32 v11, vcc, v10, v33, vcc
	v_add_co_u32_e32 v10, vcc, v1, v104
	v_addc_co_u32_e32 v11, vcc, 0, v11, vcc
	global_load_dwordx4 v[10:13], v[10:11], off
	v_add_co_u32_e32 v1, vcc, s0, v34
	s_mul_i32 s0, s84, s27
	s_waitcnt vmcnt(0)
	ds_write_b128 v67, v[10:13]
	v_mov_b32_e32 v10, s1
	v_addc_co_u32_e32 v11, vcc, v10, v35, vcc
	v_add_co_u32_e32 v10, vcc, v1, v104
	v_addc_co_u32_e32 v11, vcc, 0, v11, vcc
	global_load_dwordx4 v[10:13], v[10:11], off
	v_add_u32_e32 v1, 0x800, v57
	v_cmp_lt_i32_e32 vcc, v107, v0
	s_mul_hi_u32 s1, s84, s26
	s_add_i32 s0, s1, s0
	s_mul_i32 s1, s85, s26
	s_add_i32 s1, s0, s1
	s_mul_i32 s0, s84, s26
	s_lshl_b64 s[0:1], s[0:1], 2
	s_add_u32 s0, s59, s0
	s_addc_u32 s1, s60, s1
	s_cmp_lg_u64 s[68:69], 0
	s_waitcnt vmcnt(0)
	ds_write_b128 v120, v[10:13]
	s_waitcnt lgkmcnt(0)
	s_barrier
	ds_read2_b64 v[10:13], v57 offset1:4
	s_waitcnt lgkmcnt(0)
	v_mfma_f32_16x16x16f16 v[14:17], v[10:11], v[6:7], 0
	v_mfma_f32_16x16x16f16 v[10:13], v[12:13], v[8:9], v[14:17]
	s_nop 7
	s_nop 1
	ds_read2_b64 v[14:17], v57 offset0:8 offset1:12
	s_waitcnt lgkmcnt(0)
	v_mfma_f32_16x16x16f16 v[10:13], v[14:15], v[2:3], v[10:13]
	v_mfma_f32_16x16x16f16 v[10:13], v[16:17], v[4:5], v[10:13]
	ds_read2_b64 v[14:17], v1 offset0:32 offset1:36
	s_waitcnt lgkmcnt(0)
	v_mfma_f32_16x16x16f16 v[18:21], v[14:15], v[6:7], 0
	v_mfma_f32_16x16x16f16 v[14:17], v[16:17], v[8:9], v[18:21]
	s_nop 7
	s_nop 1
	ds_read2_b64 v[18:21], v1 offset0:40 offset1:44
	s_waitcnt lgkmcnt(0)
	v_mfma_f32_16x16x16f16 v[14:17], v[18:19], v[2:3], v[14:17]
	v_add_u32_e32 v1, 0x1000, v57
	v_mfma_f32_16x16x16f16 v[14:17], v[20:21], v[4:5], v[14:17]
	ds_read2_b64 v[18:21], v1 offset0:64 offset1:68
	s_waitcnt lgkmcnt(0)
	v_mfma_f32_16x16x16f16 v[90:93], v[18:19], v[6:7], 0
	v_mfma_f32_16x16x16f16 v[18:21], v[20:21], v[8:9], v[90:93]
	s_nop 7
	s_nop 1
	ds_read2_b64 v[90:93], v1 offset0:72 offset1:76
	s_waitcnt lgkmcnt(0)
	v_mfma_f32_16x16x16f16 v[18:21], v[90:91], v[2:3], v[18:21]
	v_add_u32_e32 v1, 0x1800, v57
	;; [unrolled: 11-line block ×3, first 2 shown]
	s_barrier
	ds_read_b32 v23, v68 offset:9216
	ds_read_b32 v22, v69 offset:9216
	v_mfma_f32_16x16x16f16 v[58:61], v[60:61], v[4:5], v[6:9]
	s_nop 6
	ds_read2_b32 v[6:7], v1 offset1:1
	v_add_u32_e32 v1, 0x2400, v122
	ds_read2_b32 v[44:45], v1 offset1:1
	v_add_u32_e32 v1, 0x2400, v123
	ds_read2_b32 v[4:5], v1 offset1:1
	v_cndmask_b32_e32 v1, v100, v107, vcc
	v_lshlrev_b32_e32 v1, 2, v1
	v_cmp_lt_i32_e32 vcc, v108, v0
	v_cndmask_b32_e32 v0, v100, v108, vcc
	s_waitcnt lgkmcnt(0)
	v_cvt_f32_f16_e32 v8, v4
	v_cvt_f32_f16_sdwa v9, v4 dst_sel:DWORD dst_unused:UNUSED_PAD src0_sel:WORD_1
	v_cvt_f32_f16_e32 v2, v5
	v_cvt_f32_f16_sdwa v3, v5 dst_sel:DWORD dst_unused:UNUSED_PAD src0_sel:WORD_1
	v_lshlrev_b32_e32 v0, 2, v0
	v_pk_add_f32 v[4:5], v[58:59], v[8:9]
	v_cvt_f32_f16_e32 v8, v45
	v_cvt_f32_f16_sdwa v9, v45 dst_sel:DWORD dst_unused:UNUSED_PAD src0_sel:WORD_1
	v_pk_add_f32 v[2:3], v[60:61], v[2:3]
	v_add_f32_e32 v37, 0x40051340, v4
	v_add_f32_e32 v40, 0x40051340, v5
	v_pk_add_f32 v[8:9], v[20:21], v[8:9]
	v_cvt_f32_f16_e32 v20, v44
	v_cvt_f32_f16_sdwa v21, v44 dst_sel:DWORD dst_unused:UNUSED_PAD src0_sel:WORD_1
	v_add_f32_e32 v43, 0x40051340, v8
	v_add_f32_e32 v45, 0x40051340, v9
	;; [unrolled: 1-line block ×3, first 2 shown]
	v_pk_add_f32 v[18:19], v[18:19], v[20:21]
	v_cvt_f32_f16_e32 v20, v7
	v_cvt_f32_f16_sdwa v21, v7 dst_sel:DWORD dst_unused:UNUSED_PAD src0_sel:WORD_1
	v_cvt_f32_f16_sdwa v7, v22 dst_sel:DWORD dst_unused:UNUSED_PAD src0_sel:WORD_1
	v_add_f32_e32 v44, 0x40051340, v18
	v_add_f32_e32 v47, 0x40051340, v19
	v_pk_add_f32 v[16:17], v[16:17], v[20:21]
	v_cvt_f32_f16_e32 v20, v6
	v_cvt_f32_f16_sdwa v21, v6 dst_sel:DWORD dst_unused:UNUSED_PAD src0_sel:WORD_1
	v_cvt_f32_f16_e32 v6, v22
	v_add_f32_e32 v48, 0x40051340, v16
	v_add_f32_e32 v50, 0x40051340, v17
	v_pk_add_f32 v[14:15], v[14:15], v[20:21]
	v_pk_add_f32 v[12:13], v[12:13], v[6:7]
	v_cvt_f32_f16_sdwa v7, v23 dst_sel:DWORD dst_unused:UNUSED_PAD src0_sel:WORD_1
	v_cvt_f32_f16_e32 v6, v23
	v_add_f32_e32 v22, 0x40051340, v12
	v_add_f32_e32 v52, 0x40051340, v13
	;; [unrolled: 1-line block ×3, first 2 shown]
	v_pk_add_f32 v[10:11], v[10:11], v[6:7]
	v_add_f32_e32 v6, 0x40051340, v10
	v_add_f32_e32 v7, 0x40051340, v11
	v_max3_f32 v6, v46, v6, v7
	v_add_f32_e32 v21, 0x40051340, v15
	v_max3_f32 v6, v6, v22, v52
	v_max3_f32 v6, v6, v20, v21
	;; [unrolled: 1-line block ×5, first 2 shown]
	v_add_f32_e32 v27, 0x40051340, v3
	v_max3_f32 v6, v6, v37, v40
	v_max3_f32 v6, v6, v26, v27
	ds_bpermute_b32 v7, v1, v6
	s_waitcnt lgkmcnt(0)
	v_max_f32_e32 v7, v7, v7
	v_max_f32_e32 v6, v6, v7
	ds_bpermute_b32 v7, v0, v6
	s_waitcnt lgkmcnt(0)
	v_max_f32_e32 v7, v7, v7
	v_max_f32_e32 v6, v6, v7
	v_pk_add_f32 v[20:21], v[10:11], v[6:7] op_sel_hi:[1,0] neg_lo:[0,1] neg_hi:[0,1]
	v_mul_f32_e32 v7, 0x3fb8aa3b, v21
	v_fma_f32 v10, v21, s41, -v7
	v_rndne_f32_e32 v11, v7
	v_fmac_f32_e32 v10, 0x32a5705f, v21
	v_sub_f32_e32 v7, v7, v11
	v_add_f32_e32 v7, v7, v10
	v_exp_f32_e32 v7, v7
	v_cvt_i32_f32_e32 v10, v11
	v_cmp_ngt_f32_e32 vcc, s63, v21
	v_ldexp_f32 v7, v7, v10
	v_cndmask_b32_e32 v7, 0, v7, vcc
	v_cmp_nlt_f32_e32 vcc, s47, v21
	v_cndmask_b32_e32 v10, v99, v7, vcc
	v_mul_f32_e32 v7, 0x3fb8aa3b, v20
	v_fma_f32 v11, v20, s41, -v7
	v_rndne_f32_e32 v21, v7
	v_fmac_f32_e32 v11, 0x32a5705f, v20
	v_sub_f32_e32 v7, v7, v21
	v_add_f32_e32 v7, v7, v11
	v_exp_f32_e32 v7, v7
	v_cvt_i32_f32_e32 v11, v21
	v_cmp_ngt_f32_e32 vcc, s63, v20
	v_ldexp_f32 v7, v7, v11
	v_cndmask_b32_e32 v7, 0, v7, vcc
	v_cmp_nlt_f32_e32 vcc, s47, v20
	v_pk_add_f32 v[20:21], v[12:13], v[6:7] op_sel_hi:[1,0] neg_lo:[0,1] neg_hi:[0,1]
	v_cndmask_b32_e32 v11, v99, v7, vcc
	v_mul_f32_e32 v7, 0x3fb8aa3b, v21
	v_fma_f32 v12, v21, s41, -v7
	v_rndne_f32_e32 v13, v7
	v_fmac_f32_e32 v12, 0x32a5705f, v21
	v_sub_f32_e32 v7, v7, v13
	v_add_f32_e32 v7, v7, v12
	v_exp_f32_e32 v7, v7
	v_cvt_i32_f32_e32 v12, v13
	v_cmp_ngt_f32_e32 vcc, s63, v21
	v_ldexp_f32 v7, v7, v12
	v_cndmask_b32_e32 v7, 0, v7, vcc
	v_cmp_nlt_f32_e32 vcc, s47, v21
	v_cndmask_b32_e32 v12, v99, v7, vcc
	v_mul_f32_e32 v7, 0x3fb8aa3b, v20
	v_fma_f32 v13, v20, s41, -v7
	v_rndne_f32_e32 v21, v7
	v_fmac_f32_e32 v13, 0x32a5705f, v20
	v_sub_f32_e32 v7, v7, v21
	v_add_f32_e32 v7, v7, v13
	v_exp_f32_e32 v7, v7
	v_cvt_i32_f32_e32 v13, v21
	v_cmp_ngt_f32_e32 vcc, s63, v20
	v_ldexp_f32 v7, v7, v13
	v_cndmask_b32_e32 v7, 0, v7, vcc
	v_cmp_nlt_f32_e32 vcc, s47, v20
	v_pk_add_f32 v[14:15], v[14:15], v[6:7] op_sel_hi:[1,0] neg_lo:[0,1] neg_hi:[0,1]
	v_cndmask_b32_e32 v13, v99, v7, vcc
	;; [unrolled: 27-line block ×7, first 2 shown]
	v_mul_f32_e32 v7, 0x3fb8aa3b, v3
	v_fma_f32 v14, v3, s41, -v7
	v_rndne_f32_e32 v15, v7
	v_fmac_f32_e32 v14, 0x32a5705f, v3
	v_sub_f32_e32 v7, v7, v15
	v_add_f32_e32 v7, v7, v14
	v_exp_f32_e32 v7, v7
	v_cvt_i32_f32_e32 v14, v15
	v_cmp_ngt_f32_e32 vcc, s63, v3
	v_ldexp_f32 v7, v7, v14
	v_cndmask_b32_e32 v7, 0, v7, vcc
	v_cmp_nlt_f32_e32 vcc, s47, v3
	v_cndmask_b32_e32 v3, v99, v7, vcc
	v_mul_f32_e32 v7, 0x3fb8aa3b, v2
	v_fma_f32 v14, v2, s41, -v7
	v_rndne_f32_e32 v15, v7
	v_fmac_f32_e32 v14, 0x32a5705f, v2
	v_sub_f32_e32 v7, v7, v15
	v_add_f32_e32 v7, v7, v14
	v_exp_f32_e32 v7, v7
	v_cvt_i32_f32_e32 v14, v15
	v_cmp_ngt_f32_e32 vcc, s63, v2
	v_ldexp_f32 v7, v7, v14
	v_cndmask_b32_e32 v7, 0, v7, vcc
	v_cmp_nlt_f32_e32 vcc, s47, v2
	v_cndmask_b32_e32 v2, v99, v7, vcc
	v_add_f32_e32 v7, v11, v10
	v_add_f32_e32 v7, v13, v7
	;; [unrolled: 1-line block ×3, first 2 shown]
	v_sub_f32_e32 v14, v46, v6
	v_add_f32_e32 v7, v22, v7
	v_mul_f32_e32 v15, 0x3fb8aa3b, v14
	v_add_f32_e32 v7, v23, v7
	v_fma_f32 v16, v14, s41, -v15
	v_rndne_f32_e32 v17, v15
	v_add_f32_e32 v7, v40, v7
	v_fmac_f32_e32 v16, 0x32a5705f, v14
	v_sub_f32_e32 v15, v15, v17
	v_add_f32_e32 v7, v26, v7
	v_add_f32_e32 v15, v15, v16
	;; [unrolled: 1-line block ×3, first 2 shown]
	v_exp_f32_e32 v15, v15
	v_cvt_i32_f32_e32 v16, v17
	v_add_f32_e32 v7, v43, v7
	v_add_f32_e32 v7, v8, v7
	;; [unrolled: 1-line block ×4, first 2 shown]
	v_ldexp_f32 v15, v15, v16
	v_cmp_ngt_f32_e32 vcc, s63, v14
	v_add_f32_e32 v7, v5, v7
	v_cndmask_b32_e32 v15, 0, v15, vcc
	v_cmp_nlt_f32_e32 vcc, s47, v14
	v_add_f32_e32 v7, v2, v7
	v_cndmask_b32_e32 v15, v99, v15, vcc
	v_cmp_le_f32_e32 vcc, s89, v14
	v_add_f32_e32 v7, v3, v7
	v_cndmask_b32_e32 v14, 0, v15, vcc
	v_fmac_f32_e32 v7, v62, v14
	v_cvt_f16_f32_e32 v14, v14
	v_cvt_f16_f32_e32 v10, v10
	;; [unrolled: 1-line block ×4, first 2 shown]
	v_pk_mul_f16 v37, v14, v111 op_sel_hi:[0,1]
	v_pk_mul_f16 v27, v14, v112 op_sel_hi:[0,1]
	;; [unrolled: 1-line block ×8, first 2 shown]
	v_pack_b32_f16 v14, v11, v10
	v_cvt_f16_f32_e32 v10, v12
	v_cvt_f16_f32_e32 v11, v13
	;; [unrolled: 1-line block ×5, first 2 shown]
	v_pack_b32_f16 v15, v11, v10
	v_cvt_f16_f32_e32 v10, v23
	v_cvt_f16_f32_e32 v11, v22
	;; [unrolled: 1-line block ×4, first 2 shown]
	v_cvt_f32_f16_e32 v58, v21
	v_pack_b32_f16 v12, v11, v10
	v_cvt_f16_f32_e32 v10, v26
	v_cvt_f16_f32_e32 v11, v40
	v_cvt_f32_f16_sdwa v59, v21 dst_sel:DWORD dst_unused:UNUSED_PAD src0_sel:WORD_1
	v_cvt_f32_f16_e32 v60, v20
	v_cvt_f32_f16_sdwa v61, v20 dst_sel:DWORD dst_unused:UNUSED_PAD src0_sel:WORD_1
	v_pack_b32_f16 v13, v11, v10
	v_cvt_f16_f32_e32 v10, v43
	v_cvt_f16_f32_e32 v11, v44
	ds_bpermute_b32 v1, v1, v7
	v_pack_b32_f16 v10, v11, v10
	v_pack_b32_f16 v11, v8, v9
	;; [unrolled: 1-line block ×3, first 2 shown]
	v_add_co_u32_e32 v2, vcc, s0, v28
	v_mov_b32_e32 v3, s1
	v_addc_co_u32_e32 v3, vcc, v3, v29, vcc
	v_add_co_u32_e32 v2, vcc, v2, v104
	v_addc_co_u32_e32 v3, vcc, 0, v3, vcc
	v_pack_b32_f16 v8, v4, v5
	v_add_co_u32_e32 v4, vcc, s0, v30
	v_mov_b32_e32 v5, s1
	v_addc_co_u32_e32 v5, vcc, v5, v31, vcc
	v_add_co_u32_e32 v24, vcc, v4, v104
	v_addc_co_u32_e32 v25, vcc, 0, v5, vcc
	global_load_dwordx4 v[2:5], v[2:3], off
	s_waitcnt lgkmcnt(0)
	v_add_f32_e32 v1, v7, v1
	ds_bpermute_b32 v0, v0, v1
	s_waitcnt lgkmcnt(0)
	v_add_f32_e32 v7, v1, v0
	s_waitcnt vmcnt(0)
	ds_write_b128 v67, v[2:5]
	global_load_dwordx4 v[2:5], v[24:25], off
	s_waitcnt vmcnt(0)
	ds_write_b128 v120, v[2:5]
	s_waitcnt lgkmcnt(0)
	s_barrier
	buffer_load_dword v114, off, s[96:99], 0 offset:76 ; 4-byte Folded Reload
	buffer_load_dword v126, off, s[96:99], 0 offset:80 ; 4-byte Folded Reload
	ds_read_u16 v22, v72 offset:288
	v_cvt_f32_f16_e32 v2, v37
	v_cvt_f32_f16_sdwa v3, v37 dst_sel:DWORD dst_unused:UNUSED_PAD src0_sel:WORD_1
	v_cvt_f32_f16_e32 v4, v27
	v_cvt_f32_f16_sdwa v5, v27 dst_sel:DWORD dst_unused:UNUSED_PAD src0_sel:WORD_1
	s_waitcnt vmcnt(1)
	v_add_u32_e32 v24, v95, v114
	s_waitcnt vmcnt(0)
	v_add_u32_e32 v23, v95, v126
	ds_read_u16 v25, v23
	ds_read_u16 v26, v23 offset:32
	s_waitcnt lgkmcnt(1)
	v_perm_b32 v37, v25, v22, s90
	ds_read_u16 v22, v70
	ds_read_u16 v25, v70 offset:32
	ds_read_u16 v27, v24 offset:144
	;; [unrolled: 1-line block ×3, first 2 shown]
	s_waitcnt lgkmcnt(1)
	v_perm_b32 v36, v27, v22, s90
	s_nop 1
	v_mfma_f32_16x16x16f16 v[2:5], v[36:37], v[14:15], v[2:5]
	ds_read_u16 v22, v70 offset:2304
	ds_read_u16 v27, v24 offset:2448
	ds_read_u16 v36, v74 offset:288
	ds_read_u16 v37, v23 offset:2304
	s_waitcnt lgkmcnt(0)
	v_perm_b32 v37, v37, v36, s90
	v_perm_b32 v36, v27, v22, s90
	s_nop 3
	v_cvt_f16_f32_e32 v2, v2
	v_cvt_f16_f32_e32 v3, v3
	v_cvt_f16_f32_e32 v4, v4
	v_cvt_f16_f32_e32 v5, v5
	v_cvt_f32_f16_e32 v2, v2
	v_cvt_f32_f16_e32 v3, v3
	v_cvt_f32_f16_e32 v4, v4
	v_cvt_f32_f16_e32 v5, v5
	s_nop 1
	v_mfma_f32_16x16x16f16 v[2:5], v[36:37], v[12:13], v[2:5]
	ds_read_u16 v22, v70 offset:4608
	ds_read_u16 v27, v24 offset:4752
	ds_read_u16 v36, v75 offset:288
	ds_read_u16 v37, v23 offset:4608
	s_waitcnt lgkmcnt(0)
	v_perm_b32 v37, v37, v36, s90
	v_perm_b32 v36, v27, v22, s90
	s_nop 3
	v_cvt_f16_f32_e32 v2, v2
	v_cvt_f16_f32_e32 v3, v3
	v_cvt_f16_f32_e32 v4, v4
	v_cvt_f16_f32_e32 v5, v5
	v_cvt_f32_f16_e32 v2, v2
	v_cvt_f32_f16_e32 v3, v3
	v_cvt_f32_f16_e32 v4, v4
	v_cvt_f32_f16_e32 v5, v5
	;; [unrolled: 18-line block ×3, first 2 shown]
	s_nop 1
	v_mfma_f32_16x16x16f16 v[2:5], v[36:37], v[8:9], v[2:5]
	s_nop 7
	s_nop 2
	v_cvt_f16_f32_e32 v2, v2
	v_cvt_f16_f32_e32 v3, v3
	;; [unrolled: 1-line block ×4, first 2 shown]
	v_pack_b32_f16 v2, v2, v3
	v_pack_b32_f16 v3, v4, v5
	ds_read_u16 v4, v77 offset:288
	s_waitcnt lgkmcnt(0)
	v_perm_b32 v5, v26, v4, s90
	v_perm_b32 v4, v40, v25, s90
	ds_read_u16 v22, v70 offset:2336
	ds_read_u16 v25, v24 offset:2480
	ds_read_u16 v26, v78 offset:288
	ds_read_u16 v27, v23 offset:2336
	v_mfma_f32_16x16x16f16 v[58:61], v[4:5], v[14:15], v[58:61]
	s_nop 7
	s_nop 2
	v_cvt_f16_f32_e32 v4, v58
	v_cvt_f16_f32_e32 v5, v59
	v_cvt_f16_f32_e32 v20, v60
	v_cvt_f16_f32_e32 v21, v61
	v_cvt_f32_f16_e32 v58, v4
	v_cvt_f32_f16_e32 v59, v5
	s_waitcnt lgkmcnt(0)
	v_perm_b32 v5, v27, v26, s90
	v_perm_b32 v4, v25, v22, s90
	v_cvt_f32_f16_e32 v60, v20
	v_cvt_f32_f16_e32 v61, v21
	ds_read_u16 v22, v70 offset:4640
	ds_read_u16 v25, v24 offset:4784
	ds_read_u16 v26, v79 offset:288
	ds_read_u16 v27, v23 offset:4640
	v_mfma_f32_16x16x16f16 v[58:61], v[4:5], v[12:13], v[58:61]
	s_nop 7
	s_nop 2
	v_cvt_f16_f32_e32 v4, v58
	v_cvt_f16_f32_e32 v5, v59
	v_cvt_f16_f32_e32 v20, v60
	v_cvt_f16_f32_e32 v21, v61
	v_cvt_f32_f16_e32 v58, v4
	v_cvt_f32_f16_e32 v59, v5
	s_waitcnt lgkmcnt(0)
	v_perm_b32 v5, v27, v26, s90
	v_perm_b32 v4, v25, v22, s90
	v_cvt_f32_f16_e32 v60, v20
	v_cvt_f32_f16_e32 v61, v21
	;; [unrolled: 18-line block ×3, first 2 shown]
	s_nop 1
	v_mfma_f32_16x16x16f16 v[58:61], v[4:5], v[8:9], v[58:61]
	s_nop 7
	s_nop 2
	v_cvt_f16_f32_e32 v4, v58
	v_cvt_f16_f32_e32 v5, v59
	;; [unrolled: 1-line block ×4, first 2 shown]
	v_cvt_f32_f16_e32 v58, v17
	v_pack_b32_f16 v4, v4, v5
	v_cvt_f32_f16_sdwa v59, v17 dst_sel:DWORD dst_unused:UNUSED_PAD src0_sel:WORD_1
	v_pack_b32_f16 v5, v20, v21
	ds_read_u16 v20, v70 offset:64
	ds_read_u16 v21, v24 offset:208
	;; [unrolled: 1-line block ×4, first 2 shown]
	v_cvt_f32_f16_e32 v60, v16
	v_cvt_f32_f16_sdwa v61, v16 dst_sel:DWORD dst_unused:UNUSED_PAD src0_sel:WORD_1
	s_waitcnt lgkmcnt(2)
	v_perm_b32 v16, v21, v20, s90
	s_waitcnt lgkmcnt(0)
	v_perm_b32 v17, v25, v22, s90
	ds_read_u16 v22, v70 offset:2368
	ds_read_u16 v25, v24 offset:2512
	ds_read_u16 v26, v82 offset:288
	ds_read_u16 v27, v23 offset:2368
	v_mfma_f32_16x16x16f16 v[58:61], v[16:17], v[14:15], v[58:61]
	s_nop 7
	s_nop 2
	v_cvt_f16_f32_e32 v16, v58
	v_cvt_f16_f32_e32 v17, v59
	v_cvt_f16_f32_e32 v20, v60
	v_cvt_f16_f32_e32 v21, v61
	v_cvt_f32_f16_e32 v58, v16
	v_cvt_f32_f16_e32 v59, v17
	s_waitcnt lgkmcnt(0)
	v_perm_b32 v17, v27, v26, s90
	v_perm_b32 v16, v25, v22, s90
	v_cvt_f32_f16_e32 v60, v20
	v_cvt_f32_f16_e32 v61, v21
	ds_read_u16 v22, v70 offset:4672
	ds_read_u16 v25, v24 offset:4816
	ds_read_u16 v26, v83 offset:288
	ds_read_u16 v27, v23 offset:4672
	v_mfma_f32_16x16x16f16 v[58:61], v[16:17], v[12:13], v[58:61]
	s_nop 7
	s_nop 2
	v_cvt_f16_f32_e32 v16, v58
	v_cvt_f16_f32_e32 v17, v59
	v_cvt_f16_f32_e32 v20, v60
	v_cvt_f16_f32_e32 v21, v61
	v_cvt_f32_f16_e32 v58, v16
	v_cvt_f32_f16_e32 v59, v17
	s_waitcnt lgkmcnt(0)
	v_perm_b32 v17, v27, v26, s90
	v_perm_b32 v16, v25, v22, s90
	v_cvt_f32_f16_e32 v60, v20
	v_cvt_f32_f16_e32 v61, v21
	;; [unrolled: 18-line block ×3, first 2 shown]
	s_nop 1
	v_mfma_f32_16x16x16f16 v[58:61], v[16:17], v[8:9], v[58:61]
	s_nop 7
	s_nop 2
	v_cvt_f16_f32_e32 v16, v58
	v_cvt_f16_f32_e32 v17, v59
	;; [unrolled: 1-line block ×4, first 2 shown]
	v_cvt_f32_f16_e32 v58, v19
	v_pack_b32_f16 v16, v16, v17
	v_cvt_f32_f16_sdwa v59, v19 dst_sel:DWORD dst_unused:UNUSED_PAD src0_sel:WORD_1
	v_pack_b32_f16 v17, v20, v21
	ds_read_u16 v20, v70 offset:96
	ds_read_u16 v21, v24 offset:240
	;; [unrolled: 1-line block ×4, first 2 shown]
	v_cvt_f32_f16_e32 v60, v18
	v_cvt_f32_f16_sdwa v61, v18 dst_sel:DWORD dst_unused:UNUSED_PAD src0_sel:WORD_1
	s_waitcnt lgkmcnt(2)
	v_perm_b32 v18, v21, v20, s90
	s_waitcnt lgkmcnt(0)
	v_perm_b32 v19, v25, v22, s90
	ds_read_u16 v22, v70 offset:2400
	ds_read_u16 v25, v24 offset:2544
	;; [unrolled: 1-line block ×4, first 2 shown]
	v_mfma_f32_16x16x16f16 v[18:21], v[18:19], v[14:15], v[58:61]
	s_nop 7
	s_nop 2
	v_cvt_f16_f32_e32 v14, v18
	v_cvt_f16_f32_e32 v15, v19
	;; [unrolled: 1-line block ×4, first 2 shown]
	v_cvt_f32_f16_e32 v18, v14
	v_cvt_f32_f16_e32 v19, v15
	s_waitcnt lgkmcnt(0)
	v_perm_b32 v15, v27, v26, s90
	v_perm_b32 v14, v25, v22, s90
	v_cvt_f32_f16_e32 v20, v20
	v_cvt_f32_f16_e32 v21, v21
	s_nop 1
	v_mfma_f32_16x16x16f16 v[12:15], v[14:15], v[12:13], v[18:21]
	s_nop 6
	ds_read_u16 v18, v70 offset:4704
	ds_read_u16 v20, v24 offset:4848
	;; [unrolled: 1-line block ×4, first 2 shown]
	s_waitcnt lgkmcnt(2)
	v_perm_b32 v18, v20, v18, s90
	s_waitcnt lgkmcnt(0)
	v_perm_b32 v19, v21, v19, s90
	v_cvt_f16_f32_e32 v12, v12
	v_cvt_f16_f32_e32 v13, v13
	;; [unrolled: 1-line block ×4, first 2 shown]
	v_cvt_f32_f16_e32 v12, v12
	v_cvt_f32_f16_e32 v13, v13
	;; [unrolled: 1-line block ×4, first 2 shown]
	s_nop 1
	v_mfma_f32_16x16x16f16 v[18:21], v[18:19], v[10:11], v[12:15]
	s_nop 7
	s_nop 2
	v_cvt_f16_f32_e32 v14, v19
	ds_read_u16 v10, v70 offset:7008
	ds_read_u16 v11, v24 offset:7152
	;; [unrolled: 1-line block ×4, first 2 shown]
	v_cvt_f16_f32_e32 v13, v18
	v_cvt_f16_f32_e32 v15, v20
	;; [unrolled: 1-line block ×3, first 2 shown]
	v_cvt_f32_f16_e32 v59, v14
	v_cvt_f32_f16_e32 v58, v13
	s_waitcnt lgkmcnt(0)
	v_perm_b32 v13, v19, v12, s90
	v_perm_b32 v12, v11, v10, s90
	v_cvt_f32_f16_e32 v60, v15
	v_cvt_f32_f16_e32 v61, v18
	s_barrier
	s_nop 0
	v_mfma_f32_16x16x16f16 v[8:11], v[12:13], v[8:9], v[58:61]
	s_nop 7
	s_nop 2
	v_cvt_f16_f32_e32 v8, v8
	v_cvt_f16_f32_e32 v9, v9
	;; [unrolled: 1-line block ×4, first 2 shown]
	v_pack_b32_f16 v8, v8, v9
	v_pack_b32_f16 v9, v10, v11
	s_cbranch_scc0 .LBB0_198
; %bb.147:                              ;   in Loop: Header=BB0_13 Depth=1
	buffer_load_dword v0, off, s[96:99], 0 offset:36 ; 4-byte Folded Reload
	buffer_load_dword v1, off, s[96:99], 0 offset:40 ; 4-byte Folded Reload
	s_waitcnt vmcnt(0)
	v_max_f32_e32 v1, v6, v6
	v_lshlrev_b32_e32 v0, 2, v0
	global_load_dword v0, v0, s[68:69]
	s_waitcnt vmcnt(0)
	v_max_f32_e32 v10, v0, v0
	v_max_f32_e32 v10, v1, v10
	v_sub_f32_e32 v1, v6, v10
	v_sub_f32_e32 v0, v0, v10
	v_mul_f32_e32 v11, 0x3fb8aa3b, v1
	v_mul_f32_e32 v12, 0x3fb8aa3b, v0
	v_fma_f32 v13, v1, s41, -v11
	v_rndne_f32_e32 v14, v11
	v_fma_f32 v15, v0, s41, -v12
	v_rndne_f32_e32 v18, v12
	v_fmac_f32_e32 v13, 0x32a5705f, v1
	v_sub_f32_e32 v11, v11, v14
	v_fmac_f32_e32 v15, 0x32a5705f, v0
	v_sub_f32_e32 v12, v12, v18
	v_add_f32_e32 v11, v11, v13
	v_cvt_i32_f32_e32 v14, v14
	v_add_f32_e32 v12, v12, v15
	v_exp_f32_e32 v11, v11
	v_cvt_i32_f32_e32 v18, v18
	v_exp_f32_e32 v12, v12
	v_cmp_ngt_f32_e32 vcc, s63, v1
	v_ldexp_f32 v11, v11, v14
	v_cndmask_b32_e32 v11, 0, v11, vcc
	v_ldexp_f32 v12, v12, v18
	v_cmp_ngt_f32_e32 vcc, s63, v0
	v_cndmask_b32_e32 v12, 0, v12, vcc
	v_cmp_nlt_f32_e32 vcc, s47, v1
	v_cndmask_b32_e32 v11, v99, v11, vcc
	v_cmp_le_f32_e32 vcc, s89, v1
	v_cndmask_b32_e32 v1, 0, v11, vcc
	v_cvt_f16_f32_e32 v21, v1
	v_cmp_nlt_f32_e32 vcc, s47, v0
	v_cndmask_b32_e32 v11, v99, v12, vcc
	v_fmac_f32_e32 v11, v7, v1
	v_pk_mul_f16 v12, v21, v2 op_sel_hi:[0,1]
	v_pk_mul_f16 v13, v21, v3 op_sel_hi:[0,1]
	;; [unrolled: 1-line block ×8, first 2 shown]
	s_cbranch_execnz .LBB0_149
.LBB0_148:                              ;   in Loop: Header=BB0_13 Depth=1
	v_pk_mov_b32 v[12:13], v[2:3], v[2:3] op_sel:[0,1]
	v_pk_mov_b32 v[14:15], v[4:5], v[4:5] op_sel:[0,1]
	;; [unrolled: 1-line block ×5, first 2 shown]
.LBB0_149:                              ;   in Loop: Header=BB0_13 Depth=1
	s_mov_b64 s[68:69], exec
	v_readlane_b32 s0, v127, 20
	v_readlane_b32 s1, v127, 21
	s_and_b64 s[0:1], s[68:69], s[0:1]
	s_mov_b64 exec, s[0:1]
	s_cbranch_execz .LBB0_151
; %bb.150:                              ;   in Loop: Header=BB0_13 Depth=1
	buffer_load_dword v0, off, s[96:99], 0 offset:140 ; 4-byte Folded Reload
	s_waitcnt vmcnt(0)
	ds_write2_b32 v0, v10, v11 offset0:32 offset1:33
.LBB0_151:                              ;   in Loop: Header=BB0_13 Depth=1
	s_or_b64 exec, exec, s[68:69]
	v_mov_b32_e32 v0, 50
	s_waitcnt lgkmcnt(0)
	s_barrier
	ds_write2_b32 v116, v12, v13 offset1:1
	ds_write2_b32 v116, v14, v15 offset0:8 offset1:9
	ds_write2_b32 v116, v18, v19 offset0:16 offset1:17
	;; [unrolled: 1-line block ×3, first 2 shown]
	s_waitcnt lgkmcnt(0)
	s_barrier
	s_and_saveexec_b64 s[68:69], s[82:83]
	s_cbranch_execz .LBB0_153
; %bb.152:                              ;   in Loop: Header=BB0_13 Depth=1
	buffer_load_dword v0, off, s[96:99], 0 offset:88 ; 4-byte Folded Reload
	v_mov_b32_e32 v3, s58
	ds_read_b32 v2, v89
	s_waitcnt vmcnt(0)
	ds_read_b32 v4, v0 offset:132
	buffer_load_dword v6, off, s[96:99], 0  ; 4-byte Folded Reload
	buffer_load_dword v7, off, s[96:99], 0 offset:4 ; 4-byte Folded Reload
	v_mad_u64_u32 v[0:1], s[0:1], v39, s25, v[54:55]
	s_waitcnt vmcnt(1)
	v_lshl_or_b32 v0, v0, 5, v6
	v_ashrrev_i32_e32 v1, 31, v0
	v_lshlrev_b64 v[0:1], 3, v[0:1]
	v_add_co_u32_e32 v0, vcc, s88, v0
	v_addc_co_u32_e32 v1, vcc, v3, v1, vcc
	s_waitcnt lgkmcnt(1)
	v_cvt_f32_f16_sdwa v3, v2 dst_sel:DWORD dst_unused:UNUSED_PAD src0_sel:WORD_1
	v_cvt_f32_f16_e32 v2, v2
	v_pk_add_f32 v[2:3], v[2:3], 0 op_sel_hi:[1,0]
	s_waitcnt lgkmcnt(0)
	v_div_scale_f32 v5, s[0:1], v4, v4, v3
	v_rcp_f32_e32 v6, v5
	s_waitcnt vmcnt(0)
	v_fma_f32 v7, -v5, v6, 1.0
	v_fmac_f32_e32 v6, v7, v6
	v_div_scale_f32 v7, vcc, v3, v4, v3
	v_mul_f32_e32 v8, v7, v6
	v_fma_f32 v9, -v5, v8, v7
	v_fmac_f32_e32 v8, v9, v6
	v_fma_f32 v5, -v5, v8, v7
	v_div_fmas_f32 v5, v5, v6, v8
	v_div_fixup_f32 v3, v5, v4, v3
	v_div_scale_f32 v5, s[0:1], v4, v4, v2
	v_rcp_f32_e32 v6, v5
	v_fma_f32 v7, -v5, v6, 1.0
	v_fmac_f32_e32 v6, v7, v6
	v_div_scale_f32 v7, vcc, v2, v4, v2
	v_mul_f32_e32 v8, v7, v6
	v_fma_f32 v9, -v5, v8, v7
	v_fmac_f32_e32 v8, v9, v6
	v_fma_f32 v5, -v5, v8, v7
	v_div_fmas_f32 v5, v5, v6, v8
	v_div_fixup_f32 v2, v5, v4, v2
	global_store_dwordx2 v[0:1], v[2:3], off
	v_mov_b32_e32 v0, 0
.LBB0_153:                              ;   in Loop: Header=BB0_13 Depth=1
	s_or_b64 exec, exec, s[68:69]
	v_cmp_gt_i32_e32 vcc, 50, v0
	s_mov_b64 s[82:83], -1
	s_and_saveexec_b64 s[68:69], vcc
; %bb.154:                              ;   in Loop: Header=BB0_13 Depth=1
	v_cmp_eq_u32_e32 vcc, 0, v0
	s_orn2_b64 s[82:83], vcc, exec
; %bb.155:                              ;   in Loop: Header=BB0_13 Depth=1
	s_or_b64 exec, exec, s[68:69]
                                        ; implicit-def: $vgpr4_vgpr5
                                        ; implicit-def: $vgpr2
	s_and_saveexec_b64 s[68:69], s[82:83]
	s_cbranch_execz .LBB0_195
; %bb.156:                              ;   in Loop: Header=BB0_13 Depth=1
	v_mov_b32_e32 v0, 50
	s_and_saveexec_b64 s[82:83], s[80:81]
	s_cbranch_execz .LBB0_158
; %bb.157:                              ;   in Loop: Header=BB0_13 Depth=1
	buffer_load_dword v0, off, s[96:99], 0 offset:88 ; 4-byte Folded Reload
	v_mov_b32_e32 v3, s58
	ds_read_b32 v2, v89 offset:1152
	s_waitcnt vmcnt(0)
	ds_read_b32 v4, v0 offset:1284
	buffer_load_dword v6, off, s[96:99], 0  ; 4-byte Folded Reload
	buffer_load_dword v7, off, s[96:99], 0 offset:4 ; 4-byte Folded Reload
	v_mad_u64_u32 v[0:1], s[0:1], v115, s25, v[54:55]
	s_waitcnt vmcnt(1)
	v_lshl_or_b32 v0, v0, 5, v6
	v_ashrrev_i32_e32 v1, 31, v0
	v_lshlrev_b64 v[0:1], 3, v[0:1]
	v_add_co_u32_e32 v0, vcc, s88, v0
	v_addc_co_u32_e32 v1, vcc, v3, v1, vcc
	s_waitcnt lgkmcnt(1)
	v_cvt_f32_f16_sdwa v3, v2 dst_sel:DWORD dst_unused:UNUSED_PAD src0_sel:WORD_1
	v_cvt_f32_f16_e32 v2, v2
	v_pk_add_f32 v[2:3], v[2:3], 0 op_sel_hi:[1,0]
	s_waitcnt lgkmcnt(0)
	v_div_scale_f32 v5, s[0:1], v4, v4, v3
	v_rcp_f32_e32 v6, v5
	s_waitcnt vmcnt(0)
	v_fma_f32 v7, -v5, v6, 1.0
	v_fmac_f32_e32 v6, v7, v6
	v_div_scale_f32 v7, vcc, v3, v4, v3
	v_mul_f32_e32 v8, v7, v6
	v_fma_f32 v9, -v5, v8, v7
	v_fmac_f32_e32 v8, v9, v6
	v_fma_f32 v5, -v5, v8, v7
	v_div_fmas_f32 v5, v5, v6, v8
	v_div_fixup_f32 v3, v5, v4, v3
	v_div_scale_f32 v5, s[0:1], v4, v4, v2
	v_rcp_f32_e32 v6, v5
	v_fma_f32 v7, -v5, v6, 1.0
	v_fmac_f32_e32 v6, v7, v6
	v_div_scale_f32 v7, vcc, v2, v4, v2
	v_mul_f32_e32 v8, v7, v6
	v_fma_f32 v9, -v5, v8, v7
	v_fmac_f32_e32 v8, v9, v6
	v_fma_f32 v5, -v5, v8, v7
	v_div_fmas_f32 v5, v5, v6, v8
	v_div_fixup_f32 v2, v5, v4, v2
	global_store_dwordx2 v[0:1], v[2:3], off
	v_mov_b32_e32 v0, 0
.LBB0_158:                              ;   in Loop: Header=BB0_13 Depth=1
	s_or_b64 exec, exec, s[82:83]
	v_cmp_gt_i32_e32 vcc, 50, v0
	s_mov_b64 s[84:85], -1
	s_and_saveexec_b64 s[80:81], vcc
; %bb.159:                              ;   in Loop: Header=BB0_13 Depth=1
	v_cmp_eq_u32_e32 vcc, 0, v0
	s_orn2_b64 s[84:85], vcc, exec
; %bb.160:                              ;   in Loop: Header=BB0_13 Depth=1
	s_or_b64 exec, exec, s[80:81]
	s_mov_b64 s[82:83], s[4:5]
                                        ; implicit-def: $vgpr4_vgpr5
                                        ; implicit-def: $vgpr2
	s_and_saveexec_b64 s[80:81], s[84:85]
	s_cbranch_execz .LBB0_194
; %bb.161:                              ;   in Loop: Header=BB0_13 Depth=1
	v_mov_b32_e32 v0, 50
	s_and_saveexec_b64 s[82:83], s[78:79]
	s_cbranch_execz .LBB0_163
; %bb.162:                              ;   in Loop: Header=BB0_13 Depth=1
	buffer_load_dword v0, off, s[96:99], 0 offset:152 ; 4-byte Folded Reload
	v_mov_b32_e32 v3, s58
	s_waitcnt vmcnt(0)
	ds_read_b32 v4, v0 offset:132
	v_mad_u64_u32 v[0:1], s[0:1], v96, s25, v[54:55]
	buffer_load_dword v1, off, s[96:99], 0 offset:144 ; 4-byte Folded Reload
	s_waitcnt vmcnt(0)
	ds_read_b32 v2, v1
	buffer_load_dword v6, off, s[96:99], 0  ; 4-byte Folded Reload
	buffer_load_dword v7, off, s[96:99], 0 offset:4 ; 4-byte Folded Reload
	s_waitcnt vmcnt(1)
	v_lshl_or_b32 v0, v0, 5, v6
	v_ashrrev_i32_e32 v1, 31, v0
	v_lshlrev_b64 v[0:1], 3, v[0:1]
	v_add_co_u32_e32 v0, vcc, s88, v0
	v_addc_co_u32_e32 v1, vcc, v3, v1, vcc
	s_waitcnt lgkmcnt(0)
	v_cvt_f32_f16_sdwa v3, v2 dst_sel:DWORD dst_unused:UNUSED_PAD src0_sel:WORD_1
	v_cvt_f32_f16_e32 v2, v2
	v_pk_add_f32 v[2:3], v[2:3], 0 op_sel_hi:[1,0]
	v_div_scale_f32 v5, s[0:1], v4, v4, v3
	v_rcp_f32_e32 v6, v5
	s_waitcnt vmcnt(0)
	v_fma_f32 v7, -v5, v6, 1.0
	v_fmac_f32_e32 v6, v7, v6
	v_div_scale_f32 v7, vcc, v3, v4, v3
	v_mul_f32_e32 v8, v7, v6
	v_fma_f32 v9, -v5, v8, v7
	v_fmac_f32_e32 v8, v9, v6
	v_fma_f32 v5, -v5, v8, v7
	v_div_fmas_f32 v5, v5, v6, v8
	v_div_fixup_f32 v3, v5, v4, v3
	v_div_scale_f32 v5, s[0:1], v4, v4, v2
	v_rcp_f32_e32 v6, v5
	v_fma_f32 v7, -v5, v6, 1.0
	v_fmac_f32_e32 v6, v7, v6
	v_div_scale_f32 v7, vcc, v2, v4, v2
	v_mul_f32_e32 v8, v7, v6
	v_fma_f32 v9, -v5, v8, v7
	v_fmac_f32_e32 v8, v9, v6
	v_fma_f32 v5, -v5, v8, v7
	v_div_fmas_f32 v5, v5, v6, v8
	v_div_fixup_f32 v2, v5, v4, v2
	global_store_dwordx2 v[0:1], v[2:3], off
	v_mov_b32_e32 v0, 0
.LBB0_163:                              ;   in Loop: Header=BB0_13 Depth=1
	s_or_b64 exec, exec, s[82:83]
	v_cmp_gt_i32_e32 vcc, 50, v0
	s_mov_b64 s[84:85], -1
	s_and_saveexec_b64 s[78:79], vcc
; %bb.164:                              ;   in Loop: Header=BB0_13 Depth=1
	v_cmp_eq_u32_e32 vcc, 0, v0
	s_orn2_b64 s[84:85], vcc, exec
; %bb.165:                              ;   in Loop: Header=BB0_13 Depth=1
	s_or_b64 exec, exec, s[78:79]
	s_mov_b64 s[82:83], s[4:5]
                                        ; implicit-def: $vgpr4_vgpr5
                                        ; implicit-def: $vgpr2
	s_and_saveexec_b64 s[78:79], s[84:85]
	s_cbranch_execz .LBB0_193
; %bb.166:                              ;   in Loop: Header=BB0_13 Depth=1
	v_mov_b32_e32 v0, 50
	s_and_saveexec_b64 s[82:83], s[76:77]
	s_cbranch_execz .LBB0_168
; %bb.167:                              ;   in Loop: Header=BB0_13 Depth=1
	buffer_load_dword v0, off, s[96:99], 0 offset:88 ; 4-byte Folded Reload
	v_mov_b32_e32 v3, s58
	ds_read_b32 v2, v89 offset:3456
	s_waitcnt vmcnt(0)
	ds_read_b32 v4, v0 offset:3588
	buffer_load_dword v6, off, s[96:99], 0  ; 4-byte Folded Reload
	buffer_load_dword v7, off, s[96:99], 0 offset:4 ; 4-byte Folded Reload
	v_mad_u64_u32 v[0:1], s[0:1], v101, s25, v[54:55]
	s_waitcnt vmcnt(1)
	v_lshl_or_b32 v0, v0, 5, v6
	v_ashrrev_i32_e32 v1, 31, v0
	v_lshlrev_b64 v[0:1], 3, v[0:1]
	v_add_co_u32_e32 v0, vcc, s88, v0
	v_addc_co_u32_e32 v1, vcc, v3, v1, vcc
	s_waitcnt lgkmcnt(1)
	v_cvt_f32_f16_sdwa v3, v2 dst_sel:DWORD dst_unused:UNUSED_PAD src0_sel:WORD_1
	v_cvt_f32_f16_e32 v2, v2
	v_pk_add_f32 v[2:3], v[2:3], 0 op_sel_hi:[1,0]
	s_waitcnt lgkmcnt(0)
	v_div_scale_f32 v5, s[0:1], v4, v4, v3
	v_rcp_f32_e32 v6, v5
	s_waitcnt vmcnt(0)
	v_fma_f32 v7, -v5, v6, 1.0
	v_fmac_f32_e32 v6, v7, v6
	v_div_scale_f32 v7, vcc, v3, v4, v3
	v_mul_f32_e32 v8, v7, v6
	v_fma_f32 v9, -v5, v8, v7
	v_fmac_f32_e32 v8, v9, v6
	v_fma_f32 v5, -v5, v8, v7
	v_div_fmas_f32 v5, v5, v6, v8
	v_div_fixup_f32 v3, v5, v4, v3
	v_div_scale_f32 v5, s[0:1], v4, v4, v2
	v_rcp_f32_e32 v6, v5
	v_fma_f32 v7, -v5, v6, 1.0
	v_fmac_f32_e32 v6, v7, v6
	v_div_scale_f32 v7, vcc, v2, v4, v2
	v_mul_f32_e32 v8, v7, v6
	v_fma_f32 v9, -v5, v8, v7
	v_fmac_f32_e32 v8, v9, v6
	v_fma_f32 v5, -v5, v8, v7
	v_div_fmas_f32 v5, v5, v6, v8
	v_div_fixup_f32 v2, v5, v4, v2
	global_store_dwordx2 v[0:1], v[2:3], off
	v_mov_b32_e32 v0, 0
.LBB0_168:                              ;   in Loop: Header=BB0_13 Depth=1
	s_or_b64 exec, exec, s[82:83]
	v_cmp_gt_i32_e32 vcc, 50, v0
	s_mov_b64 s[84:85], -1
	s_and_saveexec_b64 s[76:77], vcc
; %bb.169:                              ;   in Loop: Header=BB0_13 Depth=1
	v_cmp_eq_u32_e32 vcc, 0, v0
	s_orn2_b64 s[84:85], vcc, exec
; %bb.170:                              ;   in Loop: Header=BB0_13 Depth=1
	s_or_b64 exec, exec, s[76:77]
	s_mov_b64 s[82:83], s[4:5]
                                        ; implicit-def: $vgpr4_vgpr5
                                        ; implicit-def: $vgpr2
	s_and_saveexec_b64 s[76:77], s[84:85]
	s_cbranch_execz .LBB0_192
; %bb.171:                              ;   in Loop: Header=BB0_13 Depth=1
	v_mov_b32_e32 v0, 50
	s_and_saveexec_b64 s[82:83], s[74:75]
	s_cbranch_execz .LBB0_173
; %bb.172:                              ;   in Loop: Header=BB0_13 Depth=1
	buffer_load_dword v0, off, s[96:99], 0 offset:160 ; 4-byte Folded Reload
	v_mov_b32_e32 v3, s58
	s_waitcnt vmcnt(0)
	ds_read_b32 v4, v0 offset:132
	v_mad_u64_u32 v[0:1], s[0:1], v97, s25, v[54:55]
	buffer_load_dword v1, off, s[96:99], 0 offset:156 ; 4-byte Folded Reload
	s_waitcnt vmcnt(0)
	ds_read_b32 v2, v1
	buffer_load_dword v6, off, s[96:99], 0  ; 4-byte Folded Reload
	buffer_load_dword v7, off, s[96:99], 0 offset:4 ; 4-byte Folded Reload
	s_waitcnt vmcnt(1)
	v_lshl_or_b32 v0, v0, 5, v6
	v_ashrrev_i32_e32 v1, 31, v0
	v_lshlrev_b64 v[0:1], 3, v[0:1]
	v_add_co_u32_e32 v0, vcc, s88, v0
	v_addc_co_u32_e32 v1, vcc, v3, v1, vcc
	s_waitcnt lgkmcnt(0)
	v_cvt_f32_f16_sdwa v3, v2 dst_sel:DWORD dst_unused:UNUSED_PAD src0_sel:WORD_1
	v_cvt_f32_f16_e32 v2, v2
	v_pk_add_f32 v[2:3], v[2:3], 0 op_sel_hi:[1,0]
	v_div_scale_f32 v5, s[0:1], v4, v4, v3
	v_rcp_f32_e32 v6, v5
	s_waitcnt vmcnt(0)
	v_fma_f32 v7, -v5, v6, 1.0
	v_fmac_f32_e32 v6, v7, v6
	v_div_scale_f32 v7, vcc, v3, v4, v3
	v_mul_f32_e32 v8, v7, v6
	v_fma_f32 v9, -v5, v8, v7
	v_fmac_f32_e32 v8, v9, v6
	v_fma_f32 v5, -v5, v8, v7
	v_div_fmas_f32 v5, v5, v6, v8
	v_div_fixup_f32 v3, v5, v4, v3
	v_div_scale_f32 v5, s[0:1], v4, v4, v2
	v_rcp_f32_e32 v6, v5
	v_fma_f32 v7, -v5, v6, 1.0
	v_fmac_f32_e32 v6, v7, v6
	v_div_scale_f32 v7, vcc, v2, v4, v2
	v_mul_f32_e32 v8, v7, v6
	v_fma_f32 v9, -v5, v8, v7
	v_fmac_f32_e32 v8, v9, v6
	v_fma_f32 v5, -v5, v8, v7
	v_div_fmas_f32 v5, v5, v6, v8
	v_div_fixup_f32 v2, v5, v4, v2
	global_store_dwordx2 v[0:1], v[2:3], off
	v_mov_b32_e32 v0, 0
.LBB0_173:                              ;   in Loop: Header=BB0_13 Depth=1
	s_or_b64 exec, exec, s[82:83]
	v_cmp_gt_i32_e32 vcc, 50, v0
	s_mov_b64 s[84:85], -1
	s_and_saveexec_b64 s[74:75], vcc
; %bb.174:                              ;   in Loop: Header=BB0_13 Depth=1
	v_cmp_eq_u32_e32 vcc, 0, v0
	s_orn2_b64 s[84:85], vcc, exec
; %bb.175:                              ;   in Loop: Header=BB0_13 Depth=1
	s_or_b64 exec, exec, s[74:75]
	s_mov_b64 s[82:83], s[4:5]
                                        ; implicit-def: $vgpr4_vgpr5
                                        ; implicit-def: $vgpr2
	s_and_saveexec_b64 s[74:75], s[84:85]
	s_cbranch_execz .LBB0_191
; %bb.176:                              ;   in Loop: Header=BB0_13 Depth=1
	v_mov_b32_e32 v0, 50
	s_and_saveexec_b64 s[82:83], s[72:73]
	s_cbranch_execz .LBB0_178
; %bb.177:                              ;   in Loop: Header=BB0_13 Depth=1
	buffer_load_dword v0, off, s[96:99], 0 offset:88 ; 4-byte Folded Reload
	v_mov_b32_e32 v3, s58
	ds_read_b32 v2, v89 offset:5760
	s_waitcnt vmcnt(0)
	ds_read_b32 v4, v0 offset:5892
	buffer_load_dword v6, off, s[96:99], 0  ; 4-byte Folded Reload
	buffer_load_dword v7, off, s[96:99], 0 offset:4 ; 4-byte Folded Reload
	v_mad_u64_u32 v[0:1], s[0:1], v55, s25, v[54:55]
	s_waitcnt vmcnt(1)
	v_lshl_or_b32 v0, v0, 5, v6
	v_ashrrev_i32_e32 v1, 31, v0
	v_lshlrev_b64 v[0:1], 3, v[0:1]
	v_add_co_u32_e32 v0, vcc, s88, v0
	v_addc_co_u32_e32 v1, vcc, v3, v1, vcc
	s_waitcnt lgkmcnt(1)
	v_cvt_f32_f16_sdwa v3, v2 dst_sel:DWORD dst_unused:UNUSED_PAD src0_sel:WORD_1
	v_cvt_f32_f16_e32 v2, v2
	v_pk_add_f32 v[2:3], v[2:3], 0 op_sel_hi:[1,0]
	s_waitcnt lgkmcnt(0)
	v_div_scale_f32 v5, s[0:1], v4, v4, v3
	v_rcp_f32_e32 v6, v5
	s_waitcnt vmcnt(0)
	v_fma_f32 v7, -v5, v6, 1.0
	v_fmac_f32_e32 v6, v7, v6
	v_div_scale_f32 v7, vcc, v3, v4, v3
	v_mul_f32_e32 v8, v7, v6
	v_fma_f32 v9, -v5, v8, v7
	v_fmac_f32_e32 v8, v9, v6
	v_fma_f32 v5, -v5, v8, v7
	v_div_fmas_f32 v5, v5, v6, v8
	v_div_fixup_f32 v3, v5, v4, v3
	v_div_scale_f32 v5, s[0:1], v4, v4, v2
	v_rcp_f32_e32 v6, v5
	v_fma_f32 v7, -v5, v6, 1.0
	v_fmac_f32_e32 v6, v7, v6
	v_div_scale_f32 v7, vcc, v2, v4, v2
	v_mul_f32_e32 v8, v7, v6
	v_fma_f32 v9, -v5, v8, v7
	v_fmac_f32_e32 v8, v9, v6
	v_fma_f32 v5, -v5, v8, v7
	v_div_fmas_f32 v5, v5, v6, v8
	v_div_fixup_f32 v2, v5, v4, v2
	global_store_dwordx2 v[0:1], v[2:3], off
	v_mov_b32_e32 v0, 0
.LBB0_178:                              ;   in Loop: Header=BB0_13 Depth=1
	s_or_b64 exec, exec, s[82:83]
	v_cmp_gt_i32_e32 vcc, 50, v0
	s_mov_b64 s[84:85], -1
	s_and_saveexec_b64 s[72:73], vcc
; %bb.179:                              ;   in Loop: Header=BB0_13 Depth=1
	v_cmp_eq_u32_e32 vcc, 0, v0
	s_orn2_b64 s[84:85], vcc, exec
; %bb.180:                              ;   in Loop: Header=BB0_13 Depth=1
	s_or_b64 exec, exec, s[72:73]
	s_mov_b64 s[82:83], s[4:5]
                                        ; implicit-def: $vgpr4_vgpr5
                                        ; implicit-def: $vgpr2
	s_and_saveexec_b64 s[72:73], s[84:85]
	s_cbranch_execz .LBB0_190
; %bb.181:                              ;   in Loop: Header=BB0_13 Depth=1
	v_mov_b32_e32 v0, 50
	s_and_saveexec_b64 s[82:83], s[70:71]
	s_cbranch_execz .LBB0_183
; %bb.182:                              ;   in Loop: Header=BB0_13 Depth=1
	buffer_load_dword v0, off, s[96:99], 0 offset:168 ; 4-byte Folded Reload
	v_mov_b32_e32 v3, s58
	s_waitcnt vmcnt(0)
	ds_read_b32 v4, v0 offset:132
	v_mad_u64_u32 v[0:1], s[0:1], v51, s25, v[54:55]
	buffer_load_dword v1, off, s[96:99], 0 offset:164 ; 4-byte Folded Reload
	s_waitcnt vmcnt(0)
	ds_read_b32 v2, v1
	buffer_load_dword v6, off, s[96:99], 0  ; 4-byte Folded Reload
	buffer_load_dword v7, off, s[96:99], 0 offset:4 ; 4-byte Folded Reload
	s_waitcnt vmcnt(1)
	v_lshl_or_b32 v0, v0, 5, v6
	v_ashrrev_i32_e32 v1, 31, v0
	v_lshlrev_b64 v[0:1], 3, v[0:1]
	v_add_co_u32_e32 v0, vcc, s88, v0
	v_addc_co_u32_e32 v1, vcc, v3, v1, vcc
	s_waitcnt lgkmcnt(0)
	v_cvt_f32_f16_sdwa v3, v2 dst_sel:DWORD dst_unused:UNUSED_PAD src0_sel:WORD_1
	v_cvt_f32_f16_e32 v2, v2
	v_pk_add_f32 v[2:3], v[2:3], 0 op_sel_hi:[1,0]
	v_div_scale_f32 v5, s[0:1], v4, v4, v3
	v_rcp_f32_e32 v6, v5
	s_waitcnt vmcnt(0)
	v_fma_f32 v7, -v5, v6, 1.0
	v_fmac_f32_e32 v6, v7, v6
	v_div_scale_f32 v7, vcc, v3, v4, v3
	v_mul_f32_e32 v8, v7, v6
	v_fma_f32 v9, -v5, v8, v7
	v_fmac_f32_e32 v8, v9, v6
	v_fma_f32 v5, -v5, v8, v7
	v_div_fmas_f32 v5, v5, v6, v8
	v_div_fixup_f32 v3, v5, v4, v3
	v_div_scale_f32 v5, s[0:1], v4, v4, v2
	v_rcp_f32_e32 v6, v5
	v_fma_f32 v7, -v5, v6, 1.0
	v_fmac_f32_e32 v6, v7, v6
	v_div_scale_f32 v7, vcc, v2, v4, v2
	v_mul_f32_e32 v8, v7, v6
	v_fma_f32 v9, -v5, v8, v7
	v_fmac_f32_e32 v8, v9, v6
	v_fma_f32 v5, -v5, v8, v7
	v_div_fmas_f32 v5, v5, v6, v8
	v_div_fixup_f32 v2, v5, v4, v2
	global_store_dwordx2 v[0:1], v[2:3], off
	v_mov_b32_e32 v0, 0
.LBB0_183:                              ;   in Loop: Header=BB0_13 Depth=1
	s_or_b64 exec, exec, s[82:83]
	v_cmp_gt_i32_e32 vcc, 50, v0
	s_mov_b64 s[84:85], -1
	s_and_saveexec_b64 s[70:71], vcc
; %bb.184:                              ;   in Loop: Header=BB0_13 Depth=1
	v_cmp_eq_u32_e32 vcc, 0, v0
	s_orn2_b64 s[84:85], vcc, exec
; %bb.185:                              ;   in Loop: Header=BB0_13 Depth=1
	s_or_b64 exec, exec, s[70:71]
	s_mov_b64 s[82:83], s[4:5]
                                        ; implicit-def: $vgpr4_vgpr5
                                        ; implicit-def: $vgpr2
	s_and_saveexec_b64 s[70:71], s[84:85]
	s_cbranch_execz .LBB0_189
; %bb.186:                              ;   in Loop: Header=BB0_13 Depth=1
	s_mov_b64 s[84:85], s[4:5]
                                        ; implicit-def: $vgpr4_vgpr5
                                        ; implicit-def: $vgpr2
	s_and_saveexec_b64 s[82:83], s[2:3]
	s_cbranch_execz .LBB0_188
; %bb.187:                              ;   in Loop: Header=BB0_13 Depth=1
	buffer_load_dword v0, off, s[96:99], 0 offset:88 ; 4-byte Folded Reload
	v_mad_u64_u32 v[2:3], s[0:1], v49, s25, v[54:55]
	s_or_b64 s[84:85], s[4:5], exec
	s_waitcnt vmcnt(0)
	ds_read_b32 v4, v0 offset:8196
	ds_read_b32 v0, v89 offset:8064
	s_waitcnt lgkmcnt(0)
	v_cvt_f32_f16_sdwa v1, v0 dst_sel:DWORD dst_unused:UNUSED_PAD src0_sel:WORD_1
	v_cvt_f32_f16_e32 v0, v0
	v_pk_add_f32 v[0:1], v[0:1], 0 op_sel_hi:[1,0]
	v_div_scale_f32 v3, s[0:1], v4, v4, v1
	v_rcp_f32_e32 v5, v3
	v_fma_f32 v6, -v3, v5, 1.0
	v_fmac_f32_e32 v5, v6, v5
	v_div_scale_f32 v6, vcc, v1, v4, v1
	v_mul_f32_e32 v7, v6, v5
	v_fma_f32 v8, -v3, v7, v6
	v_fmac_f32_e32 v7, v8, v5
	v_fma_f32 v3, -v3, v7, v6
	v_div_fmas_f32 v3, v3, v5, v7
	v_div_fixup_f32 v5, v3, v4, v1
	v_div_scale_f32 v1, s[0:1], v4, v4, v0
	v_rcp_f32_e32 v3, v1
	v_fma_f32 v6, -v1, v3, 1.0
	v_fmac_f32_e32 v3, v6, v3
	v_div_scale_f32 v6, vcc, v0, v4, v0
	v_mul_f32_e32 v7, v6, v3
	v_fma_f32 v8, -v1, v7, v6
	v_fmac_f32_e32 v7, v8, v3
	v_fma_f32 v1, -v1, v7, v6
	v_div_fmas_f32 v1, v1, v3, v7
	v_div_fixup_f32 v4, v1, v4, v0
.LBB0_188:                              ;   in Loop: Header=BB0_13 Depth=1
	s_or_b64 exec, exec, s[82:83]
	s_andn2_b64 s[0:1], s[4:5], exec
	s_and_b64 s[2:3], s[84:85], exec
	s_or_b64 s[82:83], s[0:1], s[2:3]
.LBB0_189:                              ;   in Loop: Header=BB0_13 Depth=1
	s_or_b64 exec, exec, s[70:71]
	s_andn2_b64 s[0:1], s[4:5], exec
	s_and_b64 s[2:3], s[82:83], exec
	s_or_b64 s[82:83], s[0:1], s[2:3]
.LBB0_190:                              ;   in Loop: Header=BB0_13 Depth=1
	s_or_b64 exec, exec, s[72:73]
	s_andn2_b64 s[0:1], s[4:5], exec
	s_and_b64 s[2:3], s[82:83], exec
	s_or_b64 s[82:83], s[0:1], s[2:3]
.LBB0_191:                              ;   in Loop: Header=BB0_13 Depth=1
	s_or_b64 exec, exec, s[74:75]
	s_andn2_b64 s[0:1], s[4:5], exec
	s_and_b64 s[2:3], s[82:83], exec
	s_or_b64 s[82:83], s[0:1], s[2:3]
.LBB0_192:                              ;   in Loop: Header=BB0_13 Depth=1
	s_or_b64 exec, exec, s[76:77]
	s_andn2_b64 s[0:1], s[4:5], exec
	s_and_b64 s[2:3], s[82:83], exec
	s_or_b64 s[82:83], s[0:1], s[2:3]
.LBB0_193:                              ;   in Loop: Header=BB0_13 Depth=1
	s_or_b64 exec, exec, s[78:79]
	s_andn2_b64 s[0:1], s[4:5], exec
	s_and_b64 s[2:3], s[82:83], exec
	s_or_b64 s[82:83], s[0:1], s[2:3]
.LBB0_194:                              ;   in Loop: Header=BB0_13 Depth=1
	s_or_b64 exec, exec, s[80:81]
	s_andn2_b64 s[0:1], s[4:5], exec
	s_and_b64 s[2:3], s[82:83], exec
	s_or_b64 s[4:5], s[0:1], s[2:3]
.LBB0_195:                              ;   in Loop: Header=BB0_13 Depth=1
	s_or_b64 exec, exec, s[68:69]
	s_and_saveexec_b64 s[2:3], s[4:5]
	s_cbranch_execz .LBB0_12
.LBB0_196:                              ;   in Loop: Header=BB0_13 Depth=1
	buffer_load_dword v0, off, s[96:99], 0  ; 4-byte Folded Reload
	buffer_load_dword v1, off, s[96:99], 0 offset:4 ; 4-byte Folded Reload
	s_waitcnt vmcnt(1)
	v_lshl_or_b32 v0, v2, 5, v0
	s_waitcnt vmcnt(0)
	v_ashrrev_i32_e32 v1, 31, v0
	v_lshlrev_b64 v[0:1], 3, v[0:1]
	v_mov_b32_e32 v2, s58
	v_add_co_u32_e32 v0, vcc, s88, v0
	v_addc_co_u32_e32 v1, vcc, v2, v1, vcc
	global_store_dwordx2 v[0:1], v[4:5], off
	s_branch .LBB0_12
.LBB0_197:                              ;   in Loop: Header=BB0_13 Depth=1
                                        ; implicit-def: $vgpr10_vgpr11
                                        ; implicit-def: $vgpr20_vgpr21
                                        ; implicit-def: $vgpr18_vgpr19
                                        ; implicit-def: $vgpr14_vgpr15
                                        ; implicit-def: $vgpr12_vgpr13
	buffer_load_dword v54, off, s[96:99], 0 offset:28 ; 4-byte Folded Reload
	buffer_load_dword v55, off, s[96:99], 0 offset:32 ; 4-byte Folded Reload
	s_branch .LBB0_59
.LBB0_198:                              ;   in Loop: Header=BB0_13 Depth=1
                                        ; implicit-def: $vgpr10_vgpr11
                                        ; implicit-def: $vgpr20_vgpr21
                                        ; implicit-def: $vgpr18_vgpr19
                                        ; implicit-def: $vgpr14_vgpr15
                                        ; implicit-def: $vgpr12_vgpr13
	s_branch .LBB0_148
.LBB0_199:
	s_andn2_b64 vcc, exec, s[2:3]
	s_cbranch_vccnz .LBB0_244
; %bb.200:
	v_readlane_b32 s6, v127, 3
	s_abs_i32 s0, s6
	v_cvt_f32_u32_e32 v0, s0
	s_sub_i32 s3, 0, s0
	s_abs_i32 s2, s50
	s_xor_b32 s1, s50, s6
	v_rcp_iflag_f32_e32 v0, v0
	s_ashr_i32 s1, s1, 31
	v_readlane_b32 s16, v127, 2
	v_readlane_b32 s17, v127, 1
	v_mul_f32_e32 v0, 0x4f7ffffe, v0
	v_cvt_u32_f32_e32 v0, v0
	v_mov_b32_e32 v8, s55
	v_readfirstlane_b32 s4, v0
	s_mul_i32 s3, s3, s4
	s_mul_hi_u32 s3, s4, s3
	s_add_i32 s4, s4, s3
	s_mul_hi_u32 s3, s2, s4
	s_mul_i32 s4, s3, s0
	s_sub_i32 s2, s2, s4
	s_add_i32 s5, s3, 1
	s_sub_i32 s4, s2, s0
	s_cmp_ge_u32 s2, s0
	s_cselect_b32 s3, s5, s3
	s_cselect_b32 s2, s4, s2
	s_add_i32 s4, s3, 1
	s_cmp_ge_u32 s2, s0
	s_cselect_b32 s0, s4, s3
	s_abs_i32 s2, s16
	v_cvt_f32_u32_e32 v0, s2
	s_xor_b32 s0, s0, s1
	s_sub_i32 s4, s0, s1
	s_sub_i32 s3, 0, s2
	v_rcp_iflag_f32_e32 v0, v0
	s_mul_i32 s0, s4, s6
	s_sub_i32 s0, s50, s0
	s_abs_i32 s5, s0
	v_mul_f32_e32 v0, 0x4f7ffffe, v0
	v_cvt_u32_f32_e32 v0, v0
	s_xor_b32 s1, s0, s16
	s_ashr_i32 s1, s1, 31
	v_readfirstlane_b32 s6, v0
	s_mul_i32 s3, s3, s6
	s_mul_hi_u32 s3, s6, s3
	s_add_i32 s6, s6, s3
	s_mul_hi_u32 s3, s5, s6
	s_mul_i32 s6, s3, s2
	s_sub_i32 s5, s5, s6
	s_add_i32 s7, s3, 1
	s_sub_i32 s6, s5, s2
	s_cmp_ge_u32 s5, s2
	s_cselect_b32 s3, s7, s3
	s_cselect_b32 s5, s6, s5
	s_add_i32 s6, s3, 1
	s_cmp_ge_u32 s5, s2
	s_cselect_b32 s2, s6, s3
	s_abs_i32 s3, s17
	v_cvt_f32_u32_e32 v0, s3
	s_xor_b32 s2, s2, s1
	s_sub_i32 s6, 0, s3
	s_sub_i32 s5, s2, s1
	v_rcp_iflag_f32_e32 v0, v0
	s_mul_i32 s1, s5, s16
	s_sub_i32 s1, s0, s1
	s_abs_i32 s2, s1
	v_mul_f32_e32 v0, 0x4f7ffffe, v0
	v_cvt_u32_f32_e32 v0, v0
	s_xor_b32 s0, s1, s17
	s_ashr_i32 s0, s0, 31
	v_readfirstlane_b32 s7, v0
	s_mul_i32 s6, s6, s7
	s_mul_hi_u32 s6, s7, s6
	s_add_i32 s7, s7, s6
	s_mul_hi_u32 s6, s2, s7
	s_mul_i32 s7, s6, s3
	s_sub_i32 s2, s2, s7
	s_add_i32 s16, s6, 1
	s_sub_i32 s7, s2, s3
	s_cmp_ge_u32 s2, s3
	s_cselect_b32 s6, s16, s6
	s_cselect_b32 s2, s7, s2
	s_add_i32 s7, s6, 1
	s_cmp_ge_u32 s2, s3
	s_cselect_b32 s2, s7, s6
	s_xor_b32 s2, s2, s0
	s_sub_i32 s0, s2, s0
	s_mul_i32 s2, s0, s17
	s_sub_i32 s1, s1, s2
	s_ashr_i32 s2, s1, 31
	v_readlane_b32 s3, v127, 14
	s_abs_i32 s1, s1
	s_xor_b32 s2, s2, s3
	s_mul_hi_u32 s3, s1, s46
	s_mul_i32 s6, s3, s93
	s_sub_i32 s1, s1, s6
	s_add_i32 s6, s3, 1
	s_sub_i32 s7, s1, s93
	s_cmp_ge_u32 s1, s93
	s_cselect_b32 s3, s6, s3
	s_cselect_b32 s1, s7, s1
	s_add_i32 s6, s3, 1
	s_cmp_ge_u32 s1, s93
	s_cselect_b32 s1, s6, s3
	s_abs_i32 s6, s42
	v_cvt_f32_u32_e32 v0, s6
	s_xor_b32 s1, s1, s2
	s_sub_i32 s1, s1, s2
	s_cmp_eq_u64 s[18:19], 0
	v_rcp_iflag_f32_e32 v0, v0
	v_mul_f32_e32 v0, 0x4f7ffffe, v0
	v_cvt_u32_f32_e32 v0, v0
	v_readfirstlane_b32 s17, v0
	s_cbranch_scc1 .LBB0_202
; %bb.201:
	v_readlane_b32 s2, v127, 0
	s_mul_i32 s2, s4, s2
	s_add_i32 s2, s1, s2
	s_ashr_i32 s3, s2, 31
	s_lshl_b64 s[2:3], s[2:3], 2
	s_add_u32 s2, s18, s2
	s_addc_u32 s3, s19, s3
	v_mov_b32_e32 v0, 0
	global_load_dword v0, v0, s[2:3]
	s_waitcnt vmcnt(0)
	v_ashrrev_i32_e32 v1, 31, v0
	v_lshrrev_b32_e32 v1, 26, v1
	v_add_u32_e32 v0, v0, v1
	v_ashrrev_i32_e32 v0, 6, v0
	v_min_i32_e32 v8, s55, v0
.LBB0_202:
	buffer_load_dword v0, off, s[96:99], 0 offset:148 ; 4-byte Folded Reload
	v_readlane_b32 s18, v127, 6
	v_readlane_b32 s19, v127, 7
	s_mul_i32 s2, s5, s33
	s_lshl_b32 s0, s0, 2
	s_mul_i32 s3, s4, s19
	s_add_i32 s2, s0, s2
	s_ashr_i32 s7, s3, 31
	s_add_u32 s3, s8, s3
	s_mul_i32 s2, s2, s18
	s_addc_u32 s8, s9, s7
	s_ashr_i32 s9, s2, 31
	s_add_u32 s7, s3, s2
	s_addc_u32 s8, s8, s9
	s_lshl_b32 s16, s1, 4
	s_waitcnt vmcnt(0)
	v_and_b32_e32 v44, 0x3ff, v0
	v_lshrrev_b32_e32 v0, 5, v44
	v_lshl_add_u32 v38, v119, 1, v0
	v_and_b32_e32 v0, 3, v38
	v_lshrrev_b32_e32 v1, 2, v38
	v_or_b32_e32 v2, s0, v0
	v_add_u32_e32 v1, s16, v1
	v_cmp_gt_i32_e64 s[0:1], s33, v2
	v_cmp_le_i32_e32 vcc, s24, v1
	s_xor_b64 s[0:1], s[0:1], -1
	v_and_b32_e32 v40, 31, v44
	s_or_b64 s[2:3], vcc, s[0:1]
	s_and_saveexec_b64 s[18:19], s[2:3]
	s_xor_b64 s[2:3], exec, s[18:19]
	s_cbranch_execz .LBB0_204
; %bb.203:
	v_mad_u32_u24 v1, v38, 36, v40
	v_lshl_add_u32 v1, v1, 2, 0
	v_mov_b32_e32 v2, 0
	ds_write_b32 v1, v2
                                        ; implicit-def: $vgpr1
.LBB0_204:
	s_or_saveexec_b64 s[2:3], s[2:3]
	v_readlane_b32 s25, v127, 15
	s_xor_b64 exec, exec, s[2:3]
	s_cbranch_execz .LBB0_206
; %bb.205:
	v_mul_lo_u32 v1, v1, s51
	v_mul_lo_u32 v2, v0, s25
	v_add3_u32 v2, v2, v40, v1
	v_ashrrev_i32_e32 v3, 31, v2
	v_lshlrev_b64 v[2:3], 3, v[2:3]
	v_mov_b32_e32 v1, s8
	v_add_co_u32_e32 v2, vcc, s7, v2
	v_addc_co_u32_e32 v3, vcc, v1, v3, vcc
	global_load_dwordx2 v[2:3], v[2:3], off
	s_waitcnt vmcnt(0)
	v_cvt_f16_f32_e32 v1, v2
	v_cvt_f16_f32_e32 v2, v3
	v_mad_u32_u24 v3, v38, 36, v40
	v_pack_b32_f16 v1, v1, v2
	v_pk_mul_f16 v1, v41, v1
	v_lshl_add_u32 v2, v3, 2, 0
	ds_write_b32 v2, v1
.LBB0_206:
	s_or_b64 exec, exec, s[2:3]
	v_add_u32_e32 v101, 8, v38
	v_lshrrev_b32_e32 v1, 2, v101
	v_add_u32_e32 v1, s16, v1
	v_cmp_le_i32_e32 vcc, s24, v1
	s_or_b64 s[2:3], vcc, s[0:1]
	s_and_saveexec_b64 s[18:19], s[2:3]
	s_xor_b64 s[2:3], exec, s[18:19]
	s_cbranch_execz .LBB0_208
; %bb.207:
	v_mad_u32_u24 v1, v101, 36, v40
	v_lshl_add_u32 v1, v1, 2, 0
	v_mov_b32_e32 v2, 0
	ds_write_b32 v1, v2
                                        ; implicit-def: $vgpr1
.LBB0_208:
	s_andn2_saveexec_b64 s[2:3], s[2:3]
	s_cbranch_execz .LBB0_210
; %bb.209:
	v_mul_lo_u32 v1, v1, s51
	v_mul_lo_u32 v2, v0, s25
	v_add3_u32 v2, v2, v40, v1
	v_ashrrev_i32_e32 v3, 31, v2
	v_lshlrev_b64 v[2:3], 3, v[2:3]
	v_mov_b32_e32 v1, s8
	v_add_co_u32_e32 v2, vcc, s7, v2
	v_addc_co_u32_e32 v3, vcc, v1, v3, vcc
	global_load_dwordx2 v[2:3], v[2:3], off
	s_waitcnt vmcnt(0)
	v_cvt_f16_f32_e32 v1, v2
	v_cvt_f16_f32_e32 v2, v3
	v_mad_u32_u24 v3, v101, 36, v40
	v_pack_b32_f16 v1, v1, v2
	v_pk_mul_f16 v1, v41, v1
	v_lshl_add_u32 v2, v3, 2, 0
	ds_write_b32 v2, v1
.LBB0_210:
	s_or_b64 exec, exec, s[2:3]
	v_add_u32_e32 v102, 16, v38
	v_lshrrev_b32_e32 v1, 2, v102
	v_add_u32_e32 v1, s16, v1
	v_cmp_le_i32_e32 vcc, s24, v1
	s_or_b64 s[2:3], vcc, s[0:1]
	s_and_saveexec_b64 s[18:19], s[2:3]
	s_xor_b64 s[2:3], exec, s[18:19]
	s_cbranch_execz .LBB0_212
; %bb.211:
	v_mad_u32_u24 v1, v102, 36, v40
	v_lshl_add_u32 v1, v1, 2, 0
	v_mov_b32_e32 v2, 0
	ds_write_b32 v1, v2
                                        ; implicit-def: $vgpr1
.LBB0_212:
	s_andn2_saveexec_b64 s[2:3], s[2:3]
	;; [unrolled: 37-line block ×4, first 2 shown]
	s_cbranch_execz .LBB0_222
; %bb.221:
	v_mul_lo_u32 v1, v1, s51
	v_mul_lo_u32 v2, v0, s25
	v_add3_u32 v2, v2, v40, v1
	v_ashrrev_i32_e32 v3, 31, v2
	v_lshlrev_b64 v[2:3], 3, v[2:3]
	v_mov_b32_e32 v1, s8
	v_add_co_u32_e32 v2, vcc, s7, v2
	v_addc_co_u32_e32 v3, vcc, v1, v3, vcc
	global_load_dwordx2 v[2:3], v[2:3], off
	s_waitcnt vmcnt(0)
	v_cvt_f16_f32_e32 v1, v2
	v_cvt_f16_f32_e32 v2, v3
	v_mad_u32_u24 v3, v45, 36, v40
	v_pack_b32_f16 v1, v1, v2
	v_pk_mul_f16 v1, v41, v1
	v_lshl_add_u32 v2, v3, 2, 0
	ds_write_b32 v2, v1
.LBB0_222:
	s_or_b64 exec, exec, s[2:3]
	v_add_u32_e32 v104, 40, v38
	v_lshrrev_b32_e32 v1, 2, v104
	v_add_u32_e32 v1, s16, v1
	v_cmp_le_i32_e32 vcc, s24, v1
	s_sub_i32 s9, 0, s6
	s_or_b64 s[2:3], vcc, s[0:1]
	s_and_saveexec_b64 s[18:19], s[2:3]
	s_xor_b64 s[2:3], exec, s[18:19]
	s_cbranch_execz .LBB0_224
; %bb.223:
	v_mad_u32_u24 v1, v104, 36, v40
	v_lshl_add_u32 v1, v1, 2, 0
	v_mov_b32_e32 v2, 0
	ds_write_b32 v1, v2
                                        ; implicit-def: $vgpr1
.LBB0_224:
	s_or_saveexec_b64 s[2:3], s[2:3]
	s_mul_i32 s9, s9, s17
	s_xor_b64 exec, exec, s[2:3]
	s_cbranch_execz .LBB0_226
; %bb.225:
	v_mul_lo_u32 v1, v1, s51
	v_mul_lo_u32 v2, v0, s25
	v_add3_u32 v2, v2, v40, v1
	v_ashrrev_i32_e32 v3, 31, v2
	v_lshlrev_b64 v[2:3], 3, v[2:3]
	v_mov_b32_e32 v1, s8
	v_add_co_u32_e32 v2, vcc, s7, v2
	v_addc_co_u32_e32 v3, vcc, v1, v3, vcc
	global_load_dwordx2 v[2:3], v[2:3], off
	s_waitcnt vmcnt(0)
	v_cvt_f16_f32_e32 v1, v2
	v_cvt_f16_f32_e32 v2, v3
	v_mad_u32_u24 v3, v104, 36, v40
	v_pack_b32_f16 v1, v1, v2
	v_pk_mul_f16 v1, v41, v1
	v_lshl_add_u32 v2, v3, 2, 0
	ds_write_b32 v2, v1
.LBB0_226:
	s_or_b64 exec, exec, s[2:3]
	v_add_u32_e32 v47, 48, v38
	v_lshrrev_b32_e32 v1, 2, v47
	v_add_u32_e32 v1, s16, v1
	v_cmp_le_i32_e32 vcc, s24, v1
	s_mul_hi_u32 s9, s17, s9
	s_or_b64 s[2:3], vcc, s[0:1]
	s_and_saveexec_b64 s[18:19], s[2:3]
	s_xor_b64 s[2:3], exec, s[18:19]
	s_cbranch_execz .LBB0_228
; %bb.227:
	v_mad_u32_u24 v1, v47, 36, v40
	v_lshl_add_u32 v1, v1, 2, 0
	v_mov_b32_e32 v2, 0
	ds_write_b32 v1, v2
                                        ; implicit-def: $vgpr1
.LBB0_228:
	s_or_saveexec_b64 s[2:3], s[2:3]
	s_abs_i32 s18, s4
	s_add_i32 s17, s17, s9
	s_xor_b64 exec, exec, s[2:3]
	s_cbranch_execz .LBB0_230
; %bb.229:
	v_mul_lo_u32 v1, v1, s51
	v_mul_lo_u32 v2, v0, s25
	v_add3_u32 v2, v2, v40, v1
	v_ashrrev_i32_e32 v3, 31, v2
	v_lshlrev_b64 v[2:3], 3, v[2:3]
	v_mov_b32_e32 v1, s8
	v_add_co_u32_e32 v2, vcc, s7, v2
	v_addc_co_u32_e32 v3, vcc, v1, v3, vcc
	global_load_dwordx2 v[2:3], v[2:3], off
	s_waitcnt vmcnt(0)
	v_cvt_f16_f32_e32 v1, v2
	v_cvt_f16_f32_e32 v2, v3
	v_mad_u32_u24 v3, v47, 36, v40
	v_pack_b32_f16 v1, v1, v2
	v_pk_mul_f16 v1, v41, v1
	v_lshl_add_u32 v2, v3, 2, 0
	ds_write_b32 v2, v1
.LBB0_230:
	s_or_b64 exec, exec, s[2:3]
	v_add_u32_e32 v105, 56, v38
	v_lshrrev_b32_e32 v1, 2, v105
	v_add_u32_e32 v1, s16, v1
	v_cmp_le_i32_e32 vcc, s24, v1
	s_mul_hi_u32 s2, s18, s17
	s_or_b64 s[0:1], vcc, s[0:1]
	s_and_saveexec_b64 s[20:21], s[0:1]
	s_xor_b64 s[0:1], exec, s[20:21]
	s_cbranch_execz .LBB0_232
; %bb.231:
	v_mad_u32_u24 v0, v105, 36, v40
	v_lshl_add_u32 v0, v0, 2, 0
	v_mov_b32_e32 v1, 0
	ds_write_b32 v0, v1
                                        ; implicit-def: $vgpr1
                                        ; implicit-def: $vgpr0
                                        ; implicit-def: $vgpr41
.LBB0_232:
	s_or_saveexec_b64 s[0:1], s[0:1]
	s_ashr_i32 s3, s4, 31
	s_xor_b64 exec, exec, s[0:1]
	s_cbranch_execz .LBB0_234
; %bb.233:
	v_mul_lo_u32 v1, v1, s51
	v_mul_lo_u32 v0, v0, s25
	v_add3_u32 v0, v0, v40, v1
	v_ashrrev_i32_e32 v1, 31, v0
	v_lshlrev_b64 v[0:1], 3, v[0:1]
	v_mov_b32_e32 v2, s8
	v_add_co_u32_e32 v0, vcc, s7, v0
	v_addc_co_u32_e32 v1, vcc, v2, v1, vcc
	global_load_dwordx2 v[0:1], v[0:1], off
	v_mad_u32_u24 v2, v105, 36, v40
	s_waitcnt vmcnt(0)
	v_cvt_f16_f32_e32 v0, v0
	v_cvt_f16_f32_e32 v1, v1
	v_pack_b32_f16 v0, v0, v1
	v_pk_mul_f16 v0, v41, v0
	v_lshl_add_u32 v1, v2, 2, 0
	ds_write_b32 v1, v0
.LBB0_234:
	s_or_b64 exec, exec, s[0:1]
	s_mul_i32 s0, s4, s29
	s_mul_hi_u32 s1, s4, s28
	s_add_i32 s0, s1, s0
	s_mul_i32 s1, s3, s28
	v_readlane_b32 s8, v127, 12
	s_add_i32 s0, s0, s1
	s_mul_i32 s1, s4, s28
	v_readlane_b32 s9, v127, 13
	s_add_u32 s1, s10, s1
	s_mul_i32 s7, s5, s9
	s_addc_u32 s0, s11, s0
	s_ashr_i32 s9, s7, 31
	s_add_u32 s8, s1, s7
	s_mul_i32 s2, s2, s6
	s_addc_u32 s9, s0, s9
	s_sub_i32 s0, s18, s2
	s_sub_i32 s1, s0, s6
	s_cmp_ge_u32 s0, s6
	s_cselect_b32 s0, s1, s0
	s_sub_i32 s1, s0, s6
	s_cmp_ge_u32 s0, s6
	s_cselect_b32 s0, s1, s0
	s_xor_b32 s0, s0, s3
	s_sub_i32 s0, s0, s3
	s_ashr_i32 s1, s0, 31
	s_mul_i32 s2, s0, s45
	s_mul_hi_u32 s6, s0, s44
	s_add_i32 s2, s6, s2
	s_mul_i32 s1, s1, s44
	v_readlane_b32 s6, v127, 10
	s_add_i32 s2, s2, s1
	s_mul_i32 s0, s0, s44
	v_readlane_b32 s7, v127, 11
	s_add_u32 s10, s14, s0
	s_mul_i32 s0, s4, s7
	s_mul_hi_u32 s1, s4, s6
	s_addc_u32 s11, s15, s2
	s_add_i32 s0, s1, s0
	s_mul_i32 s3, s3, s6
	s_add_i32 s0, s0, s3
	s_mul_i32 s4, s4, s6
	s_add_u32 s1, s12, s4
	s_mul_i32 s5, s5, s31
	s_addc_u32 s0, s13, s0
	s_ashr_i32 s2, s5, 31
	s_add_u32 s6, s1, s5
	v_lshrrev_b32_e32 v9, 3, v44
	s_addc_u32 s7, s0, s2
	s_movk_i32 s0, 0x900
	v_and_b32_e32 v41, 15, v44
	v_and_b32_e32 v106, 0x7e, v9
	v_mad_u32_u24 v0, v119, s0, 0
	v_mul_u32_u24_e32 v35, 0x90, v41
	v_lshlrev_b32_e32 v37, 2, v106
	v_add3_u32 v0, v0, v35, v37
	s_waitcnt lgkmcnt(0)
	s_barrier
	ds_read2_b64 v[4:7], v0 offset1:4
	ds_read2_b64 v[0:3], v0 offset0:8 offset1:12
	v_add_u32_e32 v75, -1, v8
	v_cmp_lt_i32_e32 vcc, s70, v75
	v_lshlrev_b32_e32 v8, 1, v44
	s_mov_b32 s12, 0
	s_movk_i32 s0, 0x90
	v_and_b32_e32 v8, 62, v8
	v_mov_b32_e32 v25, 0
	s_waitcnt lgkmcnt(0)
	s_barrier
	s_cbranch_vccnz .LBB0_236
; %bb.235:
	v_add_u32_e32 v10, s16, v38
	v_mul_hi_u32 v11, s38, v10
	v_add_u32_e32 v11, v10, v11
	v_lshrrev_b32_e32 v11, s39, v11
	v_mul_lo_u32 v11, v11, s24
	v_sub_u32_e32 v10, v10, v11
	v_mad_i64_i32 v[26:27], s[2:3], v10, s40, 0
	v_add_u32_e32 v10, s16, v101
	v_mul_hi_u32 v11, s38, v10
	v_add_u32_e32 v11, v10, v11
	v_lshrrev_b32_e32 v11, s39, v11
	v_mul_lo_u32 v11, v11, s24
	v_sub_u32_e32 v10, v10, v11
	v_mov_b32_e32 v11, 0x480
	v_mad_u32_u24 v62, v38, s0, v11
	v_lshlrev_b32_e32 v11, 2, v44
	v_mad_i64_i32 v[28:29], s[2:3], v10, s40, 0
	v_lshl_add_u32 v10, v119, 3, v9
	v_and_b32_e32 v24, 28, v11
	v_mov_b32_e32 v11, 0x1200
	v_lshlrev_b32_e32 v50, 4, v119
	v_mad_u32_u24 v72, v10, s0, v11
	v_lshrrev_b32_e32 v11, 2, v44
	v_and_or_b32 v13, v44, 12, v50
	v_and_b32_e32 v12, 0xfc, v11
	v_lshrrev_b32_e32 v13, 2, v13
	v_mul_u32_u24_e32 v64, 0x90, v13
	v_add_u32_e32 v13, 16, v12
	v_lshrrev_b32_e32 v67, 1, v13
	v_add_u32_e32 v13, 18, v12
	v_lshrrev_b32_e32 v68, 1, v13
	;; [unrolled: 2-line block ×6, first 2 shown]
	v_mbcnt_lo_u32_b32 v13, -1, 0
	v_mul_u32_u24_e32 v63, 0x90, v10
	v_mul_lo_u32 v30, s36, v10
	v_mbcnt_hi_u32_b32 v58, -1, v13
	v_mul_lo_u32 v20, s26, v10
	v_mul_u32_u24_e32 v10, 0x48, v12
	v_lshl_add_u32 v32, s36, 5, v30
	v_and_b32_e32 v13, 64, v58
	v_lshl_add_u32 v22, s26, 5, v20
	v_or_b32_e32 v52, v10, v41
	v_or_b32_e32 v10, 3, v11
	v_mul_u32_u24_e32 v61, 0x90, v38
	s_ashr_i32 s3, s36, 31
	v_ashrrev_i32_e32 v31, 31, v30
	v_ashrrev_i32_e32 v33, 31, v32
	v_lshrrev_b32_e32 v65, 1, v12
	v_or_b32_e32 v66, 1, v9
	v_add_u32_e32 v59, 64, v13
	v_xor_b32_e32 v73, 32, v58
	v_xor_b32_e32 v60, 16, v58
	s_ashr_i32 s1, s26, 31
	v_ashrrev_i32_e32 v21, 31, v20
	v_ashrrev_i32_e32 v23, 31, v22
	v_mul_u32_u24_e32 v53, 0x90, v12
	v_add_u32_e32 v54, 0x90, v52
	v_mul_u32_u24_e32 v55, 0x90, v10
	s_mov_b64 s[4:5], 0
	s_mov_b32 s13, 0xfeffffff
	s_branch .LBB0_237
.LBB0_236:
	s_mov_b64 s[4:5], -1
                                        ; implicit-def: $sgpr12
                                        ; implicit-def: $sgpr13
                                        ; implicit-def: $vgpr61
                                        ; implicit-def: $vgpr26_vgpr27
                                        ; implicit-def: $vgpr62
                                        ; implicit-def: $vgpr28_vgpr29
                                        ; implicit-def: $vgpr63
                                        ; implicit-def: $vgpr24
                                        ; implicit-def: $vgpr30_vgpr31
                                        ; implicit-def: $vgpr72
                                        ; implicit-def: $vgpr32_vgpr33
                                        ; implicit-def: $vgpr50
                                        ; implicit-def: $vgpr64
                                        ; implicit-def: $vgpr65
                                        ; implicit-def: $vgpr66
                                        ; implicit-def: $vgpr67
                                        ; implicit-def: $vgpr68
                                        ; implicit-def: $vgpr69
                                        ; implicit-def: $vgpr70
                                        ; implicit-def: $vgpr71
                                        ; implicit-def: $vgpr74
                                        ; implicit-def: $vgpr58
                                        ; implicit-def: $vgpr59
                                        ; implicit-def: $vgpr73
                                        ; implicit-def: $vgpr60
                                        ; implicit-def: $vgpr20_vgpr21
                                        ; implicit-def: $vgpr22_vgpr23
                                        ; implicit-def: $vgpr52
                                        ; implicit-def: $vgpr53
                                        ; implicit-def: $vgpr54
                                        ; implicit-def: $vgpr55
                                        ; implicit-def: $sgpr2_sgpr3
                                        ; implicit-def: $sgpr0_sgpr1
.LBB0_237:
	s_andn2_b64 vcc, exec, s[4:5]
	v_mov_b32_e32 v113, s12
	v_mov_b32_e32 v36, s12
	;; [unrolled: 1-line block ×3, first 2 shown]
	v_lshlrev_b32_e32 v76, 1, v8
	v_lshlrev_b32_e32 v51, 1, v41
	v_mov_b32_e32 v114, s12
	v_mov_b32_e32 v111, s12
	;; [unrolled: 1-line block ×7, first 2 shown]
	s_cbranch_vccnz .LBB0_241
; %bb.238:
	v_mov_b32_e32 v10, s11
	v_add_co_u32_e32 v77, vcc, s10, v76
	v_addc_co_u32_e32 v78, vcc, 0, v10, vcc
	v_add_u32_e32 v10, s16, v38
	v_mul_hi_u32 v11, s38, v10
	v_add_u32_e32 v11, v10, v11
	v_lshrrev_b32_e32 v11, s39, v11
	v_mul_lo_u32 v11, v11, s24
	v_sub_u32_e32 v10, v10, v11
	v_mad_i64_i32 v[26:27], s[0:1], v10, s40, 0
	v_add_u32_e32 v10, s16, v101
	v_mul_hi_u32 v11, s38, v10
	v_add_u32_e32 v11, v10, v11
	v_lshrrev_b32_e32 v11, s39, v11
	v_mul_lo_u32 v11, v11, s24
	s_movk_i32 s2, 0x90
	v_sub_u32_e32 v10, v10, v11
	v_mov_b32_e32 v11, 0x480
	v_mad_u32_u24 v62, v38, s2, v11
	v_lshlrev_b32_e32 v11, 2, v44
	v_mad_i64_i32 v[28:29], s[0:1], v10, s40, 0
	v_lshl_add_u32 v10, v119, 3, v9
	v_and_b32_e32 v24, 28, v11
	v_mul_u32_u24_e32 v63, 0x90, v10
	v_lshlrev_b32_e32 v11, 2, v24
	v_add3_u32 v79, 0, v63, v11
	v_mov_b32_e32 v11, 0x1200
	v_mad_u32_u24 v72, v10, s2, v11
	v_lshrrev_b32_e32 v11, 2, v44
	v_and_b32_e32 v12, 0xfc, v11
	v_mul_lo_u32 v30, s36, v10
	v_mul_lo_u32 v20, s26, v10
	v_mul_u32_u24_e32 v10, 0x48, v12
	v_or_b32_e32 v52, v10, v41
	v_or_b32_e32 v10, 3, v11
	v_mul_u32_u24_e32 v55, 0x90, v10
	v_lshlrev_b32_e32 v10, 1, v52
	s_add_i32 s0, 0, 0x900
	v_lshlrev_b32_e32 v50, 4, v119
	v_add_u32_e32 v89, s0, v10
	s_add_i32 s0, 0, 0x1200
	v_and_or_b32 v13, v44, 12, v50
	v_add_u32_e32 v90, s0, v10
	s_add_i32 s0, 0, 0x1b00
	v_lshrrev_b32_e32 v13, 2, v13
	v_add_u32_e32 v14, 18, v12
	v_add_u32_e32 v15, 34, v12
	;; [unrolled: 1-line block ×3, first 2 shown]
	s_add_i32 s0, 0, 0x920
	v_mul_u32_u24_e32 v64, 0x90, v13
	v_mad_u32_u24 v13, v13, s2, 0
	v_or_b32_e32 v66, 1, v9
	v_add_u32_e32 v9, 16, v12
	v_lshrrev_b32_e32 v68, 1, v14
	v_add_u32_e32 v14, 32, v12
	v_lshrrev_b32_e32 v70, 1, v15
	v_add_u32_e32 v15, 48, v12
	v_add_u32_e32 v93, s0, v10
	s_add_i32 s0, 0, 0x1220
	v_lshl_add_u32 v82, v12, 1, v13
	v_lshl_add_u32 v83, v66, 2, v13
	v_lshrrev_b32_e32 v67, 1, v9
	v_lshl_add_u32 v9, v9, 1, v13
	v_lshrrev_b32_e32 v69, 1, v14
	;; [unrolled: 2-line block ×3, first 2 shown]
	v_lshl_add_u32 v13, v15, 1, v13
	v_add_u32_e32 v15, 50, v12
	v_add_u32_e32 v94, s0, v10
	s_add_i32 s0, 0, 0x1b20
	v_lshrrev_b32_e32 v74, 1, v15
	v_mbcnt_lo_u32_b32 v15, -1, 0
	v_add_u32_e32 v95, s0, v10
	s_add_i32 s0, 0, 0x940
	v_mbcnt_hi_u32_b32 v58, -1, v15
	v_add_u32_e32 v97, s0, v10
	s_add_i32 s0, 0, 0x1240
	v_and_b32_e32 v15, 64, v58
	v_add_u32_e32 v98, s0, v10
	s_add_i32 s0, 0, 0x1b40
	v_add_u32_e32 v59, 64, v15
	v_xor_b32_e32 v73, 32, v58
	v_add_u32_e32 v99, s0, v10
	s_add_i32 s0, 0, 0x60
	v_cmp_lt_i32_e32 vcc, v73, v59
	v_xor_b32_e32 v60, 16, v58
	v_add_u32_e32 v100, s0, v10
	s_add_i32 s0, 0, 0x960
	v_cndmask_b32_e32 v15, v58, v73, vcc
	v_cmp_lt_i32_e32 vcc, v60, v59
	v_add_u32_e32 v101, s0, v10
	s_add_i32 s0, 0, 0x1260
	v_add_u32_e32 v8, 0, v76
	v_mov_b32_e32 v25, 0
	v_mul_u32_u24_e32 v61, 0x90, v38
	v_lshl_add_u32 v32, s36, 5, v30
	v_lshlrev_b32_e32 v84, 2, v15
	v_cndmask_b32_e32 v15, v58, v60, vcc
	v_lshl_add_u32 v22, s26, 5, v20
	v_mul_u32_u24_e32 v53, 0x90, v12
	v_add_u32_e32 v102, s0, v10
	s_add_i32 s0, 0, 0x1b60
	buffer_store_dword v106, off, s[96:99], 0 ; 4-byte Folded Spill
	s_ashr_i32 s3, s36, 31
	v_ashrrev_i32_e32 v31, 31, v30
	v_add_u32_e32 v80, 0x1200, v79
	v_ashrrev_i32_e32 v33, 31, v32
	v_add3_u32 v81, 0, v35, v37
	v_lshrrev_b32_e32 v65, 1, v12
	v_lshlrev_b32_e32 v85, 2, v15
	s_ashr_i32 s1, s26, 31
	v_ashrrev_i32_e32 v21, 31, v20
	v_ashrrev_i32_e32 v23, 31, v22
	v_add_u32_e32 v86, 0, v10
	v_add3_u32 v87, 0, v53, v51
	v_add3_u32 v88, 0, v55, v51
	;; [unrolled: 1-line block ×4, first 2 shown]
	v_add_u32_e32 v103, s0, v10
	s_lshl_b32 s4, s70, 6
	v_mov_b32_e32 v12, 0xfeffffff
	v_add_u32_e32 v104, v8, v61
	v_lshlrev_b32_e32 v105, 2, v24
	v_add_u32_e32 v106, 0x2400, v9
	v_add_u32_e32 v107, 0x2400, v14
	;; [unrolled: 1-line block ×3, first 2 shown]
	s_mov_b32 s0, 0x3fb8aa3b
	s_mov_b32 s2, 0xc2ce8ed0
	s_mov_b32 s12, 0x42b17218
	s_mov_b32 s13, 0xc1a00000
	s_mov_b32 s14, 0x5040100
	v_mov_b32_e32 v109, 0x7f800000
	v_mov_b32_e32 v36, v25
	;; [unrolled: 1-line block ×10, first 2 shown]
	buffer_store_dword v37, off, s[96:99], 0 offset:8 ; 4-byte Folded Spill
.LBB0_239:                              ; =>This Inner Loop Header: Depth=1
	s_ashr_i32 s5, s4, 31
	s_lshl_b64 s[16:17], s[4:5], 1
	s_nop 1
	v_add_co_u32_e32 v10, vcc, s16, v77
	v_mov_b32_e32 v8, s17
	v_addc_co_u32_e32 v11, vcc, v78, v8, vcc
	v_lshlrev_b64 v[8:9], 1, v[26:27]
	v_add_co_u32_e32 v8, vcc, v10, v8
	v_addc_co_u32_e32 v9, vcc, v11, v9, vcc
	global_load_dword v8, v[8:9], off
	s_mul_hi_i32 s17, s4, s36
	s_mul_i32 s16, s4, s36
	s_lshl_b64 s[16:17], s[16:17], 2
	s_add_u32 s5, s8, s16
	s_addc_u32 s15, s9, s17
	v_mov_b32_e32 v119, v12
	v_add_u32_e32 v34, 0x800, v81
	v_add_u32_e32 v48, 0x1000, v81
	v_mov_b32_e32 v118, v36
	s_mul_hi_i32 s17, s4, s26
	s_mul_i32 s16, s4, s26
	s_lshl_b64 s[16:17], s[16:17], 2
	s_waitcnt vmcnt(0)
	ds_write_b32 v104, v8 offset:9216
	v_lshlrev_b64 v[8:9], 1, v[28:29]
	v_add_co_u32_e32 v8, vcc, v10, v8
	v_addc_co_u32_e32 v9, vcc, v11, v9, vcc
	global_load_dword v8, v[8:9], off
	v_mov_b32_e32 v10, s15
	s_waitcnt vmcnt(0)
	ds_write_b32 v104, v8 offset:10368
	v_lshlrev_b64 v[8:9], 2, v[30:31]
	v_add_co_u32_e32 v8, vcc, s5, v8
	v_addc_co_u32_e32 v9, vcc, v10, v9, vcc
	v_add_co_u32_e32 v8, vcc, v8, v105
	v_addc_co_u32_e32 v9, vcc, 0, v9, vcc
	global_load_dwordx4 v[8:11], v[8:9], off
	s_waitcnt vmcnt(0)
	ds_write_b128 v79, v[8:11]
	v_lshlrev_b64 v[8:9], 2, v[32:33]
	v_add_co_u32_e32 v8, vcc, s5, v8
	v_mov_b32_e32 v10, s15
	v_addc_co_u32_e32 v9, vcc, v10, v9, vcc
	v_add_co_u32_e32 v8, vcc, v8, v105
	v_addc_co_u32_e32 v9, vcc, 0, v9, vcc
	global_load_dwordx4 v[8:11], v[8:9], off
	s_add_u32 s5, s6, s16
	s_addc_u32 s15, s7, s17
	s_add_i32 s70, s70, 1
	s_add_i32 s4, s4, 64
	s_waitcnt vmcnt(0)
	ds_write_b128 v80, v[8:11]
	s_waitcnt lgkmcnt(0)
	s_barrier
	ds_read2_b64 v[8:11], v81 offset1:4
	s_waitcnt lgkmcnt(0)
	v_mfma_f32_16x16x16f16 v[12:15], v[8:9], v[4:5], 0
	v_mfma_f32_16x16x16f16 v[8:11], v[10:11], v[6:7], v[12:15]
	s_nop 7
	s_nop 1
	ds_read2_b64 v[12:15], v81 offset0:8 offset1:12
	s_waitcnt lgkmcnt(0)
	v_mfma_f32_16x16x16f16 v[8:11], v[12:13], v[0:1], v[8:11]
	v_mfma_f32_16x16x16f16 v[8:11], v[14:15], v[2:3], v[8:11]
	ds_read2_b64 v[12:15], v34 offset0:32 offset1:36
	s_waitcnt lgkmcnt(0)
	v_mfma_f32_16x16x16f16 v[16:19], v[12:13], v[4:5], 0
	v_mfma_f32_16x16x16f16 v[12:15], v[14:15], v[6:7], v[16:19]
	s_nop 7
	s_nop 1
	ds_read2_b64 v[16:19], v34 offset0:40 offset1:44
	s_waitcnt lgkmcnt(0)
	v_mfma_f32_16x16x16f16 v[12:15], v[16:17], v[0:1], v[12:15]
	v_mfma_f32_16x16x16f16 v[12:15], v[18:19], v[2:3], v[12:15]
	ds_read2_b64 v[16:19], v48 offset0:64 offset1:68
	s_waitcnt lgkmcnt(0)
	v_mfma_f32_16x16x16f16 v[34:37], v[16:17], v[4:5], 0
	v_mfma_f32_16x16x16f16 v[16:19], v[18:19], v[6:7], v[34:37]
	s_nop 7
	s_nop 1
	ds_read2_b64 v[34:37], v48 offset0:72 offset1:76
	s_waitcnt lgkmcnt(0)
	v_mfma_f32_16x16x16f16 v[16:19], v[34:35], v[0:1], v[16:19]
	v_add_u32_e32 v48, 0x1800, v81
	v_mfma_f32_16x16x16f16 v[16:19], v[36:37], v[2:3], v[16:19]
	ds_read2_b64 v[34:37], v48 offset0:96 offset1:100
	s_waitcnt lgkmcnt(0)
	v_mfma_f32_16x16x16f16 v[120:123], v[34:35], v[4:5], 0
	v_mfma_f32_16x16x16f16 v[34:37], v[36:37], v[6:7], v[120:123]
	s_nop 7
	s_nop 1
	ds_read2_b64 v[120:123], v48 offset0:104 offset1:108
	s_waitcnt lgkmcnt(0)
	v_mfma_f32_16x16x16f16 v[34:37], v[120:121], v[0:1], v[34:37]
	s_barrier
	v_mfma_f32_16x16x16f16 v[120:123], v[122:123], v[2:3], v[34:37]
	ds_read_b32 v43, v82 offset:9216
	ds_read_b32 v46, v83 offset:9216
	ds_read2_b32 v[124:125], v106 offset1:1
	ds_read2_b32 v[48:49], v107 offset1:1
	s_nop 4
	ds_read2_b32 v[36:37], v108 offset1:1
	s_waitcnt lgkmcnt(0)
	v_cvt_f32_f16_e32 v34, v37
	v_cvt_f32_f16_sdwa v35, v37 dst_sel:DWORD dst_unused:UNUSED_PAD src0_sel:WORD_1
	v_pk_add_f32 v[34:35], v[122:123], v[34:35]
	v_cvt_f32_f16_e32 v122, v36
	v_cvt_f32_f16_sdwa v123, v36 dst_sel:DWORD dst_unused:UNUSED_PAD src0_sel:WORD_1
	v_add_f32_e32 v126, 0x40051340, v34
	v_add_f32_e32 v56, 0x40051340, v35
	v_pk_add_f32 v[36:37], v[120:121], v[122:123]
	v_cvt_f32_f16_e32 v120, v49
	v_cvt_f32_f16_sdwa v121, v49 dst_sel:DWORD dst_unused:UNUSED_PAD src0_sel:WORD_1
	v_cvt_f32_f16_sdwa v49, v125 dst_sel:DWORD dst_unused:UNUSED_PAD src0_sel:WORD_1
	v_add_f32_e32 v122, 0x40051340, v36
	v_add_f32_e32 v123, 0x40051340, v37
	v_pk_add_f32 v[18:19], v[18:19], v[120:121]
	v_cvt_f32_f16_e32 v120, v48
	v_cvt_f32_f16_sdwa v121, v48 dst_sel:DWORD dst_unused:UNUSED_PAD src0_sel:WORD_1
	v_cvt_f32_f16_e32 v48, v125
	v_add_f32_e32 v57, 0x40051340, v18
	v_add_f32_e32 v51, 0x40051340, v19
	v_pk_add_f32 v[16:17], v[16:17], v[120:121]
	v_pk_add_f32 v[14:15], v[14:15], v[48:49]
	v_cvt_f32_f16_e32 v48, v124
	v_cvt_f32_f16_sdwa v49, v124 dst_sel:DWORD dst_unused:UNUSED_PAD src0_sel:WORD_1
	v_add_f32_e32 v125, 0x40051340, v14
	v_add_f32_e32 v54, 0x40051340, v15
	v_add_f32_e32 v120, 0x40051340, v16
	v_pk_add_f32 v[48:49], v[12:13], v[48:49]
	v_cvt_f32_f16_sdwa v13, v46 dst_sel:DWORD dst_unused:UNUSED_PAD src0_sel:WORD_1
	v_cvt_f32_f16_e32 v12, v46
	v_add_f32_e32 v124, 0x40051340, v48
	v_add_f32_e32 v39, 0x40051340, v49
	;; [unrolled: 1-line block ×3, first 2 shown]
	v_pk_add_f32 v[10:11], v[10:11], v[12:13]
	v_cvt_f32_f16_sdwa v13, v43 dst_sel:DWORD dst_unused:UNUSED_PAD src0_sel:WORD_1
	v_cvt_f32_f16_e32 v12, v43
	v_add_f32_e32 v46, 0x40051340, v10
	v_add_f32_e32 v42, 0x40051340, v11
	v_pk_add_f32 v[8:9], v[8:9], v[12:13]
	v_add_f32_e32 v12, 0x40051340, v8
	v_add_f32_e32 v13, 0x40051340, v9
	v_max3_f32 v12, v119, v12, v13
	v_max3_f32 v12, v12, v46, v42
	;; [unrolled: 1-line block ×8, first 2 shown]
	ds_bpermute_b32 v13, v84, v12
	s_waitcnt lgkmcnt(0)
	v_max_f32_e32 v13, v13, v13
	v_max_f32_e32 v12, v12, v13
	ds_bpermute_b32 v13, v85, v12
	s_waitcnt lgkmcnt(0)
	v_max_f32_e32 v13, v13, v13
	v_max_f32_e32 v12, v12, v13
	v_pk_add_f32 v[8:9], v[8:9], v[12:13] op_sel_hi:[1,0] neg_lo:[0,1] neg_hi:[0,1]
	v_mul_f32_e32 v13, 0x3fb8aa3b, v9
	v_fma_f32 v39, v9, s0, -v13
	v_rndne_f32_e32 v42, v13
	v_fmac_f32_e32 v39, 0x32a5705f, v9
	v_sub_f32_e32 v13, v13, v42
	v_add_f32_e32 v13, v13, v39
	v_exp_f32_e32 v13, v13
	v_cvt_i32_f32_e32 v39, v42
	v_cmp_ngt_f32_e32 vcc, s2, v9
	v_ldexp_f32 v13, v13, v39
	v_cndmask_b32_e32 v13, 0, v13, vcc
	v_cmp_nlt_f32_e32 vcc, s12, v9
	v_mul_f32_e32 v9, 0x3fb8aa3b, v8
	v_cndmask_b32_e32 v39, v109, v13, vcc
	v_fma_f32 v13, v8, s0, -v9
	v_rndne_f32_e32 v42, v9
	v_fmac_f32_e32 v13, 0x32a5705f, v8
	v_sub_f32_e32 v9, v9, v42
	v_add_f32_e32 v9, v9, v13
	v_exp_f32_e32 v9, v9
	v_cvt_i32_f32_e32 v13, v42
	v_cmp_ngt_f32_e32 vcc, s2, v8
	v_ldexp_f32 v9, v9, v13
	v_cndmask_b32_e32 v9, 0, v9, vcc
	v_cmp_nlt_f32_e32 vcc, s12, v8
	v_cndmask_b32_e32 v42, v109, v9, vcc
	v_pk_add_f32 v[8:9], v[10:11], v[12:13] op_sel_hi:[1,0] neg_lo:[0,1] neg_hi:[0,1]
	v_mul_f32_e32 v10, 0x3fb8aa3b, v9
	v_fma_f32 v11, v9, s0, -v10
	v_rndne_f32_e32 v13, v10
	v_fmac_f32_e32 v11, 0x32a5705f, v9
	v_sub_f32_e32 v10, v10, v13
	v_add_f32_e32 v10, v10, v11
	v_exp_f32_e32 v10, v10
	v_cvt_i32_f32_e32 v11, v13
	v_cmp_ngt_f32_e32 vcc, s2, v9
	v_ldexp_f32 v10, v10, v11
	v_cndmask_b32_e32 v10, 0, v10, vcc
	v_cmp_nlt_f32_e32 vcc, s12, v9
	v_mul_f32_e32 v9, 0x3fb8aa3b, v8
	v_fma_f32 v11, v8, s0, -v9
	v_rndne_f32_e32 v13, v9
	v_fmac_f32_e32 v11, 0x32a5705f, v8
	v_sub_f32_e32 v9, v9, v13
	v_add_f32_e32 v9, v9, v11
	v_exp_f32_e32 v9, v9
	v_cvt_i32_f32_e32 v11, v13
	v_cndmask_b32_e32 v10, v109, v10, vcc
	v_cmp_ngt_f32_e32 vcc, s2, v8
	v_ldexp_f32 v9, v9, v11
	v_cndmask_b32_e32 v9, 0, v9, vcc
	v_cmp_nlt_f32_e32 vcc, s12, v8
	v_cndmask_b32_e32 v11, v109, v9, vcc
	v_pk_add_f32 v[8:9], v[48:49], v[12:13] op_sel_hi:[1,0] neg_lo:[0,1] neg_hi:[0,1]
	v_mul_f32_e32 v13, 0x3fb8aa3b, v9
	v_fma_f32 v43, v9, s0, -v13
	v_rndne_f32_e32 v46, v13
	v_fmac_f32_e32 v43, 0x32a5705f, v9
	v_sub_f32_e32 v13, v13, v46
	v_add_f32_e32 v13, v13, v43
	v_exp_f32_e32 v13, v13
	v_cvt_i32_f32_e32 v43, v46
	v_cmp_ngt_f32_e32 vcc, s2, v9
	v_ldexp_f32 v13, v13, v43
	v_cndmask_b32_e32 v13, 0, v13, vcc
	v_cmp_nlt_f32_e32 vcc, s12, v9
	v_mul_f32_e32 v9, 0x3fb8aa3b, v8
	v_cndmask_b32_e32 v43, v109, v13, vcc
	v_fma_f32 v13, v8, s0, -v9
	v_rndne_f32_e32 v46, v9
	v_fmac_f32_e32 v13, 0x32a5705f, v8
	v_sub_f32_e32 v9, v9, v46
	v_add_f32_e32 v9, v9, v13
	v_exp_f32_e32 v9, v9
	v_cvt_i32_f32_e32 v13, v46
	v_cmp_ngt_f32_e32 vcc, s2, v8
	v_ldexp_f32 v9, v9, v13
	v_cndmask_b32_e32 v9, 0, v9, vcc
	v_cmp_nlt_f32_e32 vcc, s12, v8
	v_cndmask_b32_e32 v46, v109, v9, vcc
	v_pk_add_f32 v[8:9], v[14:15], v[12:13] op_sel_hi:[1,0] neg_lo:[0,1] neg_hi:[0,1]
	v_mul_f32_e32 v13, 0x3fb8aa3b, v9
	v_fma_f32 v14, v9, s0, -v13
	v_rndne_f32_e32 v15, v13
	v_fmac_f32_e32 v14, 0x32a5705f, v9
	v_sub_f32_e32 v13, v13, v15
	v_add_f32_e32 v13, v13, v14
	v_exp_f32_e32 v13, v13
	v_cvt_i32_f32_e32 v14, v15
	v_cmp_ngt_f32_e32 vcc, s2, v9
	v_ldexp_f32 v13, v13, v14
	v_cndmask_b32_e32 v13, 0, v13, vcc
	v_cmp_nlt_f32_e32 vcc, s12, v9
	v_mul_f32_e32 v9, 0x3fb8aa3b, v8
	v_cndmask_b32_e32 v14, v109, v13, vcc
	v_fma_f32 v13, v8, s0, -v9
	v_rndne_f32_e32 v15, v9
	v_fmac_f32_e32 v13, 0x32a5705f, v8
	v_sub_f32_e32 v9, v9, v15
	v_add_f32_e32 v9, v9, v13
	v_exp_f32_e32 v9, v9
	v_cvt_i32_f32_e32 v13, v15
	;; [unrolled: 27-line block ×5, first 2 shown]
	v_cmp_ngt_f32_e32 vcc, s2, v8
	v_ldexp_f32 v9, v9, v13
	v_cndmask_b32_e32 v9, 0, v9, vcc
	v_cmp_nlt_f32_e32 vcc, s12, v8
	v_cndmask_b32_e32 v54, v109, v9, vcc
	v_pk_add_f32 v[8:9], v[34:35], v[12:13] op_sel_hi:[1,0] neg_lo:[0,1] neg_hi:[0,1]
	v_mul_f32_e32 v13, 0x3fb8aa3b, v9
	v_fma_f32 v18, v9, s0, -v13
	v_rndne_f32_e32 v19, v13
	v_fmac_f32_e32 v18, 0x32a5705f, v9
	v_sub_f32_e32 v13, v13, v19
	v_add_f32_e32 v13, v13, v18
	v_exp_f32_e32 v13, v13
	v_cvt_i32_f32_e32 v18, v19
	v_cmp_ngt_f32_e32 vcc, s2, v9
	v_ldexp_f32 v13, v13, v18
	v_cndmask_b32_e32 v13, 0, v13, vcc
	v_cmp_nlt_f32_e32 vcc, s12, v9
	v_cndmask_b32_e32 v9, v109, v13, vcc
	v_mul_f32_e32 v13, 0x3fb8aa3b, v8
	v_fma_f32 v18, v8, s0, -v13
	v_rndne_f32_e32 v19, v13
	v_fmac_f32_e32 v18, 0x32a5705f, v8
	v_sub_f32_e32 v13, v13, v19
	v_add_f32_e32 v13, v13, v18
	v_exp_f32_e32 v13, v13
	v_cvt_i32_f32_e32 v18, v19
	v_cmp_ngt_f32_e32 vcc, s2, v8
	v_ldexp_f32 v13, v13, v18
	v_cndmask_b32_e32 v13, 0, v13, vcc
	v_cmp_nlt_f32_e32 vcc, s12, v8
	v_cndmask_b32_e32 v8, v109, v13, vcc
	v_add_f32_e32 v13, v42, v39
	v_add_f32_e32 v13, v11, v13
	;; [unrolled: 1-line block ×15, first 2 shown]
	v_sub_f32_e32 v13, v119, v12
	v_mul_f32_e32 v18, 0x3fb8aa3b, v13
	v_fma_f32 v19, v13, s0, -v18
	v_rndne_f32_e32 v34, v18
	v_fmac_f32_e32 v19, 0x32a5705f, v13
	v_sub_f32_e32 v18, v18, v34
	v_add_f32_e32 v18, v18, v19
	v_exp_f32_e32 v18, v18
	v_cvt_i32_f32_e32 v19, v34
	v_cvt_f16_f32_e32 v10, v10
	v_cvt_f16_f32_e32 v11, v11
	v_cmp_ngt_f32_e32 vcc, s2, v13
	v_ldexp_f32 v18, v18, v19
	v_cndmask_b32_e32 v18, 0, v18, vcc
	v_cmp_nlt_f32_e32 vcc, s12, v13
	v_cndmask_b32_e32 v18, v109, v18, vcc
	v_cmp_le_f32_e32 vcc, s13, v13
	v_cndmask_b32_e32 v13, 0, v18, vcc
	v_cvt_f16_f32_e32 v18, v39
	v_cvt_f16_f32_e32 v19, v42
	v_pack_b32_f16 v35, v11, v10
	v_cvt_f16_f32_e32 v10, v43
	v_cvt_f16_f32_e32 v11, v46
	v_pack_b32_f16 v34, v19, v18
	;; [unrolled: 3-line block ×4, first 2 shown]
	v_lshlrev_b64 v[8:9], 2, v[20:21]
	v_add_co_u32_e32 v8, vcc, s5, v8
	v_pack_b32_f16 v19, v11, v10
	v_cvt_f16_f32_e32 v10, v16
	v_cvt_f16_f32_e32 v11, v17
	v_mov_b32_e32 v39, s15
	v_fmac_f32_e32 v36, v118, v13
	v_cvt_f16_f32_e32 v13, v13
	v_pack_b32_f16 v16, v11, v10
	v_cvt_f16_f32_e32 v10, v48
	v_cvt_f16_f32_e32 v11, v49
	v_pk_mul_f16 v116, v13, v116 op_sel_hi:[0,1]
	v_pk_mul_f16 v115, v13, v115 op_sel_hi:[0,1]
	;; [unrolled: 1-line block ×3, first 2 shown]
	v_pack_b32_f16 v17, v11, v10
	v_cvt_f16_f32_e32 v10, v51
	v_cvt_f16_f32_e32 v11, v54
	v_pk_mul_f16 v110, v13, v110 op_sel_hi:[0,1]
	v_pk_mul_f16 v112, v13, v112 op_sel_hi:[0,1]
	;; [unrolled: 1-line block ×3, first 2 shown]
	v_pack_b32_f16 v14, v11, v10
	v_mov_b32_e32 v10, s15
	v_addc_co_u32_e32 v9, vcc, v10, v9, vcc
	v_add_co_u32_e32 v8, vcc, v8, v105
	v_addc_co_u32_e32 v9, vcc, 0, v9, vcc
	v_lshlrev_b64 v[10:11], 2, v[22:23]
	v_add_co_u32_e32 v10, vcc, s5, v10
	v_addc_co_u32_e32 v11, vcc, v39, v11, vcc
	v_add_co_u32_e32 v48, vcc, v10, v105
	v_addc_co_u32_e32 v49, vcc, 0, v11, vcc
	global_load_dwordx4 v[8:11], v[8:9], off
	v_pk_mul_f16 v37, v13, v114 op_sel_hi:[0,1]
	v_pk_mul_f16 v13, v13, v113 op_sel_hi:[0,1]
	v_cmp_lt_i32_e32 vcc, s70, v75
	s_and_b64 vcc, exec, vcc
	s_waitcnt vmcnt(0)
	ds_write_b128 v79, v[8:11]
	global_load_dwordx4 v[8:11], v[48:49], off
	s_waitcnt vmcnt(0)
	ds_write_b128 v80, v[8:11]
	s_waitcnt lgkmcnt(0)
	s_barrier
	ds_read_u16 v39, v87 offset:288
	ds_read_u16 v42, v88
	ds_read_u16 v43, v88 offset:32
	v_cvt_f32_f16_e32 v8, v116
	v_cvt_f32_f16_sdwa v9, v116 dst_sel:DWORD dst_unused:UNUSED_PAD src0_sel:WORD_1
	v_cvt_f32_f16_e32 v10, v115
	s_waitcnt lgkmcnt(1)
	v_perm_b32 v49, v42, v39, s14
	ds_read_u16 v39, v86
	ds_read_u16 v42, v86 offset:32
	ds_read_u16 v46, v87 offset:144
	;; [unrolled: 1-line block ×3, first 2 shown]
	v_cvt_f32_f16_sdwa v11, v115 dst_sel:DWORD dst_unused:UNUSED_PAD src0_sel:WORD_1
	s_waitcnt lgkmcnt(1)
	v_perm_b32 v48, v46, v39, s14
	s_nop 1
	v_mfma_f32_16x16x16f16 v[8:11], v[48:49], v[34:35], v[8:11]
	ds_read_u16 v39, v86 offset:2304
	ds_read_u16 v46, v87 offset:2448
	ds_read_u16 v48, v89 offset:288
	ds_read_u16 v49, v88 offset:2304
	s_waitcnt lgkmcnt(0)
	v_perm_b32 v49, v49, v48, s14
	v_perm_b32 v48, v46, v39, s14
	s_nop 3
	v_cvt_f16_f32_e32 v8, v8
	v_cvt_f16_f32_e32 v9, v9
	v_cvt_f16_f32_e32 v10, v10
	v_cvt_f16_f32_e32 v11, v11
	v_cvt_f32_f16_e32 v8, v8
	v_cvt_f32_f16_e32 v9, v9
	v_cvt_f32_f16_e32 v10, v10
	v_cvt_f32_f16_e32 v11, v11
	s_nop 1
	v_mfma_f32_16x16x16f16 v[8:11], v[48:49], v[18:19], v[8:11]
	ds_read_u16 v39, v86 offset:4608
	ds_read_u16 v46, v87 offset:4752
	ds_read_u16 v48, v90 offset:288
	ds_read_u16 v49, v88 offset:4608
	s_waitcnt lgkmcnt(0)
	v_perm_b32 v49, v49, v48, s14
	v_perm_b32 v48, v46, v39, s14
	s_nop 3
	v_cvt_f16_f32_e32 v8, v8
	v_cvt_f16_f32_e32 v9, v9
	v_cvt_f16_f32_e32 v10, v10
	v_cvt_f16_f32_e32 v11, v11
	v_cvt_f32_f16_e32 v8, v8
	v_cvt_f32_f16_e32 v9, v9
	v_cvt_f32_f16_e32 v10, v10
	v_cvt_f32_f16_e32 v11, v11
	s_nop 1
	v_mfma_f32_16x16x16f16 v[8:11], v[48:49], v[16:17], v[8:11]
	ds_read_u16 v39, v86 offset:6912
	ds_read_u16 v46, v87 offset:7056
	ds_read_u16 v48, v91 offset:288
	ds_read_u16 v49, v88 offset:6912
	s_waitcnt lgkmcnt(0)
	v_perm_b32 v49, v49, v48, s14
	v_perm_b32 v48, v46, v39, s14
	s_nop 3
	v_cvt_f16_f32_e32 v8, v8
	v_cvt_f16_f32_e32 v9, v9
	v_cvt_f16_f32_e32 v10, v10
	v_cvt_f16_f32_e32 v11, v11
	v_cvt_f32_f16_e32 v8, v8
	v_cvt_f32_f16_e32 v9, v9
	v_cvt_f32_f16_e32 v10, v10
	v_cvt_f32_f16_e32 v11, v11
	ds_read_u16 v39, v92 offset:288
	s_nop 0
	v_mfma_f32_16x16x16f16 v[8:11], v[48:49], v[14:15], v[8:11]
	v_perm_b32 v48, v51, v42, s14
	s_waitcnt lgkmcnt(0)
	v_perm_b32 v49, v43, v39, s14
	ds_read_u16 v39, v86 offset:2336
	ds_read_u16 v42, v87 offset:2480
	;; [unrolled: 1-line block ×4, first 2 shown]
	s_nop 3
	v_cvt_f16_f32_e32 v8, v8
	v_cvt_f16_f32_e32 v9, v9
	;; [unrolled: 1-line block ×4, first 2 shown]
	v_pack_b32_f16 v116, v8, v9
	v_cvt_f32_f16_e32 v8, v117
	v_pack_b32_f16 v115, v10, v11
	v_cvt_f32_f16_sdwa v9, v117 dst_sel:DWORD dst_unused:UNUSED_PAD src0_sel:WORD_1
	v_cvt_f32_f16_e32 v10, v110
	v_cvt_f32_f16_sdwa v11, v110 dst_sel:DWORD dst_unused:UNUSED_PAD src0_sel:WORD_1
	s_nop 1
	v_mfma_f32_16x16x16f16 v[8:11], v[48:49], v[34:35], v[8:11]
	s_waitcnt lgkmcnt(0)
	v_perm_b32 v49, v46, v43, s14
	v_perm_b32 v48, v42, v39, s14
	ds_read_u16 v39, v86 offset:4640
	ds_read_u16 v42, v87 offset:4784
	ds_read_u16 v43, v94 offset:288
	ds_read_u16 v46, v88 offset:4640
	s_nop 3
	v_cvt_f16_f32_e32 v8, v8
	v_cvt_f16_f32_e32 v9, v9
	v_cvt_f16_f32_e32 v10, v10
	v_cvt_f16_f32_e32 v11, v11
	v_cvt_f32_f16_e32 v8, v8
	v_cvt_f32_f16_e32 v9, v9
	v_cvt_f32_f16_e32 v10, v10
	v_cvt_f32_f16_e32 v11, v11
	s_nop 1
	v_mfma_f32_16x16x16f16 v[8:11], v[48:49], v[18:19], v[8:11]
	s_waitcnt lgkmcnt(0)
	v_perm_b32 v49, v46, v43, s14
	v_perm_b32 v48, v42, v39, s14
	ds_read_u16 v39, v86 offset:6944
	ds_read_u16 v42, v87 offset:7088
	ds_read_u16 v43, v95 offset:288
	ds_read_u16 v46, v88 offset:6944
	s_nop 3
	v_cvt_f16_f32_e32 v8, v8
	v_cvt_f16_f32_e32 v9, v9
	v_cvt_f16_f32_e32 v10, v10
	v_cvt_f16_f32_e32 v11, v11
	v_cvt_f32_f16_e32 v8, v8
	v_cvt_f32_f16_e32 v9, v9
	v_cvt_f32_f16_e32 v10, v10
	v_cvt_f32_f16_e32 v11, v11
	;; [unrolled: 18-line block ×3, first 2 shown]
	s_nop 1
	v_mfma_f32_16x16x16f16 v[8:11], v[48:49], v[14:15], v[8:11]
	s_waitcnt lgkmcnt(0)
	v_perm_b32 v49, v46, v43, s14
	v_perm_b32 v48, v42, v39, s14
	ds_read_u16 v39, v86 offset:2368
	ds_read_u16 v42, v87 offset:2512
	ds_read_u16 v43, v97 offset:288
	ds_read_u16 v46, v88 offset:2368
	s_nop 3
	v_cvt_f16_f32_e32 v8, v8
	v_cvt_f16_f32_e32 v9, v9
	;; [unrolled: 1-line block ×4, first 2 shown]
	v_pack_b32_f16 v117, v8, v9
	v_cvt_f32_f16_e32 v8, v112
	v_pack_b32_f16 v110, v10, v11
	v_cvt_f32_f16_sdwa v9, v112 dst_sel:DWORD dst_unused:UNUSED_PAD src0_sel:WORD_1
	v_cvt_f32_f16_e32 v10, v111
	v_cvt_f32_f16_sdwa v11, v111 dst_sel:DWORD dst_unused:UNUSED_PAD src0_sel:WORD_1
	s_nop 1
	v_mfma_f32_16x16x16f16 v[8:11], v[48:49], v[34:35], v[8:11]
	s_waitcnt lgkmcnt(0)
	v_perm_b32 v49, v46, v43, s14
	v_perm_b32 v48, v42, v39, s14
	ds_read_u16 v39, v86 offset:4672
	ds_read_u16 v42, v87 offset:4816
	ds_read_u16 v43, v98 offset:288
	ds_read_u16 v46, v88 offset:4672
	s_nop 3
	v_cvt_f16_f32_e32 v8, v8
	v_cvt_f16_f32_e32 v9, v9
	v_cvt_f16_f32_e32 v10, v10
	v_cvt_f16_f32_e32 v11, v11
	v_cvt_f32_f16_e32 v8, v8
	v_cvt_f32_f16_e32 v9, v9
	v_cvt_f32_f16_e32 v10, v10
	v_cvt_f32_f16_e32 v11, v11
	s_nop 1
	v_mfma_f32_16x16x16f16 v[8:11], v[48:49], v[18:19], v[8:11]
	s_waitcnt lgkmcnt(0)
	v_perm_b32 v49, v46, v43, s14
	v_perm_b32 v48, v42, v39, s14
	ds_read_u16 v39, v86 offset:6976
	ds_read_u16 v42, v87 offset:7120
	ds_read_u16 v43, v99 offset:288
	ds_read_u16 v46, v88 offset:6976
	s_nop 3
	v_cvt_f16_f32_e32 v8, v8
	v_cvt_f16_f32_e32 v9, v9
	v_cvt_f16_f32_e32 v10, v10
	v_cvt_f16_f32_e32 v11, v11
	v_cvt_f32_f16_e32 v8, v8
	v_cvt_f32_f16_e32 v9, v9
	v_cvt_f32_f16_e32 v10, v10
	v_cvt_f32_f16_e32 v11, v11
	s_nop 1
	v_mfma_f32_16x16x16f16 v[8:11], v[48:49], v[16:17], v[8:11]
	s_waitcnt lgkmcnt(0)
	v_perm_b32 v49, v46, v43, s14
	v_perm_b32 v48, v42, v39, s14
	ds_read_u16 v39, v86 offset:96
	ds_read_u16 v42, v87 offset:240
	ds_read_u16 v43, v100 offset:288
	ds_read_u16 v46, v88 offset:96
	s_nop 3
	v_cvt_f16_f32_e32 v8, v8
	v_cvt_f16_f32_e32 v9, v9
	v_cvt_f16_f32_e32 v10, v10
	v_cvt_f16_f32_e32 v11, v11
	v_cvt_f32_f16_e32 v8, v8
	v_cvt_f32_f16_e32 v9, v9
	v_cvt_f32_f16_e32 v10, v10
	v_cvt_f32_f16_e32 v11, v11
	s_nop 1
	v_mfma_f32_16x16x16f16 v[8:11], v[48:49], v[14:15], v[8:11]
	s_waitcnt lgkmcnt(0)
	v_perm_b32 v49, v46, v43, s14
	v_perm_b32 v48, v42, v39, s14
	s_nop 7
	v_cvt_f16_f32_e32 v8, v8
	v_cvt_f16_f32_e32 v9, v9
	;; [unrolled: 1-line block ×4, first 2 shown]
	v_pack_b32_f16 v112, v8, v9
	v_cvt_f32_f16_e32 v8, v37
	v_pack_b32_f16 v111, v10, v11
	v_cvt_f32_f16_sdwa v9, v37 dst_sel:DWORD dst_unused:UNUSED_PAD src0_sel:WORD_1
	v_cvt_f32_f16_e32 v10, v13
	v_cvt_f32_f16_sdwa v11, v13 dst_sel:DWORD dst_unused:UNUSED_PAD src0_sel:WORD_1
	s_nop 1
	v_mfma_f32_16x16x16f16 v[8:11], v[48:49], v[34:35], v[8:11]
	ds_read_u16 v13, v86 offset:2400
	ds_read_u16 v34, v87 offset:2544
	;; [unrolled: 1-line block ×4, first 2 shown]
	s_waitcnt lgkmcnt(2)
	v_perm_b32 v34, v34, v13, s14
	s_waitcnt lgkmcnt(0)
	v_perm_b32 v35, v37, v35, s14
	s_nop 2
	v_cvt_f16_f32_e32 v8, v8
	v_cvt_f16_f32_e32 v9, v9
	;; [unrolled: 1-line block ×4, first 2 shown]
	v_cvt_f32_f16_e32 v8, v8
	v_cvt_f32_f16_e32 v9, v9
	;; [unrolled: 1-line block ×4, first 2 shown]
	s_nop 1
	v_mfma_f32_16x16x16f16 v[8:11], v[34:35], v[18:19], v[8:11]
	ds_read_u16 v13, v86 offset:4704
	ds_read_u16 v18, v87 offset:4848
	;; [unrolled: 1-line block ×4, first 2 shown]
	s_waitcnt lgkmcnt(2)
	v_perm_b32 v18, v18, v13, s14
	s_waitcnt lgkmcnt(0)
	v_perm_b32 v19, v34, v19, s14
	s_nop 2
	v_cvt_f16_f32_e32 v8, v8
	v_cvt_f16_f32_e32 v9, v9
	;; [unrolled: 1-line block ×4, first 2 shown]
	v_cvt_f32_f16_e32 v8, v8
	v_cvt_f32_f16_e32 v9, v9
	;; [unrolled: 1-line block ×4, first 2 shown]
	s_nop 1
	v_mfma_f32_16x16x16f16 v[8:11], v[18:19], v[16:17], v[8:11]
	ds_read_u16 v13, v86 offset:7008
	ds_read_u16 v16, v87 offset:7152
	;; [unrolled: 1-line block ×4, first 2 shown]
	s_waitcnt lgkmcnt(0)
	s_barrier
	v_perm_b32 v16, v16, v13, s14
	v_perm_b32 v17, v18, v17, s14
	s_nop 2
	v_cvt_f16_f32_e32 v8, v8
	v_cvt_f16_f32_e32 v9, v9
	;; [unrolled: 1-line block ×4, first 2 shown]
	v_cvt_f32_f16_e32 v8, v8
	v_cvt_f32_f16_e32 v9, v9
	v_cvt_f32_f16_e32 v10, v10
	v_cvt_f32_f16_e32 v11, v11
	s_nop 1
	v_mfma_f32_16x16x16f16 v[8:11], v[16:17], v[14:15], v[8:11]
	s_nop 7
	s_nop 2
	v_cvt_f16_f32_e32 v8, v8
	v_cvt_f16_f32_e32 v9, v9
	;; [unrolled: 1-line block ×4, first 2 shown]
	v_pack_b32_f16 v114, v8, v9
	v_pack_b32_f16 v113, v10, v11
	s_cbranch_vccnz .LBB0_239
; %bb.240:
	buffer_load_dword v106, off, s[96:99], 0 ; 4-byte Folded Reload
	buffer_load_dword v37, off, s[96:99], 0 offset:8 ; 4-byte Folded Reload
	v_add_u32_e32 v101, 8, v38
	v_add_u32_e32 v102, 16, v38
	v_add_u32_e32 v103, 24, v38
	v_add_u32_e32 v104, 40, v38
	v_add_u32_e32 v105, 56, v38
	v_lshlrev_b32_e32 v51, 1, v41
	v_add_u32_e32 v54, 0x90, v52
	v_mul_u32_u24_e32 v35, 0x90, v41
.LBB0_241:
	s_lshl_b32 s4, s70, 6
	s_ashr_i32 s5, s4, 31
	s_lshl_b64 s[12:13], s[4:5], 1
	s_add_u32 s0, s10, s12
	s_addc_u32 s2, s11, s13
	v_mov_b32_e32 v8, s2
	v_add_co_u32_e32 v13, vcc, s0, v76
	s_mul_i32 s0, s36, s5
	s_mul_hi_u32 s2, s36, s4
	v_addc_co_u32_e32 v14, vcc, 0, v8, vcc
	v_lshlrev_b64 v[8:9], 1, v[26:27]
	s_add_i32 s0, s2, s0
	s_mul_i32 s2, s3, s4
	v_add_co_u32_e32 v8, vcc, v13, v8
	s_add_i32 s3, s0, s2
	s_mul_i32 s2, s36, s4
	v_addc_co_u32_e32 v9, vcc, v14, v9, vcc
	v_lshlrev_b64 v[10:11], 1, v[28:29]
	s_lshl_b64 s[2:3], s[2:3], 2
	v_add_co_u32_e32 v10, vcc, v13, v10
	s_add_u32 s0, s8, s2
	v_addc_co_u32_e32 v11, vcc, v14, v11, vcc
	global_load_dword v13, v[8:9], off
	global_load_dword v34, v[10:11], off
	s_addc_u32 s2, s9, s3
	v_lshlrev_b64 v[8:9], 2, v[30:31]
	v_mov_b32_e32 v10, s2
	v_add_co_u32_e32 v11, vcc, s0, v8
	v_addc_co_u32_e32 v14, vcc, v10, v9, vcc
	v_lshlrev_b64 v[8:9], 2, v[24:25]
	v_add_co_u32_e32 v10, vcc, v11, v8
	v_addc_co_u32_e32 v11, vcc, v14, v9, vcc
	v_lshlrev_b64 v[14:15], 2, v[32:33]
	v_mov_b32_e32 v16, s2
	v_add_co_u32_e32 v14, vcc, s0, v14
	v_addc_co_u32_e32 v15, vcc, v16, v15, vcc
	v_add_co_u32_e32 v18, vcc, v14, v8
	v_addc_co_u32_e32 v19, vcc, v15, v9, vcc
	global_load_dwordx4 v[14:17], v[10:11], off
	global_load_dwordx4 v[26:29], v[18:19], off
	v_add_u32_e32 v25, 0, v76
	v_lshlrev_b32_e32 v10, 2, v24
	s_waitcnt vmcnt(4)
	v_add3_u32 v11, 0, v35, v37
	v_add_u32_e32 v24, v25, v61
	v_add_u32_e32 v30, v25, v62
	v_add3_u32 v18, 0, v63, v10
	v_add3_u32 v19, 0, v72, v10
	v_add_u32_e32 v10, 0x800, v11
	v_cmp_lt_i32_e32 vcc, v73, v59
	s_mov_b32 s3, 0x3fb8aa3b
	s_mov_b32 s0, 0xc2ce8ed0
	;; [unrolled: 1-line block ×3, first 2 shown]
	s_mul_i32 s5, s26, s5
	s_mul_hi_u32 s8, s26, s4
	s_add_i32 s5, s8, s5
	s_mul_i32 s1, s1, s4
	s_add_i32 s5, s5, s1
	s_mul_i32 s4, s26, s4
	s_lshl_b64 s[4:5], s[4:5], 2
	s_add_u32 s1, s6, s4
	s_addc_u32 s4, s7, s5
	s_waitcnt vmcnt(3)
	ds_write_b32 v24, v13 offset:9216
	s_waitcnt vmcnt(2)
	ds_write_b32 v30, v34 offset:9216
	s_waitcnt vmcnt(1)
	ds_write_b128 v18, v[14:17]
	s_waitcnt vmcnt(0)
	ds_write_b128 v19, v[26:29]
	s_waitcnt lgkmcnt(0)
	s_barrier
	ds_read2_b64 v[14:17], v11 offset1:4
	ds_read2_b64 v[30:33], v10 offset0:32 offset1:36
	v_add_u32_e32 v13, 0x1000, v11
	v_add_u32_e32 v24, 0x1800, v11
	ds_read2_b64 v[80:83], v13 offset0:64 offset1:68
	ds_read2_b64 v[88:91], v24 offset0:96 offset1:100
	s_waitcnt lgkmcnt(3)
	v_mfma_f32_16x16x16f16 v[26:29], v[14:15], v[4:5], 0
	s_waitcnt lgkmcnt(2)
	v_mfma_f32_16x16x16f16 v[76:79], v[30:31], v[4:5], 0
	;; [unrolled: 2-line block ×4, first 2 shown]
	v_mfma_f32_16x16x16f16 v[14:17], v[16:17], v[6:7], v[26:29]
	v_mfma_f32_16x16x16f16 v[26:29], v[32:33], v[6:7], v[76:79]
	s_nop 6
	ds_read2_b64 v[76:79], v11 offset0:8 offset1:12
	v_mfma_f32_16x16x16f16 v[30:33], v[82:83], v[6:7], v[84:87]
	ds_read2_b64 v[80:83], v10 offset0:40 offset1:44
	v_mfma_f32_16x16x16f16 v[4:7], v[90:91], v[6:7], v[92:95]
	s_nop 4
	ds_read2_b64 v[84:87], v13 offset0:72 offset1:76
	ds_read2_b64 v[88:91], v24 offset0:104 offset1:108
	s_waitcnt lgkmcnt(0)
	s_barrier
	v_mfma_f32_16x16x16f16 v[14:17], v[76:77], v[0:1], v[14:17]
	v_mfma_f32_16x16x16f16 v[26:29], v[80:81], v[0:1], v[26:29]
	;; [unrolled: 1-line block ×4, first 2 shown]
	v_add_u32_e32 v0, 0, v64
	v_lshl_add_u32 v1, v65, 2, v0
	v_lshl_add_u32 v10, v66, 2, v0
	;; [unrolled: 1-line block ×5, first 2 shown]
	v_mfma_f32_16x16x16f16 v[62:65], v[78:79], v[2:3], v[14:17]
	s_nop 6
	v_lshl_add_u32 v14, v70, 2, v0
	v_lshl_add_u32 v15, v71, 2, v0
	;; [unrolled: 1-line block ×3, first 2 shown]
	ds_read_b32 v16, v0 offset:9216
	ds_read_b32 v37, v1 offset:9216
	;; [unrolled: 1-line block ×8, first 2 shown]
	v_mfma_f32_16x16x16f16 v[26:29], v[82:83], v[2:3], v[26:29]
	v_cndmask_b32_e32 v0, v58, v73, vcc
	v_lshlrev_b32_e32 v17, 2, v0
	s_waitcnt lgkmcnt(7)
	v_cvt_f32_f16_e32 v0, v16
	v_cvt_f32_f16_sdwa v1, v16 dst_sel:DWORD dst_unused:UNUSED_PAD src0_sel:WORD_1
	s_waitcnt lgkmcnt(0)
	v_cvt_f32_f16_e32 v10, v11
	v_cvt_f32_f16_sdwa v11, v11 dst_sel:DWORD dst_unused:UNUSED_PAD src0_sel:WORD_1
	v_cvt_f32_f16_e32 v14, v34
	v_mfma_f32_16x16x16f16 v[30:33], v[86:87], v[2:3], v[30:33]
	v_cvt_f32_f16_sdwa v15, v34 dst_sel:DWORD dst_unused:UNUSED_PAD src0_sel:WORD_1
	v_cvt_f32_f16_e32 v34, v24
	v_cvt_f32_f16_sdwa v35, v24 dst_sel:DWORD dst_unused:UNUSED_PAD src0_sel:WORD_1
	v_cmp_lt_i32_e32 vcc, v60, v59
	v_mfma_f32_16x16x16f16 v[2:5], v[90:91], v[2:3], v[4:7]
	s_nop 6
	v_pk_add_f32 v[6:7], v[30:31], v[34:35]
	s_nop 2
	v_pk_add_f32 v[0:1], v[4:5], v[0:1]
	v_pk_add_f32 v[2:3], v[2:3], v[10:11]
	;; [unrolled: 1-line block ×3, first 2 shown]
	v_cvt_f32_f16_e32 v10, v13
	v_cvt_f32_f16_sdwa v11, v13 dst_sel:DWORD dst_unused:UNUSED_PAD src0_sel:WORD_1
	v_cvt_f32_f16_e32 v14, v42
	v_cvt_f32_f16_sdwa v15, v42 dst_sel:DWORD dst_unused:UNUSED_PAD src0_sel:WORD_1
	v_add_f32_e32 v34, 0x40051340, v6
	v_pk_add_f32 v[10:11], v[28:29], v[10:11]
	v_cvt_f32_f16_e32 v28, v37
	v_pk_add_f32 v[14:15], v[26:27], v[14:15]
	v_cvt_f32_f16_e32 v26, v39
	v_cvt_f32_f16_sdwa v27, v39 dst_sel:DWORD dst_unused:UNUSED_PAD src0_sel:WORD_1
	v_cvt_f32_f16_sdwa v29, v37 dst_sel:DWORD dst_unused:UNUSED_PAD src0_sel:WORD_1
	v_add_f32_e32 v48, 0x40051340, v14
	v_add_f32_e32 v39, 0x40051340, v15
	v_pk_add_f32 v[30:31], v[64:65], v[26:27]
	v_pk_add_f32 v[26:27], v[62:63], v[28:29]
	v_add_f32_e32 v28, 0x40051340, v26
	v_add_f32_e32 v29, 0x40051340, v27
	;; [unrolled: 1-line block ×4, first 2 shown]
	v_max3_f32 v28, v12, v28, v29
	v_max3_f32 v28, v28, v37, v49
	v_add_f32_e32 v35, 0x40051340, v10
	v_add_f32_e32 v42, 0x40051340, v11
	v_max3_f32 v28, v28, v48, v39
	v_add_f32_e32 v13, 0x40051340, v7
	v_max3_f32 v28, v28, v35, v42
	v_add_f32_e32 v43, 0x40051340, v4
	v_add_f32_e32 v46, 0x40051340, v5
	v_max3_f32 v13, v28, v34, v13
	v_add_f32_e32 v32, 0x40051340, v2
	v_add_f32_e32 v33, 0x40051340, v3
	v_max3_f32 v13, v13, v43, v46
	v_add_f32_e32 v16, 0x40051340, v0
	v_add_f32_e32 v24, 0x40051340, v1
	v_max3_f32 v13, v13, v32, v33
	v_max3_f32 v13, v13, v16, v24
	ds_bpermute_b32 v16, v17, v13
	v_cndmask_b32_e32 v24, v58, v60, vcc
	v_lshlrev_b32_e32 v24, 2, v24
	s_waitcnt lgkmcnt(0)
	v_max_f32_e32 v16, v16, v16
	v_max_f32_e32 v13, v13, v16
	ds_bpermute_b32 v16, v24, v13
	s_waitcnt lgkmcnt(0)
	v_max_f32_e32 v16, v16, v16
	v_max_f32_e32 v16, v13, v16
	v_pk_add_f32 v[28:29], v[26:27], v[16:17] op_sel_hi:[1,0] neg_lo:[0,1] neg_hi:[0,1]
	v_mul_f32_e32 v13, 0x3fb8aa3b, v29
	v_fma_f32 v26, v29, s3, -v13
	v_rndne_f32_e32 v27, v13
	v_fmac_f32_e32 v26, 0x32a5705f, v29
	v_sub_f32_e32 v13, v13, v27
	v_add_f32_e32 v13, v13, v26
	v_exp_f32_e32 v13, v13
	v_cvt_i32_f32_e32 v26, v27
	v_cmp_ngt_f32_e32 vcc, s0, v29
	v_pk_add_f32 v[30:31], v[30:31], v[16:17] op_sel_hi:[1,0] neg_lo:[0,1] neg_hi:[0,1]
	v_pk_add_f32 v[14:15], v[14:15], v[16:17] op_sel_hi:[1,0] neg_lo:[0,1] neg_hi:[0,1]
	v_ldexp_f32 v13, v13, v26
	v_cndmask_b32_e32 v26, 0, v13, vcc
	v_mul_f32_e32 v13, 0x3fb8aa3b, v28
	v_fma_f32 v27, v28, s3, -v13
	v_rndne_f32_e32 v32, v13
	v_fmac_f32_e32 v27, 0x32a5705f, v28
	v_sub_f32_e32 v13, v13, v32
	v_add_f32_e32 v13, v13, v27
	v_exp_f32_e32 v27, v13
	v_cvt_i32_f32_e32 v32, v32
	v_cmp_nlt_f32_e32 vcc, s2, v29
	v_mul_f32_e32 v29, 0x3fb8aa3b, v31
	v_rndne_f32_e32 v33, v29
	v_ldexp_f32 v27, v27, v32
	v_fma_f32 v32, v31, s3, -v29
	v_fmac_f32_e32 v32, 0x32a5705f, v31
	v_sub_f32_e32 v29, v29, v33
	v_add_f32_e32 v29, v29, v32
	v_exp_f32_e32 v29, v29
	v_cvt_i32_f32_e32 v32, v33
	v_mov_b32_e32 v13, 0x7f800000
	v_cndmask_b32_e32 v26, v13, v26, vcc
	v_cmp_ngt_f32_e32 vcc, s0, v28
	v_cndmask_b32_e32 v27, 0, v27, vcc
	v_cmp_nlt_f32_e32 vcc, s2, v28
	v_ldexp_f32 v28, v29, v32
	v_mul_f32_e32 v29, 0x3fb8aa3b, v30
	v_fma_f32 v32, v30, s3, -v29
	v_rndne_f32_e32 v33, v29
	v_fmac_f32_e32 v32, 0x32a5705f, v30
	v_sub_f32_e32 v29, v29, v33
	v_add_f32_e32 v29, v29, v32
	v_exp_f32_e32 v29, v29
	v_cvt_i32_f32_e32 v32, v33
	v_cndmask_b32_e32 v27, v13, v27, vcc
	v_cmp_ngt_f32_e32 vcc, s0, v31
	v_cndmask_b32_e32 v28, 0, v28, vcc
	v_cmp_nlt_f32_e32 vcc, s2, v31
	v_mul_f32_e32 v31, 0x3fb8aa3b, v15
	v_ldexp_f32 v29, v29, v32
	v_fma_f32 v32, v15, s3, -v31
	v_rndne_f32_e32 v33, v31
	v_fmac_f32_e32 v32, 0x32a5705f, v15
	v_sub_f32_e32 v31, v31, v33
	v_add_f32_e32 v31, v31, v32
	v_exp_f32_e32 v31, v31
	v_cvt_i32_f32_e32 v32, v33
	v_cndmask_b32_e32 v28, v13, v28, vcc
	v_cmp_ngt_f32_e32 vcc, s0, v30
	v_cndmask_b32_e32 v29, 0, v29, vcc
	v_cmp_nlt_f32_e32 vcc, s2, v30
	v_ldexp_f32 v30, v31, v32
	v_mul_f32_e32 v31, 0x3fb8aa3b, v14
	v_fma_f32 v32, v14, s3, -v31
	v_rndne_f32_e32 v33, v31
	v_fmac_f32_e32 v32, 0x32a5705f, v14
	v_sub_f32_e32 v31, v31, v33
	v_add_f32_e32 v31, v31, v32
	v_exp_f32_e32 v31, v31
	v_cvt_i32_f32_e32 v32, v33
	v_cndmask_b32_e32 v29, v13, v29, vcc
	v_cmp_ngt_f32_e32 vcc, s0, v15
	v_cndmask_b32_e32 v30, 0, v30, vcc
	v_cmp_nlt_f32_e32 vcc, s2, v15
	v_ldexp_f32 v15, v31, v32
	v_pk_add_f32 v[32:33], v[10:11], v[16:17] op_sel_hi:[1,0] neg_lo:[0,1] neg_hi:[0,1]
	v_mul_f32_e32 v10, 0x3fb8aa3b, v33
	v_fma_f32 v11, v33, s3, -v10
	v_rndne_f32_e32 v31, v10
	v_fmac_f32_e32 v11, 0x32a5705f, v33
	v_sub_f32_e32 v10, v10, v31
	v_add_f32_e32 v10, v10, v11
	v_exp_f32_e32 v11, v10
	v_cvt_i32_f32_e32 v31, v31
	v_cndmask_b32_e32 v30, v13, v30, vcc
	v_cmp_ngt_f32_e32 vcc, s0, v14
	v_cndmask_b32_e32 v10, 0, v15, vcc
	v_cmp_nlt_f32_e32 vcc, s2, v14
	v_mul_f32_e32 v14, 0x3fb8aa3b, v32
	v_ldexp_f32 v11, v11, v31
	v_fma_f32 v15, v32, s3, -v14
	v_rndne_f32_e32 v31, v14
	v_fmac_f32_e32 v15, 0x32a5705f, v32
	v_sub_f32_e32 v14, v14, v31
	v_add_f32_e32 v14, v14, v15
	v_exp_f32_e32 v14, v14
	v_cvt_i32_f32_e32 v15, v31
	v_cndmask_b32_e32 v10, v13, v10, vcc
	v_cmp_ngt_f32_e32 vcc, s0, v33
	v_cndmask_b32_e32 v11, 0, v11, vcc
	v_cmp_nlt_f32_e32 vcc, s2, v33
	v_pk_add_f32 v[6:7], v[6:7], v[16:17] op_sel_hi:[1,0] neg_lo:[0,1] neg_hi:[0,1]
	v_cndmask_b32_e32 v31, v13, v11, vcc
	v_ldexp_f32 v11, v14, v15
	v_mul_f32_e32 v14, 0x3fb8aa3b, v7
	v_fma_f32 v15, v7, s3, -v14
	v_rndne_f32_e32 v33, v14
	v_fmac_f32_e32 v15, 0x32a5705f, v7
	v_sub_f32_e32 v14, v14, v33
	v_add_f32_e32 v14, v14, v15
	v_exp_f32_e32 v14, v14
	v_cvt_i32_f32_e32 v15, v33
	v_cmp_ngt_f32_e32 vcc, s0, v32
	v_cndmask_b32_e32 v11, 0, v11, vcc
	v_cmp_nlt_f32_e32 vcc, s2, v32
	v_cndmask_b32_e32 v32, v13, v11, vcc
	v_ldexp_f32 v11, v14, v15
	v_mul_f32_e32 v14, 0x3fb8aa3b, v6
	v_fma_f32 v15, v6, s3, -v14
	v_rndne_f32_e32 v33, v14
	v_fmac_f32_e32 v15, 0x32a5705f, v6
	v_sub_f32_e32 v14, v14, v33
	v_add_f32_e32 v14, v14, v15
	v_exp_f32_e32 v14, v14
	v_cvt_i32_f32_e32 v15, v33
	v_cmp_ngt_f32_e32 vcc, s0, v7
	v_cndmask_b32_e32 v11, 0, v11, vcc
	v_cmp_nlt_f32_e32 vcc, s2, v7
	v_pk_add_f32 v[4:5], v[4:5], v[16:17] op_sel_hi:[1,0] neg_lo:[0,1] neg_hi:[0,1]
	v_cndmask_b32_e32 v33, v13, v11, vcc
	v_mul_f32_e32 v11, 0x3fb8aa3b, v5
	v_ldexp_f32 v7, v14, v15
	v_fma_f32 v14, v5, s3, -v11
	v_rndne_f32_e32 v15, v11
	v_fmac_f32_e32 v14, 0x32a5705f, v5
	v_sub_f32_e32 v11, v11, v15
	v_add_f32_e32 v11, v11, v14
	v_exp_f32_e32 v11, v11
	v_cvt_i32_f32_e32 v14, v15
	v_cmp_ngt_f32_e32 vcc, s0, v6
	v_cndmask_b32_e32 v7, 0, v7, vcc
	v_cmp_nlt_f32_e32 vcc, s2, v6
	v_cndmask_b32_e32 v34, v13, v7, vcc
	v_mul_f32_e32 v7, 0x3fb8aa3b, v4
	v_ldexp_f32 v6, v11, v14
	v_fma_f32 v11, v4, s3, -v7
	v_rndne_f32_e32 v14, v7
	v_fmac_f32_e32 v11, 0x32a5705f, v4
	v_sub_f32_e32 v7, v7, v14
	v_add_f32_e32 v7, v7, v11
	v_exp_f32_e32 v7, v7
	v_cvt_i32_f32_e32 v11, v14
	v_cmp_ngt_f32_e32 vcc, s0, v5
	v_cndmask_b32_e32 v6, 0, v6, vcc
	v_cmp_nlt_f32_e32 vcc, s2, v5
	v_pk_add_f32 v[2:3], v[2:3], v[16:17] op_sel_hi:[1,0] neg_lo:[0,1] neg_hi:[0,1]
	v_cndmask_b32_e32 v35, v13, v6, vcc
	v_mul_f32_e32 v6, 0x3fb8aa3b, v3
	v_ldexp_f32 v5, v7, v11
	v_fma_f32 v7, v3, s3, -v6
	v_rndne_f32_e32 v11, v6
	v_fmac_f32_e32 v7, 0x32a5705f, v3
	v_sub_f32_e32 v6, v6, v11
	v_add_f32_e32 v6, v6, v7
	v_exp_f32_e32 v6, v6
	v_cvt_i32_f32_e32 v7, v11
	v_cmp_ngt_f32_e32 vcc, s0, v4
	v_cndmask_b32_e32 v5, 0, v5, vcc
	v_cmp_nlt_f32_e32 vcc, s2, v4
	v_cndmask_b32_e32 v37, v13, v5, vcc
	v_lshlrev_b64 v[4:5], 2, v[20:21]
	v_ldexp_f32 v11, v6, v7
	v_mov_b32_e32 v6, s4
	v_add_co_u32_e32 v4, vcc, s1, v4
	v_addc_co_u32_e32 v5, vcc, v6, v5, vcc
	v_add_co_u32_e32 v4, vcc, v4, v8
	v_addc_co_u32_e32 v5, vcc, v5, v9, vcc
	v_lshlrev_b64 v[6:7], 2, v[22:23]
	v_mov_b32_e32 v14, s4
	v_add_co_u32_e32 v6, vcc, s1, v6
	v_addc_co_u32_e32 v7, vcc, v14, v7, vcc
	v_add_co_u32_e32 v6, vcc, v6, v8
	v_addc_co_u32_e32 v7, vcc, v7, v9, vcc
	global_load_dwordx4 v[60:63], v[4:5], off
	global_load_dwordx4 v[64:67], v[6:7], off
	v_mul_f32_e32 v4, 0x3fb8aa3b, v2
	v_fma_f32 v5, v2, s3, -v4
	v_rndne_f32_e32 v6, v4
	v_fmac_f32_e32 v5, 0x32a5705f, v2
	v_sub_f32_e32 v4, v4, v6
	v_add_f32_e32 v4, v4, v5
	v_exp_f32_e32 v4, v4
	v_cvt_i32_f32_e32 v5, v6
	v_cmp_ngt_f32_e32 vcc, s0, v3
	v_pk_add_f32 v[0:1], v[0:1], v[16:17] op_sel_hi:[1,0] neg_lo:[0,1] neg_hi:[0,1]
	v_cndmask_b32_e32 v6, 0, v11, vcc
	v_cmp_nlt_f32_e32 vcc, s2, v3
	v_ldexp_f32 v3, v4, v5
	v_mul_f32_e32 v4, 0x3fb8aa3b, v1
	v_cndmask_b32_e32 v22, v13, v6, vcc
	v_fma_f32 v5, v1, s3, -v4
	v_rndne_f32_e32 v6, v4
	v_fmac_f32_e32 v5, 0x32a5705f, v1
	v_sub_f32_e32 v4, v4, v6
	v_add_f32_e32 v4, v4, v5
	v_exp_f32_e32 v4, v4
	v_cvt_i32_f32_e32 v5, v6
	v_cmp_ngt_f32_e32 vcc, s0, v2
	v_cndmask_b32_e32 v3, 0, v3, vcc
	v_cmp_nlt_f32_e32 vcc, s2, v2
	v_cndmask_b32_e32 v23, v13, v3, vcc
	v_mul_f32_e32 v3, 0x3fb8aa3b, v0
	v_ldexp_f32 v2, v4, v5
	v_fma_f32 v4, v0, s3, -v3
	v_rndne_f32_e32 v5, v3
	v_fmac_f32_e32 v4, 0x32a5705f, v0
	v_sub_f32_e32 v3, v3, v5
	v_add_f32_e32 v3, v3, v4
	v_cvt_i32_f32_e32 v4, v5
	v_sub_f32_e32 v5, v12, v16
	v_mul_f32_e32 v6, 0x3fb8aa3b, v5
	v_fma_f32 v7, v5, s3, -v6
	v_rndne_f32_e32 v8, v6
	v_fmac_f32_e32 v7, 0x32a5705f, v5
	v_sub_f32_e32 v6, v6, v8
	v_add_f32_e32 v6, v6, v7
	v_exp_f32_e32 v6, v6
	v_cvt_i32_f32_e32 v7, v8
	v_cmp_ngt_f32_e32 vcc, s0, v1
	v_cndmask_b32_e32 v2, 0, v2, vcc
	v_exp_f32_e32 v3, v3
	v_cmp_nlt_f32_e32 vcc, s2, v1
	v_cndmask_b32_e32 v56, v13, v2, vcc
	v_ldexp_f32 v2, v6, v7
	v_cmp_ngt_f32_e32 vcc, s0, v5
	v_cndmask_b32_e32 v2, 0, v2, vcc
	v_cmp_nlt_f32_e32 vcc, s2, v5
	s_mov_b32 s1, 0xc1a00000
	v_cndmask_b32_e32 v2, v13, v2, vcc
	v_cmp_le_f32_e32 vcc, s1, v5
	v_ldexp_f32 v1, v3, v4
	v_cndmask_b32_e32 v57, 0, v2, vcc
	v_cmp_ngt_f32_e32 vcc, s0, v0
	v_cndmask_b32_e32 v1, 0, v1, vcc
	v_cmp_nlt_f32_e32 vcc, s2, v0
	v_cndmask_b32_e32 v58, v13, v1, vcc
	v_cvt_f16_f32_e32 v11, v31
	v_cvt_f16_f32_e32 v13, v32
	;; [unrolled: 1-line block ×9, first 2 shown]
	v_pack_b32_f16 v13, v13, v11
	v_lshl_add_u32 v11, v54, 1, 0
	v_pack_b32_f16 v15, v6, v5
	v_pack_b32_f16 v12, v9, v7
	s_waitcnt vmcnt(1)
	ds_write_b128 v18, v[60:63]
	s_waitcnt vmcnt(0)
	ds_write_b128 v19, v[64:67]
	s_waitcnt lgkmcnt(0)
	s_barrier
	v_lshl_add_u32 v7, v52, 1, 0
	v_add3_u32 v6, 0, v53, v51
	v_add3_u32 v9, 0, v55, v51
	s_mov_b32 s0, 0x5040100
	ds_read_u16 v18, v11
	ds_read_u16 v5, v11 offset:32
	ds_read_u16 v51, v11 offset:64
	ds_read_u16 v19, v9
	ds_read_u16 v39, v9 offset:32
	ds_read_u16 v52, v9 offset:64
	;; [unrolled: 1-line block ×12, first 2 shown]
	s_waitcnt lgkmcnt(12)
	v_perm_b32 v19, v19, v18, s0
	ds_read_u16 v18, v7
	ds_read_u16 v63, v7 offset:32
	ds_read_u16 v65, v7 offset:64
	;; [unrolled: 1-line block ×15, first 2 shown]
	v_pk_mul_f16 v1, v8, v116 op_sel_hi:[0,1]
	v_pk_mul_f16 v3, v8, v115 op_sel_hi:[0,1]
	s_waitcnt lgkmcnt(12)
	v_perm_b32 v18, v49, v18, s0
	v_pack_b32_f16 v14, v2, v0
	v_cvt_f32_f16_e32 v0, v1
	v_cvt_f32_f16_sdwa v1, v1 dst_sel:DWORD dst_unused:UNUSED_PAD src0_sel:WORD_1
	v_cvt_f32_f16_e32 v2, v3
	v_cvt_f32_f16_sdwa v3, v3 dst_sel:DWORD dst_unused:UNUSED_PAD src0_sel:WORD_1
	v_perm_b32 v49, v48, v21, s0
	s_waitcnt lgkmcnt(1)
	v_perm_b32 v48, v61, v60, s0
	v_mfma_f32_16x16x16f16 v[0:3], v[18:19], v[14:15], v[0:3]
	v_cvt_f16_f32_e32 v20, v33
	v_cvt_f16_f32_e32 v62, v34
	v_cvt_f16_f32_e32 v76, v35
	v_cvt_f16_f32_e32 v77, v37
	v_cvt_f16_f32_e32 v60, v22
	v_pack_b32_f16 v18, v62, v20
	v_pk_mul_f16 v4, v8, v117 op_sel_hi:[0,1]
	s_nop 3
	v_cvt_f16_f32_e32 v0, v0
	v_cvt_f16_f32_e32 v1, v1
	;; [unrolled: 1-line block ×4, first 2 shown]
	v_cvt_f32_f16_e32 v0, v0
	v_cvt_f32_f16_e32 v1, v1
	;; [unrolled: 1-line block ×4, first 2 shown]
	v_pack_b32_f16 v19, v77, v76
	v_cvt_f16_f32_e32 v99, v56
	v_mfma_f32_16x16x16f16 v[0:3], v[48:49], v[12:13], v[0:3]
	ds_read_u16 v20, v11 offset:4608
	ds_read_u16 v76, v11 offset:4640
	;; [unrolled: 1-line block ×16, first 2 shown]
	s_waitcnt lgkmcnt(12)
	v_perm_b32 v21, v21, v20, s0
	ds_read_u16 v9, v7 offset:4608
	ds_read_u16 v87, v7 offset:4640
	;; [unrolled: 1-line block ×16, first 2 shown]
	s_waitcnt lgkmcnt(12)
	v_perm_b32 v20, v20, v9, s0
	v_cvt_f16_f32_e32 v9, v23
	v_cvt_f16_f32_e32 v100, v58
	v_perm_b32 v7, v49, v48, s0
	v_cvt_f16_f32_e32 v0, v0
	v_cvt_f16_f32_e32 v1, v1
	;; [unrolled: 1-line block ×4, first 2 shown]
	v_cvt_f32_f16_e32 v0, v0
	v_cvt_f32_f16_e32 v1, v1
	;; [unrolled: 1-line block ×4, first 2 shown]
	s_waitcnt lgkmcnt(1)
	v_perm_b32 v6, v62, v61, s0
	v_pk_mul_f16 v48, v8, v110 op_sel_hi:[0,1]
	v_mfma_f32_16x16x16f16 v[0:3], v[20:21], v[18:19], v[0:3]
	v_pack_b32_f16 v20, v9, v60
	v_cvt_f32_f16_e32 v60, v4
	v_cvt_f32_f16_sdwa v61, v4 dst_sel:DWORD dst_unused:UNUSED_PAD src0_sel:WORD_1
	v_perm_b32 v5, v39, v5, s0
	v_perm_b32 v4, v66, v63, s0
	v_cvt_f32_f16_e32 v62, v48
	v_cvt_f32_f16_sdwa v63, v48 dst_sel:DWORD dst_unused:UNUSED_PAD src0_sel:WORD_1
	s_nop 3
	v_cvt_f16_f32_e32 v0, v0
	v_cvt_f16_f32_e32 v1, v1
	;; [unrolled: 1-line block ×4, first 2 shown]
	v_cvt_f32_f16_e32 v0, v0
	v_cvt_f32_f16_e32 v1, v1
	;; [unrolled: 1-line block ×4, first 2 shown]
	v_pack_b32_f16 v21, v100, v99
	v_perm_b32 v49, v46, v54, s0
	v_perm_b32 v48, v72, v68, s0
	v_mfma_f32_16x16x16f16 v[0:3], v[6:7], v[20:21], v[0:3]
	v_pk_mul_f16 v9, v8, v112 op_sel_hi:[0,1]
	s_mov_b32 s1, 0
	v_cmp_gt_u32_e32 vcc, 16, v44
	s_waitcnt lgkmcnt(0)
	s_barrier
	v_mfma_f32_16x16x16f16 v[4:7], v[4:5], v[14:15], v[60:63]
	s_barrier
	s_nop 5
	v_cvt_f32_f16_e32 v60, v9
	s_nop 2
	v_cvt_f16_f32_e32 v4, v4
	v_cvt_f16_f32_e32 v5, v5
	;; [unrolled: 1-line block ×4, first 2 shown]
	v_cvt_f32_f16_e32 v4, v4
	v_cvt_f32_f16_e32 v5, v5
	;; [unrolled: 1-line block ×4, first 2 shown]
	v_cvt_f32_f16_sdwa v61, v9 dst_sel:DWORD dst_unused:UNUSED_PAD src0_sel:WORD_1
	s_nop 0
	v_mfma_f32_16x16x16f16 v[4:7], v[48:49], v[12:13], v[4:7]
	v_perm_b32 v49, v78, v76, s0
	v_perm_b32 v48, v89, v87, s0
	s_nop 7
	s_nop 0
	v_cvt_f16_f32_e32 v4, v4
	v_cvt_f16_f32_e32 v5, v5
	;; [unrolled: 1-line block ×4, first 2 shown]
	v_cvt_f32_f16_e32 v4, v4
	v_cvt_f32_f16_e32 v5, v5
	;; [unrolled: 1-line block ×4, first 2 shown]
	s_nop 1
	v_mfma_f32_16x16x16f16 v[4:7], v[48:49], v[18:19], v[4:7]
	v_perm_b32 v49, v11, v80, s0
	v_perm_b32 v48, v95, v91, s0
	v_pk_mul_f16 v11, v8, v111 op_sel_hi:[0,1]
	v_cvt_f32_f16_e32 v62, v11
	v_cvt_f32_f16_sdwa v63, v11 dst_sel:DWORD dst_unused:UNUSED_PAD src0_sel:WORD_1
	s_nop 5
	v_cvt_f16_f32_e32 v4, v4
	v_cvt_f16_f32_e32 v5, v5
	;; [unrolled: 1-line block ×4, first 2 shown]
	v_cvt_f32_f16_e32 v4, v4
	v_cvt_f32_f16_e32 v5, v5
	;; [unrolled: 1-line block ×4, first 2 shown]
	s_nop 1
	v_mfma_f32_16x16x16f16 v[4:7], v[48:49], v[20:21], v[4:7]
	v_perm_b32 v49, v52, v51, s0
	v_perm_b32 v48, v67, v65, s0
	s_nop 1
	v_mfma_f32_16x16x16f16 v[60:63], v[48:49], v[14:15], v[60:63]
	v_perm_b32 v49, v55, v53, s0
	v_perm_b32 v48, v73, v69, s0
	s_nop 7
	s_nop 0
	v_cvt_f16_f32_e32 v9, v60
	v_cvt_f16_f32_e32 v11, v61
	;; [unrolled: 1-line block ×4, first 2 shown]
	v_cvt_f32_f16_e32 v60, v9
	v_cvt_f32_f16_e32 v61, v11
	;; [unrolled: 1-line block ×4, first 2 shown]
	v_add_f32_e32 v9, v27, v26
	v_add_f32_e32 v9, v29, v9
	v_mfma_f32_16x16x16f16 v[52:55], v[48:49], v[12:13], v[60:63]
	v_add_f32_e32 v9, v28, v9
	v_add_f32_e32 v9, v10, v9
	v_pk_mul_f16 v46, v8, v113 op_sel_hi:[0,1]
	v_perm_b32 v49, v64, v43, s0
	v_perm_b32 v48, v75, v71, s0
	v_add_f32_e32 v30, v30, v9
	v_add_f32_e32 v30, v32, v30
	s_nop 3
	v_cvt_f16_f32_e32 v26, v53
	v_cvt_f16_f32_e32 v27, v54
	;; [unrolled: 1-line block ×4, first 2 shown]
	v_cvt_f32_f16_e32 v53, v26
	v_cvt_f32_f16_e32 v54, v27
	v_perm_b32 v27, v79, v77, s0
	v_perm_b32 v26, v90, v88, s0
	v_cvt_f32_f16_e32 v52, v11
	v_cvt_f32_f16_e32 v55, v39
	v_pk_mul_f16 v39, v8, v114 op_sel_hi:[0,1]
	v_add_f32_e32 v30, v31, v30
	v_mfma_f32_16x16x16f16 v[26:29], v[26:27], v[18:19], v[52:55]
	v_add_f32_e32 v30, v34, v30
	v_add_f32_e32 v30, v33, v30
	;; [unrolled: 1-line block ×7, first 2 shown]
	s_nop 3
	v_cvt_f16_f32_e32 v10, v26
	v_cvt_f16_f32_e32 v11, v27
	;; [unrolled: 1-line block ×4, first 2 shown]
	v_cvt_f32_f16_e32 v26, v10
	v_cvt_f32_f16_e32 v27, v11
	v_perm_b32 v11, v84, v81, s0
	v_perm_b32 v10, v96, v92, s0
	v_cvt_f32_f16_e32 v28, v28
	v_cvt_f32_f16_e32 v29, v29
	v_add_f32_e32 v22, v56, v22
	v_fmac_f32_e32 v22, v36, v57
	v_mfma_f32_16x16x16f16 v[8:11], v[10:11], v[20:21], v[26:29]
	ds_bpermute_b32 v17, v17, v22
	s_waitcnt lgkmcnt(0)
	v_add_f32_e32 v17, v22, v17
	s_nop 3
	v_cvt_f32_f16_e32 v26, v39
	v_cvt_f32_f16_sdwa v27, v39 dst_sel:DWORD dst_unused:UNUSED_PAD src0_sel:WORD_1
	v_cvt_f32_f16_e32 v28, v46
	v_cvt_f32_f16_sdwa v29, v46 dst_sel:DWORD dst_unused:UNUSED_PAD src0_sel:WORD_1
	s_nop 1
	v_mfma_f32_16x16x16f16 v[26:29], v[48:49], v[14:15], v[26:29]
	s_nop 7
	s_nop 2
	v_cvt_f16_f32_e32 v14, v26
	v_cvt_f16_f32_e32 v15, v27
	;; [unrolled: 1-line block ×4, first 2 shown]
	v_cvt_f32_f16_e32 v26, v14
	v_cvt_f32_f16_e32 v27, v15
	v_perm_b32 v15, v59, v42, s0
	v_perm_b32 v14, v74, v70, s0
	v_cvt_f32_f16_e32 v28, v28
	v_cvt_f32_f16_e32 v29, v29
	s_nop 1
	v_mfma_f32_16x16x16f16 v[12:15], v[14:15], v[12:13], v[26:29]
	s_nop 6
	v_perm_b32 v27, v86, v83, s0
	s_nop 2
	v_cvt_f16_f32_e32 v12, v12
	v_cvt_f16_f32_e32 v13, v13
	;; [unrolled: 1-line block ×4, first 2 shown]
	v_perm_b32 v26, v98, v94, s0
	v_cvt_f32_f16_e32 v12, v12
	v_cvt_f32_f16_e32 v13, v13
	;; [unrolled: 1-line block ×4, first 2 shown]
	s_nop 1
	v_mfma_f32_16x16x16f16 v[12:15], v[26:27], v[18:19], v[12:15]
	v_perm_b32 v19, v85, v82, s0
	v_perm_b32 v18, v97, v93, s0
	s_nop 7
	s_nop 0
	v_cvt_f16_f32_e32 v12, v12
	v_cvt_f16_f32_e32 v13, v13
	;; [unrolled: 1-line block ×4, first 2 shown]
	v_cvt_f32_f16_e32 v12, v12
	v_cvt_f32_f16_e32 v13, v13
	;; [unrolled: 1-line block ×4, first 2 shown]
	s_nop 1
	v_mfma_f32_16x16x16f16 v[12:15], v[18:19], v[20:21], v[12:15]
	ds_bpermute_b32 v18, v24, v17
	s_and_saveexec_b64 s[2:3], vcc
	v_readlane_b32 s6, v127, 8
	s_cbranch_execz .LBB0_243
; %bb.242:
	v_readlane_b32 s0, v127, 9
	s_add_i32 s0, s0, s6
	s_lshl_b32 s0, s0, 6
	s_lshl_b64 s[4:5], s[0:1], 3
	s_add_u32 s0, s22, s4
	v_or_b32_e32 v20, v50, v44
	v_mov_b32_e32 v21, 0
	s_addc_u32 s4, s23, s5
	v_lshlrev_b64 v[20:21], 3, v[20:21]
	v_mov_b32_e32 v19, s4
	v_add_co_u32_e32 v20, vcc, s0, v20
	v_addc_co_u32_e32 v21, vcc, v19, v21, vcc
	s_waitcnt lgkmcnt(0)
	v_add_f32_e32 v17, v17, v18
	global_store_dwordx2 v[20:21], v[16:17], off
.LBB0_243:
	s_or_b64 exec, exec, s[2:3]
	v_cvt_f16_f32_e32 v0, v0
	v_cvt_f16_f32_e32 v1, v1
	;; [unrolled: 1-line block ×8, first 2 shown]
	v_pack_b32_f16 v2, v2, v3
	v_pack_b32_f16 v0, v0, v1
	;; [unrolled: 1-line block ×4, first 2 shown]
	v_cvt_f16_f32_e32 v4, v8
	v_cvt_f16_f32_e32 v6, v10
	;; [unrolled: 1-line block ×8, first 2 shown]
	v_pack_b32_f16 v6, v6, v7
	v_pack_b32_f16 v7, v8, v11
	v_or_b32_e32 v8, v50, v41
	v_mad_i32_i24 v8, v8, 36, v106
	v_readlane_b32 s2, v127, 4
	v_lshl_add_u32 v8, v8, 2, 0
	v_readlane_b32 s3, v127, 5
	v_pack_b32_f16 v4, v4, v5
	v_pack_b32_f16 v5, v9, v10
	ds_write2_b32 v8, v0, v2 offset1:1
	ds_write2_b32 v8, v3, v1 offset0:8 offset1:9
	ds_write2_b32 v8, v4, v6 offset0:16 offset1:17
	;; [unrolled: 1-line block ×3, first 2 shown]
	s_waitcnt lgkmcnt(0)
	s_barrier
	s_load_dword s0, s[2:3], 0x10
	s_load_dword s4, s[2:3], 0x0
	v_mul_u32_u24_e32 v0, 36, v38
	v_lshl_add_u32 v2, v0, 2, v25
	v_add_u32_e32 v7, 0x80, v2
	s_waitcnt lgkmcnt(0)
	s_lshr_b32 s0, s0, 16
	s_cmp_lg_u32 s0, 0
	s_cselect_b64 s[2:3], -1, 0
	s_cmp_lg_u64 s[2:3], 0
	s_addc_u32 s0, s4, 0
	s_lshl_b32 s0, s0, 7
	s_lshl_b64 s[2:3], s[0:1], 3
	s_add_u32 s2, s22, s2
	s_addc_u32 s3, s23, s3
	s_lshl_b32 s0, s6, 11
	s_lshl_b64 s[0:1], s[0:1], 3
	ds_read_b32 v8, v2
	s_add_u32 s0, s2, s0
	ds_read2st64_b32 v[0:1], v7 offset0:4 offset1:13
	v_and_b32_e32 v3, 15, v38
	s_movk_i32 s2, 0x1ff0
	v_and_or_b32 v4, v102, s2, v3
	v_and_or_b32 v5, v45, s2, v3
	;; [unrolled: 1-line block ×3, first 2 shown]
	v_mul_u32_u24_e32 v4, 36, v4
	v_mul_u32_u24_e32 v3, 36, v3
	v_lshl_add_u32 v4, v4, 2, v25
	v_mul_u32_u24_e32 v5, 36, v5
	v_lshl_add_u32 v2, v3, 2, v25
	v_lshl_add_u32 v5, v5, 2, v25
	ds_read_b32 v9, v4
	ds_read_b32 v10, v5
	;; [unrolled: 1-line block ×3, first 2 shown]
	s_waitcnt lgkmcnt(4)
	v_cvt_f32_f16_e32 v2, v8
	v_cvt_f32_f16_sdwa v3, v8 dst_sel:DWORD dst_unused:UNUSED_PAD src0_sel:WORD_1
	s_waitcnt lgkmcnt(3)
	v_cvt_f32_f16_e32 v4, v0
	v_cvt_f32_f16_sdwa v5, v0 dst_sel:DWORD dst_unused:UNUSED_PAD src0_sel:WORD_1
	v_lshlrev_b32_e32 v6, 3, v40
	s_addc_u32 s1, s3, s1
	v_lshl_or_b32 v8, v38, 8, v6
	v_pk_add_f32 v[2:3], v[2:3], 0 op_sel_hi:[1,0]
	global_store_dwordx2 v8, v[2:3], s[0:1]
	v_lshl_or_b32 v0, v101, 8, v6
	v_pk_add_f32 v[2:3], v[4:5], 0 op_sel_hi:[1,0]
	global_store_dwordx2 v0, v[2:3], s[0:1]
	s_waitcnt lgkmcnt(2)
	v_cvt_f32_f16_e32 v2, v9
	v_cvt_f32_f16_sdwa v3, v9 dst_sel:DWORD dst_unused:UNUSED_PAD src0_sel:WORD_1
	v_lshl_or_b32 v4, v102, 8, v6
	v_cvt_f32_f16_e32 v0, v1
	v_cvt_f32_f16_sdwa v1, v1 dst_sel:DWORD dst_unused:UNUSED_PAD src0_sel:WORD_1
	v_pk_add_f32 v[2:3], v[2:3], 0 op_sel_hi:[1,0]
	global_store_dwordx2 v4, v[2:3], s[0:1]
	ds_read2st64_b32 v[2:3], v7 offset0:22 offset1:31
	v_lshl_or_b32 v4, v103, 8, v6
	v_pk_add_f32 v[0:1], v[0:1], 0 op_sel_hi:[1,0]
	global_store_dwordx2 v4, v[0:1], s[0:1]
	s_waitcnt lgkmcnt(2)
	v_cvt_f32_f16_e32 v0, v10
	v_cvt_f32_f16_sdwa v1, v10 dst_sel:DWORD dst_unused:UNUSED_PAD src0_sel:WORD_1
	s_waitcnt lgkmcnt(0)
	v_cvt_f32_f16_e32 v4, v2
	v_cvt_f32_f16_sdwa v5, v2 dst_sel:DWORD dst_unused:UNUSED_PAD src0_sel:WORD_1
	v_lshl_or_b32 v7, v45, 8, v6
	v_pk_add_f32 v[0:1], v[0:1], 0 op_sel_hi:[1,0]
	global_store_dwordx2 v7, v[0:1], s[0:1]
	v_lshl_or_b32 v2, v104, 8, v6
	v_pk_add_f32 v[0:1], v[4:5], 0 op_sel_hi:[1,0]
	global_store_dwordx2 v2, v[0:1], s[0:1]
	v_cvt_f32_f16_e32 v0, v11
	v_cvt_f32_f16_sdwa v1, v11 dst_sel:DWORD dst_unused:UNUSED_PAD src0_sel:WORD_1
	v_cvt_f32_f16_e32 v2, v3
	v_cvt_f32_f16_sdwa v3, v3 dst_sel:DWORD dst_unused:UNUSED_PAD src0_sel:WORD_1
	v_lshl_or_b32 v4, v47, 8, v6
	v_pk_add_f32 v[0:1], v[0:1], 0 op_sel_hi:[1,0]
	global_store_dwordx2 v4, v[0:1], s[0:1]
	v_lshl_or_b32 v4, v105, 8, v6
	v_pk_add_f32 v[0:1], v[2:3], 0 op_sel_hi:[1,0]
	global_store_dwordx2 v4, v[0:1], s[0:1]
.LBB0_244:
	s_endpgm
	.section	.rodata,"a",@progbits
	.p2align	6, 0x0
	.amdhsa_kernel _ZL18flash_attn_ext_f16ILi64ELi64ELi16ELi4ELb0ELb0EEvPKcS1_S1_S1_S1_PKiPfP15HIP_vector_typeIfLj2EEffffjfiS5_IjLj3EEiiiiiiiiiiiliiliiiiil
		.amdhsa_group_segment_fixed_size 0
		.amdhsa_private_segment_fixed_size 176
		.amdhsa_kernarg_size 464
		.amdhsa_user_sgpr_count 6
		.amdhsa_user_sgpr_private_segment_buffer 1
		.amdhsa_user_sgpr_dispatch_ptr 0
		.amdhsa_user_sgpr_queue_ptr 0
		.amdhsa_user_sgpr_kernarg_segment_ptr 1
		.amdhsa_user_sgpr_dispatch_id 0
		.amdhsa_user_sgpr_flat_scratch_init 0
		.amdhsa_user_sgpr_kernarg_preload_length 0
		.amdhsa_user_sgpr_kernarg_preload_offset 0
		.amdhsa_user_sgpr_private_segment_size 0
		.amdhsa_uses_dynamic_stack 0
		.amdhsa_system_sgpr_private_segment_wavefront_offset 1
		.amdhsa_system_sgpr_workgroup_id_x 1
		.amdhsa_system_sgpr_workgroup_id_y 0
		.amdhsa_system_sgpr_workgroup_id_z 0
		.amdhsa_system_sgpr_workgroup_info 0
		.amdhsa_system_vgpr_workitem_id 1
		.amdhsa_next_free_vgpr 128
		.amdhsa_next_free_sgpr 100
		.amdhsa_accum_offset 128
		.amdhsa_reserve_vcc 1
		.amdhsa_reserve_flat_scratch 0
		.amdhsa_float_round_mode_32 0
		.amdhsa_float_round_mode_16_64 0
		.amdhsa_float_denorm_mode_32 3
		.amdhsa_float_denorm_mode_16_64 3
		.amdhsa_dx10_clamp 1
		.amdhsa_ieee_mode 1
		.amdhsa_fp16_overflow 0
		.amdhsa_tg_split 0
		.amdhsa_exception_fp_ieee_invalid_op 0
		.amdhsa_exception_fp_denorm_src 0
		.amdhsa_exception_fp_ieee_div_zero 0
		.amdhsa_exception_fp_ieee_overflow 0
		.amdhsa_exception_fp_ieee_underflow 0
		.amdhsa_exception_fp_ieee_inexact 0
		.amdhsa_exception_int_div_zero 0
	.end_amdhsa_kernel
	.section	.text._ZL18flash_attn_ext_f16ILi64ELi64ELi16ELi4ELb0ELb0EEvPKcS1_S1_S1_S1_PKiPfP15HIP_vector_typeIfLj2EEffffjfiS5_IjLj3EEiiiiiiiiiiiliiliiiiil,"axG",@progbits,_ZL18flash_attn_ext_f16ILi64ELi64ELi16ELi4ELb0ELb0EEvPKcS1_S1_S1_S1_PKiPfP15HIP_vector_typeIfLj2EEffffjfiS5_IjLj3EEiiiiiiiiiiiliiliiiiil,comdat
.Lfunc_end0:
	.size	_ZL18flash_attn_ext_f16ILi64ELi64ELi16ELi4ELb0ELb0EEvPKcS1_S1_S1_S1_PKiPfP15HIP_vector_typeIfLj2EEffffjfiS5_IjLj3EEiiiiiiiiiiiliiliiiiil, .Lfunc_end0-_ZL18flash_attn_ext_f16ILi64ELi64ELi16ELi4ELb0ELb0EEvPKcS1_S1_S1_S1_PKiPfP15HIP_vector_typeIfLj2EEffffjfiS5_IjLj3EEiiiiiiiiiiiliiliiiiil
                                        ; -- End function
	.section	.AMDGPU.csdata,"",@progbits
; Kernel info:
; codeLenInByte = 43528
; NumSgprs: 104
; NumVgprs: 128
; NumAgprs: 0
; TotalNumVgprs: 128
; ScratchSize: 176
; MemoryBound: 0
; FloatMode: 240
; IeeeMode: 1
; LDSByteSize: 0 bytes/workgroup (compile time only)
; SGPRBlocks: 12
; VGPRBlocks: 15
; NumSGPRsForWavesPerEU: 104
; NumVGPRsForWavesPerEU: 128
; AccumOffset: 128
; Occupancy: 4
; WaveLimiterHint : 0
; COMPUTE_PGM_RSRC2:SCRATCH_EN: 1
; COMPUTE_PGM_RSRC2:USER_SGPR: 6
; COMPUTE_PGM_RSRC2:TRAP_HANDLER: 0
; COMPUTE_PGM_RSRC2:TGID_X_EN: 1
; COMPUTE_PGM_RSRC2:TGID_Y_EN: 0
; COMPUTE_PGM_RSRC2:TGID_Z_EN: 0
; COMPUTE_PGM_RSRC2:TIDIG_COMP_CNT: 1
; COMPUTE_PGM_RSRC3_GFX90A:ACCUM_OFFSET: 31
; COMPUTE_PGM_RSRC3_GFX90A:TG_SPLIT: 0
	.text
	.p2align	2                               ; -- Begin function __ockl_printf_append_string_n
	.type	__ockl_printf_append_string_n,@function
__ockl_printf_append_string_n:          ; @__ockl_printf_append_string_n
; %bb.0:
	s_waitcnt vmcnt(0) expcnt(0) lgkmcnt(0)
	v_mov_b32_e32 v7, v3
	v_mov_b32_e32 v6, v2
	;; [unrolled: 1-line block ×3, first 2 shown]
	s_mov_b64 s[6:7], 0
	v_cmp_ne_u64_e32 vcc, 0, v[6:7]
	v_mbcnt_lo_u32_b32 v2, -1, 0
	s_and_saveexec_b64 s[4:5], vcc
	s_xor_b64 s[10:11], exec, s[4:5]
	s_cbranch_execz .LBB1_86
; %bb.1:
	s_load_dwordx2 s[12:13], s[8:9], 0x50
	v_and_b32_e32 v28, 2, v3
	s_mov_b32 s22, 0
	v_mov_b32_e32 v31, 0
	v_and_b32_e32 v0, -3, v3
	v_mbcnt_hi_u32_b32 v32, -1, v2
	s_movk_i32 s23, 0xff1f
	v_mov_b32_e32 v10, 2
	v_mov_b32_e32 v11, 1
	s_branch .LBB1_3
.LBB1_2:                                ;   in Loop: Header=BB1_3 Depth=1
	s_or_b64 exec, exec, s[16:17]
	v_sub_co_u32_e32 v4, vcc, v4, v34
	v_subb_co_u32_e32 v5, vcc, v5, v35, vcc
	v_cmp_eq_u64_e32 vcc, 0, v[4:5]
	s_or_b64 s[6:7], vcc, s[6:7]
	v_add_co_u32_e32 v6, vcc, v6, v34
	v_addc_co_u32_e32 v7, vcc, v7, v35, vcc
	s_andn2_b64 exec, exec, s[6:7]
	s_cbranch_execz .LBB1_85
.LBB1_3:                                ; =>This Loop Header: Depth=1
                                        ;     Child Loop BB1_6 Depth 2
                                        ;     Child Loop BB1_14 Depth 2
	;; [unrolled: 1-line block ×11, first 2 shown]
	v_cmp_gt_u64_e32 vcc, 56, v[4:5]
	v_cndmask_b32_e32 v35, 0, v5, vcc
	v_cndmask_b32_e32 v34, 56, v4, vcc
	v_cmp_gt_u64_e32 vcc, 8, v[4:5]
                                        ; implicit-def: $vgpr2_vgpr3
                                        ; implicit-def: $sgpr14
	s_and_saveexec_b64 s[4:5], vcc
	s_xor_b64 s[4:5], exec, s[4:5]
	s_cbranch_execz .LBB1_9
; %bb.4:                                ;   in Loop: Header=BB1_3 Depth=1
	s_mov_b64 s[16:17], 0
	v_cmp_ne_u64_e32 vcc, 0, v[4:5]
	s_waitcnt vmcnt(0)
	v_pk_mov_b32 v[2:3], 0, 0
	s_and_saveexec_b64 s[14:15], vcc
	s_cbranch_execz .LBB1_8
; %bb.5:                                ;   in Loop: Header=BB1_3 Depth=1
	v_lshlrev_b64 v[8:9], 3, v[34:35]
	v_pk_mov_b32 v[2:3], 0, 0
	v_pk_mov_b32 v[12:13], v[6:7], v[6:7] op_sel:[0,1]
	s_mov_b64 s[18:19], 0
.LBB1_6:                                ;   Parent Loop BB1_3 Depth=1
                                        ; =>  This Inner Loop Header: Depth=2
	flat_load_ubyte v9, v[12:13]
	v_mov_b32_e32 v15, s22
	v_add_co_u32_e32 v12, vcc, 1, v12
	v_addc_co_u32_e32 v13, vcc, 0, v13, vcc
	s_waitcnt vmcnt(0) lgkmcnt(0)
	v_and_b32_e32 v14, 0xffff, v9
	v_lshlrev_b64 v[14:15], s18, v[14:15]
	s_add_u32 s18, s18, 8
	s_addc_u32 s19, s19, 0
	v_cmp_eq_u32_e32 vcc, s18, v8
	v_or_b32_e32 v3, v15, v3
	s_or_b64 s[16:17], vcc, s[16:17]
	v_or_b32_e32 v2, v14, v2
	s_andn2_b64 exec, exec, s[16:17]
	s_cbranch_execnz .LBB1_6
; %bb.7:                                ;   in Loop: Header=BB1_3 Depth=1
	s_or_b64 exec, exec, s[16:17]
.LBB1_8:                                ;   in Loop: Header=BB1_3 Depth=1
	s_or_b64 exec, exec, s[14:15]
	s_mov_b32 s14, 0
.LBB1_9:                                ;   in Loop: Header=BB1_3 Depth=1
	s_or_saveexec_b64 s[4:5], s[4:5]
	v_mov_b32_e32 v14, s14
	v_pk_mov_b32 v[8:9], v[6:7], v[6:7] op_sel:[0,1]
	s_xor_b64 exec, exec, s[4:5]
	s_cbranch_execz .LBB1_11
; %bb.10:                               ;   in Loop: Header=BB1_3 Depth=1
	s_waitcnt vmcnt(0)
	flat_load_dwordx2 v[2:3], v[6:7]
	v_add_u32_e32 v14, -8, v34
	s_waitcnt vmcnt(0) lgkmcnt(0)
	v_and_b32_e32 v8, 0xff, v3
	v_and_b32_e32 v9, 0xff00, v3
	;; [unrolled: 1-line block ×4, first 2 shown]
	v_or_b32_e32 v8, v8, v9
	v_or3_b32 v3, v8, v12, v3
	v_add_co_u32_e32 v8, vcc, 8, v6
	v_or3_b32 v2, v2, 0, 0
	v_addc_co_u32_e32 v9, vcc, 0, v7, vcc
.LBB1_11:                               ;   in Loop: Header=BB1_3 Depth=1
	s_or_b64 exec, exec, s[4:5]
	v_cmp_gt_u32_e32 vcc, 8, v14
                                        ; implicit-def: $vgpr12_vgpr13
                                        ; implicit-def: $sgpr14
	s_and_saveexec_b64 s[4:5], vcc
	s_xor_b64 s[4:5], exec, s[4:5]
	s_cbranch_execz .LBB1_17
; %bb.12:                               ;   in Loop: Header=BB1_3 Depth=1
	v_cmp_ne_u32_e32 vcc, 0, v14
	v_pk_mov_b32 v[12:13], 0, 0
	s_and_saveexec_b64 s[14:15], vcc
	s_cbranch_execz .LBB1_16
; %bb.13:                               ;   in Loop: Header=BB1_3 Depth=1
	s_mov_b64 s[16:17], 0
	v_pk_mov_b32 v[12:13], 0, 0
	s_mov_b64 s[18:19], 0
	s_mov_b64 s[20:21], 0
.LBB1_14:                               ;   Parent Loop BB1_3 Depth=1
                                        ; =>  This Inner Loop Header: Depth=2
	v_mov_b32_e32 v15, s21
	v_add_co_u32_e32 v16, vcc, s20, v8
	v_addc_co_u32_e32 v17, vcc, v9, v15, vcc
	flat_load_ubyte v15, v[16:17]
	s_add_u32 s20, s20, 1
	v_mov_b32_e32 v17, s22
	s_addc_u32 s21, s21, 0
	v_cmp_eq_u32_e32 vcc, s20, v14
	s_waitcnt vmcnt(0) lgkmcnt(0)
	v_and_b32_e32 v16, 0xffff, v15
	v_lshlrev_b64 v[16:17], s18, v[16:17]
	s_add_u32 s18, s18, 8
	s_addc_u32 s19, s19, 0
	v_or_b32_e32 v13, v17, v13
	s_or_b64 s[16:17], vcc, s[16:17]
	v_or_b32_e32 v12, v16, v12
	s_andn2_b64 exec, exec, s[16:17]
	s_cbranch_execnz .LBB1_14
; %bb.15:                               ;   in Loop: Header=BB1_3 Depth=1
	s_or_b64 exec, exec, s[16:17]
.LBB1_16:                               ;   in Loop: Header=BB1_3 Depth=1
	s_or_b64 exec, exec, s[14:15]
	s_mov_b32 s14, 0
                                        ; implicit-def: $vgpr14
.LBB1_17:                               ;   in Loop: Header=BB1_3 Depth=1
	s_or_saveexec_b64 s[4:5], s[4:5]
	v_mov_b32_e32 v16, s14
	s_xor_b64 exec, exec, s[4:5]
	s_cbranch_execz .LBB1_19
; %bb.18:                               ;   in Loop: Header=BB1_3 Depth=1
	flat_load_dwordx2 v[12:13], v[8:9]
	v_add_u32_e32 v16, -8, v14
	v_add_co_u32_e32 v8, vcc, 8, v8
	v_addc_co_u32_e32 v9, vcc, 0, v9, vcc
	s_waitcnt vmcnt(0) lgkmcnt(0)
	v_and_b32_e32 v14, 0xff, v13
	v_and_b32_e32 v15, 0xff00, v13
	;; [unrolled: 1-line block ×4, first 2 shown]
	v_or_b32_e32 v14, v14, v15
	v_or3_b32 v12, v12, 0, 0
	v_or3_b32 v13, v14, v17, v13
.LBB1_19:                               ;   in Loop: Header=BB1_3 Depth=1
	s_or_b64 exec, exec, s[4:5]
	v_cmp_gt_u32_e32 vcc, 8, v16
                                        ; implicit-def: $sgpr14
	s_and_saveexec_b64 s[4:5], vcc
	s_xor_b64 s[4:5], exec, s[4:5]
	s_cbranch_execz .LBB1_25
; %bb.20:                               ;   in Loop: Header=BB1_3 Depth=1
	v_cmp_ne_u32_e32 vcc, 0, v16
	v_pk_mov_b32 v[14:15], 0, 0
	s_and_saveexec_b64 s[14:15], vcc
	s_cbranch_execz .LBB1_24
; %bb.21:                               ;   in Loop: Header=BB1_3 Depth=1
	s_mov_b64 s[16:17], 0
	v_pk_mov_b32 v[14:15], 0, 0
	s_mov_b64 s[18:19], 0
	s_mov_b64 s[20:21], 0
.LBB1_22:                               ;   Parent Loop BB1_3 Depth=1
                                        ; =>  This Inner Loop Header: Depth=2
	v_mov_b32_e32 v17, s21
	v_add_co_u32_e32 v18, vcc, s20, v8
	v_addc_co_u32_e32 v19, vcc, v9, v17, vcc
	flat_load_ubyte v17, v[18:19]
	s_add_u32 s20, s20, 1
	v_mov_b32_e32 v19, s22
	s_addc_u32 s21, s21, 0
	v_cmp_eq_u32_e32 vcc, s20, v16
	s_waitcnt vmcnt(0) lgkmcnt(0)
	v_and_b32_e32 v18, 0xffff, v17
	v_lshlrev_b64 v[18:19], s18, v[18:19]
	s_add_u32 s18, s18, 8
	s_addc_u32 s19, s19, 0
	v_or_b32_e32 v15, v19, v15
	s_or_b64 s[16:17], vcc, s[16:17]
	v_or_b32_e32 v14, v18, v14
	s_andn2_b64 exec, exec, s[16:17]
	s_cbranch_execnz .LBB1_22
; %bb.23:                               ;   in Loop: Header=BB1_3 Depth=1
	s_or_b64 exec, exec, s[16:17]
.LBB1_24:                               ;   in Loop: Header=BB1_3 Depth=1
	s_or_b64 exec, exec, s[14:15]
	s_mov_b32 s14, 0
                                        ; implicit-def: $vgpr16
.LBB1_25:                               ;   in Loop: Header=BB1_3 Depth=1
	s_or_saveexec_b64 s[4:5], s[4:5]
	v_mov_b32_e32 v18, s14
	s_xor_b64 exec, exec, s[4:5]
	s_cbranch_execz .LBB1_27
; %bb.26:                               ;   in Loop: Header=BB1_3 Depth=1
	flat_load_dwordx2 v[14:15], v[8:9]
	v_add_u32_e32 v18, -8, v16
	v_add_co_u32_e32 v8, vcc, 8, v8
	v_addc_co_u32_e32 v9, vcc, 0, v9, vcc
	s_waitcnt vmcnt(0) lgkmcnt(0)
	v_and_b32_e32 v16, 0xff, v15
	v_and_b32_e32 v17, 0xff00, v15
	;; [unrolled: 1-line block ×4, first 2 shown]
	v_or_b32_e32 v16, v16, v17
	v_or3_b32 v14, v14, 0, 0
	v_or3_b32 v15, v16, v19, v15
.LBB1_27:                               ;   in Loop: Header=BB1_3 Depth=1
	s_or_b64 exec, exec, s[4:5]
	v_cmp_gt_u32_e32 vcc, 8, v18
                                        ; implicit-def: $vgpr16_vgpr17
                                        ; implicit-def: $sgpr14
	s_and_saveexec_b64 s[4:5], vcc
	s_xor_b64 s[4:5], exec, s[4:5]
	s_cbranch_execz .LBB1_33
; %bb.28:                               ;   in Loop: Header=BB1_3 Depth=1
	v_cmp_ne_u32_e32 vcc, 0, v18
	v_pk_mov_b32 v[16:17], 0, 0
	s_and_saveexec_b64 s[14:15], vcc
	s_cbranch_execz .LBB1_32
; %bb.29:                               ;   in Loop: Header=BB1_3 Depth=1
	s_mov_b64 s[16:17], 0
	v_pk_mov_b32 v[16:17], 0, 0
	s_mov_b64 s[18:19], 0
	s_mov_b64 s[20:21], 0
.LBB1_30:                               ;   Parent Loop BB1_3 Depth=1
                                        ; =>  This Inner Loop Header: Depth=2
	v_mov_b32_e32 v19, s21
	v_add_co_u32_e32 v20, vcc, s20, v8
	v_addc_co_u32_e32 v21, vcc, v9, v19, vcc
	flat_load_ubyte v19, v[20:21]
	s_add_u32 s20, s20, 1
	v_mov_b32_e32 v21, s22
	s_addc_u32 s21, s21, 0
	v_cmp_eq_u32_e32 vcc, s20, v18
	s_waitcnt vmcnt(0) lgkmcnt(0)
	v_and_b32_e32 v20, 0xffff, v19
	v_lshlrev_b64 v[20:21], s18, v[20:21]
	s_add_u32 s18, s18, 8
	s_addc_u32 s19, s19, 0
	v_or_b32_e32 v17, v21, v17
	s_or_b64 s[16:17], vcc, s[16:17]
	v_or_b32_e32 v16, v20, v16
	s_andn2_b64 exec, exec, s[16:17]
	s_cbranch_execnz .LBB1_30
; %bb.31:                               ;   in Loop: Header=BB1_3 Depth=1
	s_or_b64 exec, exec, s[16:17]
.LBB1_32:                               ;   in Loop: Header=BB1_3 Depth=1
	s_or_b64 exec, exec, s[14:15]
	s_mov_b32 s14, 0
                                        ; implicit-def: $vgpr18
.LBB1_33:                               ;   in Loop: Header=BB1_3 Depth=1
	s_or_saveexec_b64 s[4:5], s[4:5]
	v_mov_b32_e32 v20, s14
	s_xor_b64 exec, exec, s[4:5]
	s_cbranch_execz .LBB1_35
; %bb.34:                               ;   in Loop: Header=BB1_3 Depth=1
	flat_load_dwordx2 v[16:17], v[8:9]
	v_add_u32_e32 v20, -8, v18
	v_add_co_u32_e32 v8, vcc, 8, v8
	v_addc_co_u32_e32 v9, vcc, 0, v9, vcc
	s_waitcnt vmcnt(0) lgkmcnt(0)
	v_and_b32_e32 v18, 0xff, v17
	v_and_b32_e32 v19, 0xff00, v17
	;; [unrolled: 1-line block ×4, first 2 shown]
	v_or_b32_e32 v18, v18, v19
	v_or3_b32 v16, v16, 0, 0
	v_or3_b32 v17, v18, v21, v17
.LBB1_35:                               ;   in Loop: Header=BB1_3 Depth=1
	s_or_b64 exec, exec, s[4:5]
	v_cmp_gt_u32_e32 vcc, 8, v20
                                        ; implicit-def: $sgpr14
	s_and_saveexec_b64 s[4:5], vcc
	s_xor_b64 s[4:5], exec, s[4:5]
	s_cbranch_execz .LBB1_41
; %bb.36:                               ;   in Loop: Header=BB1_3 Depth=1
	v_cmp_ne_u32_e32 vcc, 0, v20
	v_pk_mov_b32 v[18:19], 0, 0
	s_and_saveexec_b64 s[14:15], vcc
	s_cbranch_execz .LBB1_40
; %bb.37:                               ;   in Loop: Header=BB1_3 Depth=1
	s_mov_b64 s[16:17], 0
	v_pk_mov_b32 v[18:19], 0, 0
	s_mov_b64 s[18:19], 0
	s_mov_b64 s[20:21], 0
.LBB1_38:                               ;   Parent Loop BB1_3 Depth=1
                                        ; =>  This Inner Loop Header: Depth=2
	v_mov_b32_e32 v21, s21
	v_add_co_u32_e32 v22, vcc, s20, v8
	v_addc_co_u32_e32 v23, vcc, v9, v21, vcc
	flat_load_ubyte v21, v[22:23]
	s_add_u32 s20, s20, 1
	v_mov_b32_e32 v23, s22
	s_addc_u32 s21, s21, 0
	v_cmp_eq_u32_e32 vcc, s20, v20
	s_waitcnt vmcnt(0) lgkmcnt(0)
	v_and_b32_e32 v22, 0xffff, v21
	v_lshlrev_b64 v[22:23], s18, v[22:23]
	s_add_u32 s18, s18, 8
	s_addc_u32 s19, s19, 0
	v_or_b32_e32 v19, v23, v19
	s_or_b64 s[16:17], vcc, s[16:17]
	v_or_b32_e32 v18, v22, v18
	s_andn2_b64 exec, exec, s[16:17]
	s_cbranch_execnz .LBB1_38
; %bb.39:                               ;   in Loop: Header=BB1_3 Depth=1
	s_or_b64 exec, exec, s[16:17]
.LBB1_40:                               ;   in Loop: Header=BB1_3 Depth=1
	s_or_b64 exec, exec, s[14:15]
	s_mov_b32 s14, 0
                                        ; implicit-def: $vgpr20
.LBB1_41:                               ;   in Loop: Header=BB1_3 Depth=1
	s_or_saveexec_b64 s[4:5], s[4:5]
	v_mov_b32_e32 v22, s14
	s_xor_b64 exec, exec, s[4:5]
	s_cbranch_execz .LBB1_43
; %bb.42:                               ;   in Loop: Header=BB1_3 Depth=1
	flat_load_dwordx2 v[18:19], v[8:9]
	v_add_u32_e32 v22, -8, v20
	v_add_co_u32_e32 v8, vcc, 8, v8
	v_addc_co_u32_e32 v9, vcc, 0, v9, vcc
	s_waitcnt vmcnt(0) lgkmcnt(0)
	v_and_b32_e32 v20, 0xff, v19
	v_and_b32_e32 v21, 0xff00, v19
	;; [unrolled: 1-line block ×4, first 2 shown]
	v_or_b32_e32 v20, v20, v21
	v_or3_b32 v18, v18, 0, 0
	v_or3_b32 v19, v20, v23, v19
.LBB1_43:                               ;   in Loop: Header=BB1_3 Depth=1
	s_or_b64 exec, exec, s[4:5]
	v_cmp_gt_u32_e32 vcc, 8, v22
                                        ; implicit-def: $vgpr20_vgpr21
                                        ; implicit-def: $sgpr14
	s_and_saveexec_b64 s[4:5], vcc
	s_xor_b64 s[4:5], exec, s[4:5]
	s_cbranch_execz .LBB1_49
; %bb.44:                               ;   in Loop: Header=BB1_3 Depth=1
	v_cmp_ne_u32_e32 vcc, 0, v22
	v_pk_mov_b32 v[20:21], 0, 0
	s_and_saveexec_b64 s[14:15], vcc
	s_cbranch_execz .LBB1_48
; %bb.45:                               ;   in Loop: Header=BB1_3 Depth=1
	s_mov_b64 s[16:17], 0
	v_pk_mov_b32 v[20:21], 0, 0
	s_mov_b64 s[18:19], 0
	s_mov_b64 s[20:21], 0
.LBB1_46:                               ;   Parent Loop BB1_3 Depth=1
                                        ; =>  This Inner Loop Header: Depth=2
	v_mov_b32_e32 v23, s21
	v_add_co_u32_e32 v24, vcc, s20, v8
	v_addc_co_u32_e32 v25, vcc, v9, v23, vcc
	flat_load_ubyte v23, v[24:25]
	s_add_u32 s20, s20, 1
	v_mov_b32_e32 v25, s22
	s_addc_u32 s21, s21, 0
	v_cmp_eq_u32_e32 vcc, s20, v22
	s_waitcnt vmcnt(0) lgkmcnt(0)
	v_and_b32_e32 v24, 0xffff, v23
	v_lshlrev_b64 v[24:25], s18, v[24:25]
	s_add_u32 s18, s18, 8
	s_addc_u32 s19, s19, 0
	v_or_b32_e32 v21, v25, v21
	s_or_b64 s[16:17], vcc, s[16:17]
	v_or_b32_e32 v20, v24, v20
	s_andn2_b64 exec, exec, s[16:17]
	s_cbranch_execnz .LBB1_46
; %bb.47:                               ;   in Loop: Header=BB1_3 Depth=1
	s_or_b64 exec, exec, s[16:17]
.LBB1_48:                               ;   in Loop: Header=BB1_3 Depth=1
	s_or_b64 exec, exec, s[14:15]
	s_mov_b32 s14, 0
                                        ; implicit-def: $vgpr22
.LBB1_49:                               ;   in Loop: Header=BB1_3 Depth=1
	s_or_saveexec_b64 s[4:5], s[4:5]
	v_mov_b32_e32 v24, s14
	s_xor_b64 exec, exec, s[4:5]
	s_cbranch_execz .LBB1_51
; %bb.50:                               ;   in Loop: Header=BB1_3 Depth=1
	flat_load_dwordx2 v[20:21], v[8:9]
	v_add_u32_e32 v24, -8, v22
	v_add_co_u32_e32 v8, vcc, 8, v8
	v_addc_co_u32_e32 v9, vcc, 0, v9, vcc
	s_waitcnt vmcnt(0) lgkmcnt(0)
	v_and_b32_e32 v22, 0xff, v21
	v_and_b32_e32 v23, 0xff00, v21
	;; [unrolled: 1-line block ×4, first 2 shown]
	v_or_b32_e32 v22, v22, v23
	v_or3_b32 v20, v20, 0, 0
	v_or3_b32 v21, v22, v25, v21
.LBB1_51:                               ;   in Loop: Header=BB1_3 Depth=1
	s_or_b64 exec, exec, s[4:5]
	v_cmp_gt_u32_e32 vcc, 8, v24
	s_and_saveexec_b64 s[4:5], vcc
	s_xor_b64 s[4:5], exec, s[4:5]
	s_cbranch_execz .LBB1_57
; %bb.52:                               ;   in Loop: Header=BB1_3 Depth=1
	v_cmp_ne_u32_e32 vcc, 0, v24
	v_pk_mov_b32 v[22:23], 0, 0
	s_and_saveexec_b64 s[14:15], vcc
	s_cbranch_execz .LBB1_56
; %bb.53:                               ;   in Loop: Header=BB1_3 Depth=1
	s_mov_b64 s[16:17], 0
	v_pk_mov_b32 v[22:23], 0, 0
	s_mov_b64 s[18:19], 0
.LBB1_54:                               ;   Parent Loop BB1_3 Depth=1
                                        ; =>  This Inner Loop Header: Depth=2
	flat_load_ubyte v25, v[8:9]
	v_mov_b32_e32 v27, s22
	v_add_co_u32_e32 v8, vcc, 1, v8
	v_add_u32_e32 v24, -1, v24
	v_addc_co_u32_e32 v9, vcc, 0, v9, vcc
	v_cmp_eq_u32_e32 vcc, 0, v24
	s_waitcnt vmcnt(0) lgkmcnt(0)
	v_and_b32_e32 v26, 0xffff, v25
	v_lshlrev_b64 v[26:27], s18, v[26:27]
	s_add_u32 s18, s18, 8
	s_addc_u32 s19, s19, 0
	v_or_b32_e32 v23, v27, v23
	s_or_b64 s[16:17], vcc, s[16:17]
	v_or_b32_e32 v22, v26, v22
	s_andn2_b64 exec, exec, s[16:17]
	s_cbranch_execnz .LBB1_54
; %bb.55:                               ;   in Loop: Header=BB1_3 Depth=1
	s_or_b64 exec, exec, s[16:17]
.LBB1_56:                               ;   in Loop: Header=BB1_3 Depth=1
	s_or_b64 exec, exec, s[14:15]
                                        ; implicit-def: $vgpr8_vgpr9
.LBB1_57:                               ;   in Loop: Header=BB1_3 Depth=1
	s_andn2_saveexec_b64 s[4:5], s[4:5]
	s_cbranch_execz .LBB1_59
; %bb.58:                               ;   in Loop: Header=BB1_3 Depth=1
	flat_load_dwordx2 v[8:9], v[8:9]
	s_waitcnt vmcnt(0) lgkmcnt(0)
	v_and_b32_e32 v22, 0xff, v9
	v_and_b32_e32 v23, 0xff00, v9
	;; [unrolled: 1-line block ×4, first 2 shown]
	v_or_b32_e32 v22, v22, v23
	v_or3_b32 v23, v22, v24, v9
	v_or3_b32 v22, v8, 0, 0
.LBB1_59:                               ;   in Loop: Header=BB1_3 Depth=1
	s_or_b64 exec, exec, s[4:5]
	v_readfirstlane_b32 s4, v32
	v_cmp_eq_u32_e64 s[4:5], s4, v32
	v_pk_mov_b32 v[8:9], 0, 0
	s_and_saveexec_b64 s[14:15], s[4:5]
	s_cbranch_execz .LBB1_65
; %bb.60:                               ;   in Loop: Header=BB1_3 Depth=1
	s_waitcnt lgkmcnt(0)
	global_load_dwordx2 v[26:27], v31, s[12:13] offset:24 glc
	s_waitcnt vmcnt(0)
	buffer_invl2
	buffer_wbinvl1_vol
	global_load_dwordx2 v[8:9], v31, s[12:13] offset:40
	global_load_dwordx2 v[24:25], v31, s[12:13]
	s_waitcnt vmcnt(1)
	v_and_b32_e32 v8, v8, v26
	v_and_b32_e32 v9, v9, v27
	v_mul_lo_u32 v9, v9, 24
	v_mul_hi_u32 v29, v8, 24
	v_mul_lo_u32 v8, v8, 24
	v_add_u32_e32 v9, v29, v9
	s_waitcnt vmcnt(0)
	v_add_co_u32_e32 v8, vcc, v24, v8
	v_addc_co_u32_e32 v9, vcc, v25, v9, vcc
	global_load_dwordx2 v[24:25], v[8:9], off glc
	s_waitcnt vmcnt(0)
	global_atomic_cmpswap_x2 v[8:9], v31, v[24:27], s[12:13] offset:24 glc
	s_waitcnt vmcnt(0)
	buffer_invl2
	buffer_wbinvl1_vol
	v_cmp_ne_u64_e32 vcc, v[8:9], v[26:27]
	s_and_saveexec_b64 s[16:17], vcc
	s_cbranch_execz .LBB1_64
; %bb.61:                               ;   in Loop: Header=BB1_3 Depth=1
	s_mov_b64 s[18:19], 0
.LBB1_62:                               ;   Parent Loop BB1_3 Depth=1
                                        ; =>  This Inner Loop Header: Depth=2
	s_sleep 1
	global_load_dwordx2 v[24:25], v31, s[12:13] offset:40
	global_load_dwordx2 v[36:37], v31, s[12:13]
	v_pk_mov_b32 v[26:27], v[8:9], v[8:9] op_sel:[0,1]
	s_waitcnt vmcnt(1)
	v_and_b32_e32 v8, v24, v26
	s_waitcnt vmcnt(0)
	v_mad_u64_u32 v[8:9], s[20:21], v8, 24, v[36:37]
	v_and_b32_e32 v25, v25, v27
	v_mov_b32_e32 v24, v9
	v_mad_u64_u32 v[24:25], s[20:21], v25, 24, v[24:25]
	v_mov_b32_e32 v9, v24
	global_load_dwordx2 v[24:25], v[8:9], off glc
	s_waitcnt vmcnt(0)
	global_atomic_cmpswap_x2 v[8:9], v31, v[24:27], s[12:13] offset:24 glc
	s_waitcnt vmcnt(0)
	buffer_invl2
	buffer_wbinvl1_vol
	v_cmp_eq_u64_e32 vcc, v[8:9], v[26:27]
	s_or_b64 s[18:19], vcc, s[18:19]
	s_andn2_b64 exec, exec, s[18:19]
	s_cbranch_execnz .LBB1_62
; %bb.63:                               ;   in Loop: Header=BB1_3 Depth=1
	s_or_b64 exec, exec, s[18:19]
.LBB1_64:                               ;   in Loop: Header=BB1_3 Depth=1
	s_or_b64 exec, exec, s[16:17]
.LBB1_65:                               ;   in Loop: Header=BB1_3 Depth=1
	s_or_b64 exec, exec, s[14:15]
	s_waitcnt lgkmcnt(0)
	global_load_dwordx2 v[36:37], v31, s[12:13] offset:40
	global_load_dwordx4 v[24:27], v31, s[12:13]
	v_readfirstlane_b32 s14, v8
	v_readfirstlane_b32 s15, v9
	s_mov_b64 s[16:17], exec
	s_waitcnt vmcnt(1)
	v_readfirstlane_b32 s18, v36
	v_readfirstlane_b32 s19, v37
	s_and_b64 s[18:19], s[14:15], s[18:19]
	s_mul_i32 s20, s19, 24
	s_mul_hi_u32 s21, s18, 24
	s_mul_i32 s24, s18, 24
	s_add_i32 s20, s21, s20
	v_mov_b32_e32 v8, s20
	s_waitcnt vmcnt(0)
	v_add_co_u32_e32 v36, vcc, s24, v24
	v_addc_co_u32_e32 v37, vcc, v25, v8, vcc
	s_and_saveexec_b64 s[20:21], s[4:5]
	s_cbranch_execz .LBB1_67
; %bb.66:                               ;   in Loop: Header=BB1_3 Depth=1
	v_pk_mov_b32 v[8:9], s[16:17], s[16:17] op_sel:[0,1]
	global_store_dwordx4 v[36:37], v[8:11], off offset:8
.LBB1_67:                               ;   in Loop: Header=BB1_3 Depth=1
	s_or_b64 exec, exec, s[20:21]
	s_lshl_b64 s[16:17], s[18:19], 12
	v_mov_b32_e32 v9, s17
	v_add_co_u32_e32 v8, vcc, s16, v26
	v_addc_co_u32_e32 v9, vcc, v27, v9, vcc
	v_or_b32_e32 v26, 0, v1
	v_cmp_lt_u64_e32 vcc, 56, v[4:5]
	v_or_b32_e32 v27, v0, v28
	v_cndmask_b32_e32 v1, v26, v1, vcc
	v_lshl_add_u32 v26, v34, 2, 28
	v_cndmask_b32_e32 v0, v27, v0, vcc
	v_and_b32_e32 v26, 0x1e0, v26
	v_and_or_b32 v0, v0, s23, v26
	v_lshlrev_b32_e32 v26, 6, v32
	v_readfirstlane_b32 s16, v8
	v_readfirstlane_b32 s17, v9
	s_nop 4
	global_store_dwordx4 v26, v[0:3], s[16:17]
	global_store_dwordx4 v26, v[12:15], s[16:17] offset:16
	global_store_dwordx4 v26, v[16:19], s[16:17] offset:32
	;; [unrolled: 1-line block ×3, first 2 shown]
	s_and_saveexec_b64 s[16:17], s[4:5]
	s_cbranch_execz .LBB1_75
; %bb.68:                               ;   in Loop: Header=BB1_3 Depth=1
	global_load_dwordx2 v[16:17], v31, s[12:13] offset:32 glc
	global_load_dwordx2 v[0:1], v31, s[12:13] offset:40
	v_mov_b32_e32 v14, s14
	v_mov_b32_e32 v15, s15
	s_waitcnt vmcnt(0)
	v_readfirstlane_b32 s18, v0
	v_readfirstlane_b32 s19, v1
	s_and_b64 s[18:19], s[18:19], s[14:15]
	s_mul_i32 s19, s19, 24
	s_mul_hi_u32 s20, s18, 24
	s_mul_i32 s18, s18, 24
	s_add_i32 s19, s20, s19
	v_mov_b32_e32 v0, s19
	v_add_co_u32_e32 v12, vcc, s18, v24
	v_addc_co_u32_e32 v13, vcc, v25, v0, vcc
	global_store_dwordx2 v[12:13], v[16:17], off
	buffer_wbl2
	s_waitcnt vmcnt(0)
	global_atomic_cmpswap_x2 v[2:3], v31, v[14:17], s[12:13] offset:32 glc
	s_waitcnt vmcnt(0)
	v_cmp_ne_u64_e32 vcc, v[2:3], v[16:17]
	s_and_saveexec_b64 s[18:19], vcc
	s_cbranch_execz .LBB1_71
; %bb.69:                               ;   in Loop: Header=BB1_3 Depth=1
	s_mov_b64 s[20:21], 0
.LBB1_70:                               ;   Parent Loop BB1_3 Depth=1
                                        ; =>  This Inner Loop Header: Depth=2
	s_sleep 1
	global_store_dwordx2 v[12:13], v[2:3], off
	v_mov_b32_e32 v0, s14
	v_mov_b32_e32 v1, s15
	buffer_wbl2
	s_waitcnt vmcnt(0)
	global_atomic_cmpswap_x2 v[0:1], v31, v[0:3], s[12:13] offset:32 glc
	s_waitcnt vmcnt(0)
	v_cmp_eq_u64_e32 vcc, v[0:1], v[2:3]
	s_or_b64 s[20:21], vcc, s[20:21]
	v_pk_mov_b32 v[2:3], v[0:1], v[0:1] op_sel:[0,1]
	s_andn2_b64 exec, exec, s[20:21]
	s_cbranch_execnz .LBB1_70
.LBB1_71:                               ;   in Loop: Header=BB1_3 Depth=1
	s_or_b64 exec, exec, s[18:19]
	global_load_dwordx2 v[0:1], v31, s[12:13] offset:16
	s_mov_b64 s[20:21], exec
	v_mbcnt_lo_u32_b32 v2, s20, 0
	v_mbcnt_hi_u32_b32 v2, s21, v2
	v_cmp_eq_u32_e32 vcc, 0, v2
	s_and_saveexec_b64 s[18:19], vcc
	s_cbranch_execz .LBB1_73
; %bb.72:                               ;   in Loop: Header=BB1_3 Depth=1
	s_bcnt1_i32_b64 s20, s[20:21]
	v_mov_b32_e32 v30, s20
	buffer_wbl2
	s_waitcnt vmcnt(0)
	global_atomic_add_x2 v[0:1], v[30:31], off offset:8
.LBB1_73:                               ;   in Loop: Header=BB1_3 Depth=1
	s_or_b64 exec, exec, s[18:19]
	s_waitcnt vmcnt(0)
	global_load_dwordx2 v[2:3], v[0:1], off offset:16
	s_waitcnt vmcnt(0)
	v_cmp_eq_u64_e32 vcc, 0, v[2:3]
	s_cbranch_vccnz .LBB1_75
; %bb.74:                               ;   in Loop: Header=BB1_3 Depth=1
	global_load_dword v30, v[0:1], off offset:24
	s_waitcnt vmcnt(0)
	v_and_b32_e32 v0, 0xffffff, v30
	v_readfirstlane_b32 m0, v0
	buffer_wbl2
	global_store_dwordx2 v[2:3], v[30:31], off
	s_sendmsg sendmsg(MSG_INTERRUPT)
.LBB1_75:                               ;   in Loop: Header=BB1_3 Depth=1
	s_or_b64 exec, exec, s[16:17]
	v_add_co_u32_e32 v0, vcc, v8, v26
	v_addc_co_u32_e32 v1, vcc, 0, v9, vcc
	s_branch .LBB1_79
.LBB1_76:                               ;   in Loop: Header=BB1_79 Depth=2
	s_or_b64 exec, exec, s[16:17]
	v_readfirstlane_b32 s16, v2
	s_cmp_eq_u32 s16, 0
	s_cbranch_scc1 .LBB1_78
; %bb.77:                               ;   in Loop: Header=BB1_79 Depth=2
	s_sleep 1
	s_cbranch_execnz .LBB1_79
	s_branch .LBB1_81
.LBB1_78:                               ;   in Loop: Header=BB1_3 Depth=1
	s_branch .LBB1_81
.LBB1_79:                               ;   Parent Loop BB1_3 Depth=1
                                        ; =>  This Inner Loop Header: Depth=2
	v_mov_b32_e32 v2, 1
	s_and_saveexec_b64 s[16:17], s[4:5]
	s_cbranch_execz .LBB1_76
; %bb.80:                               ;   in Loop: Header=BB1_79 Depth=2
	global_load_dword v2, v[36:37], off offset:20 glc
	s_waitcnt vmcnt(0)
	buffer_invl2
	buffer_wbinvl1_vol
	v_and_b32_e32 v2, 1, v2
	s_branch .LBB1_76
.LBB1_81:                               ;   in Loop: Header=BB1_3 Depth=1
	global_load_dwordx4 v[0:3], v[0:1], off
	s_and_saveexec_b64 s[16:17], s[4:5]
	s_cbranch_execz .LBB1_2
; %bb.82:                               ;   in Loop: Header=BB1_3 Depth=1
	global_load_dwordx2 v[2:3], v31, s[12:13] offset:40
	global_load_dwordx2 v[8:9], v31, s[12:13] offset:24 glc
	global_load_dwordx2 v[16:17], v31, s[12:13]
	v_mov_b32_e32 v13, s15
	s_waitcnt vmcnt(2)
	v_add_co_u32_e32 v15, vcc, 1, v2
	v_addc_co_u32_e32 v18, vcc, 0, v3, vcc
	v_add_co_u32_e32 v12, vcc, s14, v15
	v_addc_co_u32_e32 v13, vcc, v18, v13, vcc
	v_cmp_eq_u64_e32 vcc, 0, v[12:13]
	v_cndmask_b32_e32 v13, v13, v18, vcc
	v_cndmask_b32_e32 v12, v12, v15, vcc
	v_and_b32_e32 v3, v13, v3
	v_and_b32_e32 v2, v12, v2
	v_mul_lo_u32 v3, v3, 24
	v_mul_hi_u32 v15, v2, 24
	v_mul_lo_u32 v2, v2, 24
	v_add_u32_e32 v3, v15, v3
	s_waitcnt vmcnt(0)
	v_add_co_u32_e32 v2, vcc, v16, v2
	v_addc_co_u32_e32 v3, vcc, v17, v3, vcc
	v_mov_b32_e32 v14, v8
	global_store_dwordx2 v[2:3], v[8:9], off
	v_mov_b32_e32 v15, v9
	buffer_wbl2
	s_waitcnt vmcnt(0)
	global_atomic_cmpswap_x2 v[14:15], v31, v[12:15], s[12:13] offset:24 glc
	s_waitcnt vmcnt(0)
	v_cmp_ne_u64_e32 vcc, v[14:15], v[8:9]
	s_and_b64 exec, exec, vcc
	s_cbranch_execz .LBB1_2
; %bb.83:                               ;   in Loop: Header=BB1_3 Depth=1
	s_mov_b64 s[4:5], 0
.LBB1_84:                               ;   Parent Loop BB1_3 Depth=1
                                        ; =>  This Inner Loop Header: Depth=2
	s_sleep 1
	global_store_dwordx2 v[2:3], v[14:15], off
	buffer_wbl2
	s_waitcnt vmcnt(0)
	global_atomic_cmpswap_x2 v[8:9], v31, v[12:15], s[12:13] offset:24 glc
	s_waitcnt vmcnt(0)
	v_cmp_eq_u64_e32 vcc, v[8:9], v[14:15]
	s_or_b64 s[4:5], vcc, s[4:5]
	v_pk_mov_b32 v[14:15], v[8:9], v[8:9] op_sel:[0,1]
	s_andn2_b64 exec, exec, s[4:5]
	s_cbranch_execnz .LBB1_84
	s_branch .LBB1_2
.LBB1_85:
	s_or_b64 exec, exec, s[6:7]
                                        ; implicit-def: $vgpr3
                                        ; implicit-def: $vgpr2
.LBB1_86:
	s_andn2_saveexec_b64 s[6:7], s[10:11]
	s_cbranch_execz .LBB1_109
; %bb.87:
	s_load_dwordx2 s[8:9], s[8:9], 0x50
	s_waitcnt vmcnt(0)
	v_mbcnt_hi_u32_b32 v10, -1, v2
	v_readfirstlane_b32 s4, v10
	v_cmp_eq_u32_e64 s[4:5], s4, v10
	v_pk_mov_b32 v[8:9], 0, 0
	s_and_saveexec_b64 s[10:11], s[4:5]
	s_cbranch_execz .LBB1_93
; %bb.88:
	v_mov_b32_e32 v0, 0
	s_waitcnt lgkmcnt(0)
	global_load_dwordx2 v[6:7], v0, s[8:9] offset:24 glc
	s_waitcnt vmcnt(0)
	buffer_invl2
	buffer_wbinvl1_vol
	global_load_dwordx2 v[4:5], v0, s[8:9] offset:40
	global_load_dwordx2 v[8:9], v0, s[8:9]
	s_waitcnt vmcnt(1)
	v_and_b32_e32 v2, v4, v6
	v_and_b32_e32 v4, v5, v7
	v_mul_lo_u32 v4, v4, 24
	v_mul_hi_u32 v5, v2, 24
	v_mul_lo_u32 v2, v2, 24
	v_add_u32_e32 v5, v5, v4
	s_waitcnt vmcnt(0)
	v_add_co_u32_e32 v4, vcc, v8, v2
	v_addc_co_u32_e32 v5, vcc, v9, v5, vcc
	global_load_dwordx2 v[4:5], v[4:5], off glc
	s_waitcnt vmcnt(0)
	global_atomic_cmpswap_x2 v[8:9], v0, v[4:7], s[8:9] offset:24 glc
	s_waitcnt vmcnt(0)
	buffer_invl2
	buffer_wbinvl1_vol
	v_cmp_ne_u64_e32 vcc, v[8:9], v[6:7]
	s_and_saveexec_b64 s[12:13], vcc
	s_cbranch_execz .LBB1_92
; %bb.89:
	s_mov_b64 s[14:15], 0
.LBB1_90:                               ; =>This Inner Loop Header: Depth=1
	s_sleep 1
	global_load_dwordx2 v[4:5], v0, s[8:9] offset:40
	global_load_dwordx2 v[12:13], v0, s[8:9]
	v_pk_mov_b32 v[6:7], v[8:9], v[8:9] op_sel:[0,1]
	s_waitcnt vmcnt(1)
	v_and_b32_e32 v2, v4, v6
	v_and_b32_e32 v8, v5, v7
	s_waitcnt vmcnt(0)
	v_mad_u64_u32 v[4:5], s[16:17], v2, 24, v[12:13]
	v_mov_b32_e32 v2, v5
	v_mad_u64_u32 v[8:9], s[16:17], v8, 24, v[2:3]
	v_mov_b32_e32 v5, v8
	global_load_dwordx2 v[4:5], v[4:5], off glc
	s_waitcnt vmcnt(0)
	global_atomic_cmpswap_x2 v[8:9], v0, v[4:7], s[8:9] offset:24 glc
	s_waitcnt vmcnt(0)
	buffer_invl2
	buffer_wbinvl1_vol
	v_cmp_eq_u64_e32 vcc, v[8:9], v[6:7]
	s_or_b64 s[14:15], vcc, s[14:15]
	s_andn2_b64 exec, exec, s[14:15]
	s_cbranch_execnz .LBB1_90
; %bb.91:
	s_or_b64 exec, exec, s[14:15]
.LBB1_92:
	s_or_b64 exec, exec, s[12:13]
.LBB1_93:
	s_or_b64 exec, exec, s[10:11]
	v_mov_b32_e32 v2, 0
	s_waitcnt lgkmcnt(0)
	global_load_dwordx2 v[12:13], v2, s[8:9] offset:40
	global_load_dwordx4 v[4:7], v2, s[8:9]
	v_readfirstlane_b32 s10, v8
	v_readfirstlane_b32 s11, v9
	s_mov_b64 s[12:13], exec
	s_waitcnt vmcnt(1)
	v_readfirstlane_b32 s14, v12
	v_readfirstlane_b32 s15, v13
	s_and_b64 s[14:15], s[10:11], s[14:15]
	s_mul_i32 s16, s15, 24
	s_mul_hi_u32 s17, s14, 24
	s_mul_i32 s18, s14, 24
	s_add_i32 s16, s17, s16
	v_mov_b32_e32 v0, s16
	s_waitcnt vmcnt(0)
	v_add_co_u32_e32 v8, vcc, s18, v4
	v_addc_co_u32_e32 v9, vcc, v5, v0, vcc
	s_and_saveexec_b64 s[16:17], s[4:5]
	s_cbranch_execz .LBB1_95
; %bb.94:
	v_pk_mov_b32 v[12:13], s[12:13], s[12:13] op_sel:[0,1]
	v_mov_b32_e32 v14, 2
	v_mov_b32_e32 v15, 1
	global_store_dwordx4 v[8:9], v[12:15], off offset:8
.LBB1_95:
	s_or_b64 exec, exec, s[16:17]
	s_lshl_b64 s[12:13], s[14:15], 12
	v_mov_b32_e32 v0, s13
	v_add_co_u32_e32 v12, vcc, s12, v6
	s_movk_i32 s12, 0xff1f
	v_addc_co_u32_e32 v11, vcc, v7, v0, vcc
	v_and_or_b32 v0, v3, s12, 32
	s_mov_b32 s12, 0
	v_lshlrev_b32_e32 v10, 6, v10
	v_mov_b32_e32 v3, v2
	v_readfirstlane_b32 s16, v12
	v_readfirstlane_b32 s17, v11
	s_mov_b32 s13, s12
	v_add_co_u32_e32 v6, vcc, v12, v10
	s_mov_b32 s14, s12
	s_mov_b32 s15, s12
	s_nop 0
	global_store_dwordx4 v10, v[0:3], s[16:17]
	v_addc_co_u32_e32 v7, vcc, 0, v11, vcc
	v_pk_mov_b32 v[0:1], s[12:13], s[12:13] op_sel:[0,1]
	v_pk_mov_b32 v[2:3], s[14:15], s[14:15] op_sel:[0,1]
	global_store_dwordx4 v10, v[0:3], s[16:17] offset:16
	global_store_dwordx4 v10, v[0:3], s[16:17] offset:32
	global_store_dwordx4 v10, v[0:3], s[16:17] offset:48
	s_and_saveexec_b64 s[12:13], s[4:5]
	s_cbranch_execz .LBB1_103
; %bb.96:
	v_mov_b32_e32 v10, 0
	global_load_dwordx2 v[14:15], v10, s[8:9] offset:32 glc
	global_load_dwordx2 v[0:1], v10, s[8:9] offset:40
	v_mov_b32_e32 v12, s10
	v_mov_b32_e32 v13, s11
	s_waitcnt vmcnt(0)
	v_and_b32_e32 v0, s10, v0
	v_and_b32_e32 v1, s11, v1
	v_mul_lo_u32 v1, v1, 24
	v_mul_hi_u32 v2, v0, 24
	v_mul_lo_u32 v0, v0, 24
	v_add_u32_e32 v1, v2, v1
	v_add_co_u32_e32 v4, vcc, v4, v0
	v_addc_co_u32_e32 v5, vcc, v5, v1, vcc
	global_store_dwordx2 v[4:5], v[14:15], off
	buffer_wbl2
	s_waitcnt vmcnt(0)
	global_atomic_cmpswap_x2 v[2:3], v10, v[12:15], s[8:9] offset:32 glc
	s_waitcnt vmcnt(0)
	v_cmp_ne_u64_e32 vcc, v[2:3], v[14:15]
	s_and_saveexec_b64 s[14:15], vcc
	s_cbranch_execz .LBB1_99
; %bb.97:
	s_mov_b64 s[16:17], 0
.LBB1_98:                               ; =>This Inner Loop Header: Depth=1
	s_sleep 1
	global_store_dwordx2 v[4:5], v[2:3], off
	v_mov_b32_e32 v0, s10
	v_mov_b32_e32 v1, s11
	buffer_wbl2
	s_waitcnt vmcnt(0)
	global_atomic_cmpswap_x2 v[0:1], v10, v[0:3], s[8:9] offset:32 glc
	s_waitcnt vmcnt(0)
	v_cmp_eq_u64_e32 vcc, v[0:1], v[2:3]
	s_or_b64 s[16:17], vcc, s[16:17]
	v_pk_mov_b32 v[2:3], v[0:1], v[0:1] op_sel:[0,1]
	s_andn2_b64 exec, exec, s[16:17]
	s_cbranch_execnz .LBB1_98
.LBB1_99:
	s_or_b64 exec, exec, s[14:15]
	v_mov_b32_e32 v3, 0
	global_load_dwordx2 v[0:1], v3, s[8:9] offset:16
	s_mov_b64 s[14:15], exec
	v_mbcnt_lo_u32_b32 v2, s14, 0
	v_mbcnt_hi_u32_b32 v2, s15, v2
	v_cmp_eq_u32_e32 vcc, 0, v2
	s_and_saveexec_b64 s[16:17], vcc
	s_cbranch_execz .LBB1_101
; %bb.100:
	s_bcnt1_i32_b64 s14, s[14:15]
	v_mov_b32_e32 v2, s14
	buffer_wbl2
	s_waitcnt vmcnt(0)
	global_atomic_add_x2 v[0:1], v[2:3], off offset:8
.LBB1_101:
	s_or_b64 exec, exec, s[16:17]
	s_waitcnt vmcnt(0)
	global_load_dwordx2 v[2:3], v[0:1], off offset:16
	s_waitcnt vmcnt(0)
	v_cmp_eq_u64_e32 vcc, 0, v[2:3]
	s_cbranch_vccnz .LBB1_103
; %bb.102:
	global_load_dword v0, v[0:1], off offset:24
	v_mov_b32_e32 v1, 0
	buffer_wbl2
	s_waitcnt vmcnt(0)
	global_store_dwordx2 v[2:3], v[0:1], off
	v_and_b32_e32 v0, 0xffffff, v0
	v_readfirstlane_b32 m0, v0
	s_sendmsg sendmsg(MSG_INTERRUPT)
.LBB1_103:
	s_or_b64 exec, exec, s[12:13]
	s_branch .LBB1_107
.LBB1_104:                              ;   in Loop: Header=BB1_107 Depth=1
	s_or_b64 exec, exec, s[12:13]
	v_readfirstlane_b32 s12, v0
	s_cmp_eq_u32 s12, 0
	s_cbranch_scc1 .LBB1_106
; %bb.105:                              ;   in Loop: Header=BB1_107 Depth=1
	s_sleep 1
	s_cbranch_execnz .LBB1_107
	s_branch .LBB1_110
.LBB1_106:
	s_branch .LBB1_110
.LBB1_107:                              ; =>This Inner Loop Header: Depth=1
	v_mov_b32_e32 v0, 1
	s_and_saveexec_b64 s[12:13], s[4:5]
	s_cbranch_execz .LBB1_104
; %bb.108:                              ;   in Loop: Header=BB1_107 Depth=1
	global_load_dword v0, v[8:9], off offset:20 glc
	s_waitcnt vmcnt(0)
	buffer_invl2
	buffer_wbinvl1_vol
	v_and_b32_e32 v0, 1, v0
	s_branch .LBB1_104
.LBB1_109:
	s_or_b64 exec, exec, s[6:7]
	s_waitcnt vmcnt(0) lgkmcnt(0)
	s_setpc_b64 s[30:31]
.LBB1_110:
	global_load_dwordx2 v[0:1], v[6:7], off
	s_and_saveexec_b64 s[12:13], s[4:5]
	s_cbranch_execz .LBB1_113
; %bb.111:
	v_mov_b32_e32 v8, 0
	global_load_dwordx2 v[6:7], v8, s[8:9] offset:40
	global_load_dwordx2 v[10:11], v8, s[8:9] offset:24 glc
	global_load_dwordx2 v[12:13], v8, s[8:9]
	v_mov_b32_e32 v3, s11
	s_mov_b64 s[4:5], 0
	s_waitcnt vmcnt(2)
	v_add_co_u32_e32 v5, vcc, 1, v6
	v_addc_co_u32_e32 v9, vcc, 0, v7, vcc
	v_add_co_u32_e32 v2, vcc, s10, v5
	v_addc_co_u32_e32 v3, vcc, v9, v3, vcc
	v_cmp_eq_u64_e32 vcc, 0, v[2:3]
	v_cndmask_b32_e32 v3, v3, v9, vcc
	v_cndmask_b32_e32 v2, v2, v5, vcc
	v_and_b32_e32 v5, v3, v7
	v_and_b32_e32 v6, v2, v6
	v_mul_lo_u32 v5, v5, 24
	v_mul_hi_u32 v7, v6, 24
	v_mul_lo_u32 v6, v6, 24
	v_add_u32_e32 v5, v7, v5
	s_waitcnt vmcnt(0)
	v_add_co_u32_e32 v6, vcc, v12, v6
	v_addc_co_u32_e32 v7, vcc, v13, v5, vcc
	v_mov_b32_e32 v4, v10
	global_store_dwordx2 v[6:7], v[10:11], off
	v_mov_b32_e32 v5, v11
	buffer_wbl2
	s_waitcnt vmcnt(0)
	global_atomic_cmpswap_x2 v[4:5], v8, v[2:5], s[8:9] offset:24 glc
	s_waitcnt vmcnt(0)
	v_cmp_ne_u64_e32 vcc, v[4:5], v[10:11]
	s_and_b64 exec, exec, vcc
	s_cbranch_execz .LBB1_113
.LBB1_112:                              ; =>This Inner Loop Header: Depth=1
	s_sleep 1
	global_store_dwordx2 v[6:7], v[4:5], off
	buffer_wbl2
	s_waitcnt vmcnt(0)
	global_atomic_cmpswap_x2 v[10:11], v8, v[2:5], s[8:9] offset:24 glc
	s_waitcnt vmcnt(0)
	v_cmp_eq_u64_e32 vcc, v[10:11], v[4:5]
	s_or_b64 s[4:5], vcc, s[4:5]
	v_pk_mov_b32 v[4:5], v[10:11], v[10:11] op_sel:[0,1]
	s_andn2_b64 exec, exec, s[4:5]
	s_cbranch_execnz .LBB1_112
.LBB1_113:
	s_or_b64 exec, exec, s[12:13]
	s_or_b64 exec, exec, s[6:7]
	s_waitcnt vmcnt(0) lgkmcnt(0)
	s_setpc_b64 s[30:31]
.Lfunc_end1:
	.size	__ockl_printf_append_string_n, .Lfunc_end1-__ockl_printf_append_string_n
                                        ; -- End function
	.section	.AMDGPU.csdata,"",@progbits
; Function info:
; codeLenInByte = 4376
; NumSgprs: 36
; NumVgprs: 38
; NumAgprs: 0
; TotalNumVgprs: 38
; ScratchSize: 0
; MemoryBound: 0
	.text
	.p2align	2                               ; -- Begin function __ockl_printf_append_args
	.type	__ockl_printf_append_args,@function
__ockl_printf_append_args:              ; @__ockl_printf_append_args
; %bb.0:
	s_waitcnt vmcnt(0) expcnt(0) lgkmcnt(0)
	s_load_dwordx2 s[6:7], s[8:9], 0x50
	v_mbcnt_lo_u32_b32 v5, -1, 0
	v_mbcnt_hi_u32_b32 v5, -1, v5
	v_readfirstlane_b32 s4, v5
	v_cmp_eq_u32_e64 s[4:5], s4, v5
	v_pk_mov_b32 v[10:11], 0, 0
	s_and_saveexec_b64 s[8:9], s[4:5]
	s_cbranch_execz .LBB2_6
; %bb.1:
	v_mov_b32_e32 v6, 0
	s_waitcnt lgkmcnt(0)
	global_load_dwordx2 v[12:13], v6, s[6:7] offset:24 glc
	s_waitcnt vmcnt(0)
	buffer_invl2
	buffer_wbinvl1_vol
	global_load_dwordx2 v[8:9], v6, s[6:7] offset:40
	global_load_dwordx2 v[10:11], v6, s[6:7]
	s_waitcnt vmcnt(1)
	v_and_b32_e32 v7, v8, v12
	v_and_b32_e32 v8, v9, v13
	v_mul_lo_u32 v8, v8, 24
	v_mul_hi_u32 v9, v7, 24
	v_mul_lo_u32 v7, v7, 24
	v_add_u32_e32 v9, v9, v8
	s_waitcnt vmcnt(0)
	v_add_co_u32_e32 v8, vcc, v10, v7
	v_addc_co_u32_e32 v9, vcc, v11, v9, vcc
	global_load_dwordx2 v[10:11], v[8:9], off glc
	s_waitcnt vmcnt(0)
	global_atomic_cmpswap_x2 v[10:11], v6, v[10:13], s[6:7] offset:24 glc
	s_waitcnt vmcnt(0)
	buffer_invl2
	buffer_wbinvl1_vol
	v_cmp_ne_u64_e32 vcc, v[10:11], v[12:13]
	s_and_saveexec_b64 s[10:11], vcc
	s_cbranch_execz .LBB2_5
; %bb.2:
	s_mov_b64 s[12:13], 0
.LBB2_3:                                ; =>This Inner Loop Header: Depth=1
	s_sleep 1
	global_load_dwordx2 v[8:9], v6, s[6:7] offset:40
	global_load_dwordx2 v[14:15], v6, s[6:7]
	v_pk_mov_b32 v[12:13], v[10:11], v[10:11] op_sel:[0,1]
	s_waitcnt vmcnt(1)
	v_and_b32_e32 v8, v8, v12
	v_and_b32_e32 v7, v9, v13
	s_waitcnt vmcnt(0)
	v_mad_u64_u32 v[8:9], s[14:15], v8, 24, v[14:15]
	v_mov_b32_e32 v10, v9
	v_mad_u64_u32 v[10:11], s[14:15], v7, 24, v[10:11]
	v_mov_b32_e32 v9, v10
	global_load_dwordx2 v[10:11], v[8:9], off glc
	s_waitcnt vmcnt(0)
	global_atomic_cmpswap_x2 v[10:11], v6, v[10:13], s[6:7] offset:24 glc
	s_waitcnt vmcnt(0)
	buffer_invl2
	buffer_wbinvl1_vol
	v_cmp_eq_u64_e32 vcc, v[10:11], v[12:13]
	s_or_b64 s[12:13], vcc, s[12:13]
	s_andn2_b64 exec, exec, s[12:13]
	s_cbranch_execnz .LBB2_3
; %bb.4:
	s_or_b64 exec, exec, s[12:13]
.LBB2_5:
	s_or_b64 exec, exec, s[10:11]
.LBB2_6:
	s_or_b64 exec, exec, s[8:9]
	v_mov_b32_e32 v14, 0
	s_waitcnt lgkmcnt(0)
	global_load_dwordx2 v[12:13], v14, s[6:7] offset:40
	global_load_dwordx4 v[6:9], v14, s[6:7]
	v_readfirstlane_b32 s8, v10
	v_readfirstlane_b32 s9, v11
	s_mov_b64 s[10:11], exec
	s_waitcnt vmcnt(1)
	v_readfirstlane_b32 s12, v12
	v_readfirstlane_b32 s13, v13
	s_and_b64 s[12:13], s[8:9], s[12:13]
	s_mul_i32 s14, s13, 24
	s_mul_hi_u32 s15, s12, 24
	s_mul_i32 s16, s12, 24
	s_add_i32 s14, s15, s14
	v_mov_b32_e32 v11, s14
	s_waitcnt vmcnt(0)
	v_add_co_u32_e32 v10, vcc, s16, v6
	v_addc_co_u32_e32 v11, vcc, v7, v11, vcc
	s_and_saveexec_b64 s[14:15], s[4:5]
	s_cbranch_execz .LBB2_8
; %bb.7:
	v_pk_mov_b32 v[12:13], s[10:11], s[10:11] op_sel:[0,1]
	v_mov_b32_e32 v14, 2
	v_mov_b32_e32 v15, 1
	global_store_dwordx4 v[10:11], v[12:15], off offset:8
.LBB2_8:
	s_or_b64 exec, exec, s[14:15]
	s_lshl_b64 s[10:11], s[12:13], 12
	v_mov_b32_e32 v12, s11
	v_add_co_u32_e32 v8, vcc, s10, v8
	v_addc_co_u32_e32 v9, vcc, v9, v12, vcc
	v_or_b32_e32 v12, 2, v0
	v_cmp_eq_u32_e32 vcc, 0, v4
	s_mov_b32 s12, 0
	v_cndmask_b32_e32 v0, v12, v0, vcc
	s_movk_i32 s10, 0xff1f
	v_and_or_b32 v0, v0, s10, 32
	v_lshlrev_b32_e32 v4, 6, v5
	v_readfirstlane_b32 s10, v8
	v_readfirstlane_b32 s11, v9
	s_mov_b32 s13, s12
	s_mov_b32 s14, s12
	;; [unrolled: 1-line block ×3, first 2 shown]
	s_nop 1
	global_store_dwordx4 v4, v[0:3], s[10:11]
	s_nop 0
	v_pk_mov_b32 v[0:1], s[12:13], s[12:13] op_sel:[0,1]
	v_pk_mov_b32 v[2:3], s[14:15], s[14:15] op_sel:[0,1]
	global_store_dwordx4 v4, v[0:3], s[10:11] offset:16
	global_store_dwordx4 v4, v[0:3], s[10:11] offset:32
	;; [unrolled: 1-line block ×3, first 2 shown]
	s_and_saveexec_b64 s[10:11], s[4:5]
	s_cbranch_execz .LBB2_16
; %bb.9:
	v_mov_b32_e32 v8, 0
	global_load_dwordx2 v[14:15], v8, s[6:7] offset:32 glc
	global_load_dwordx2 v[0:1], v8, s[6:7] offset:40
	v_mov_b32_e32 v12, s8
	v_mov_b32_e32 v13, s9
	s_waitcnt vmcnt(0)
	v_and_b32_e32 v0, s8, v0
	v_and_b32_e32 v1, s9, v1
	v_mul_lo_u32 v1, v1, 24
	v_mul_hi_u32 v2, v0, 24
	v_mul_lo_u32 v0, v0, 24
	v_add_u32_e32 v1, v2, v1
	v_add_co_u32_e32 v4, vcc, v6, v0
	v_addc_co_u32_e32 v5, vcc, v7, v1, vcc
	global_store_dwordx2 v[4:5], v[14:15], off
	buffer_wbl2
	s_waitcnt vmcnt(0)
	global_atomic_cmpswap_x2 v[2:3], v8, v[12:15], s[6:7] offset:32 glc
	s_waitcnt vmcnt(0)
	v_cmp_ne_u64_e32 vcc, v[2:3], v[14:15]
	s_and_saveexec_b64 s[12:13], vcc
	s_cbranch_execz .LBB2_12
; %bb.10:
	s_mov_b64 s[14:15], 0
.LBB2_11:                               ; =>This Inner Loop Header: Depth=1
	s_sleep 1
	global_store_dwordx2 v[4:5], v[2:3], off
	v_mov_b32_e32 v0, s8
	v_mov_b32_e32 v1, s9
	buffer_wbl2
	s_waitcnt vmcnt(0)
	global_atomic_cmpswap_x2 v[0:1], v8, v[0:3], s[6:7] offset:32 glc
	s_waitcnt vmcnt(0)
	v_cmp_eq_u64_e32 vcc, v[0:1], v[2:3]
	s_or_b64 s[14:15], vcc, s[14:15]
	v_pk_mov_b32 v[2:3], v[0:1], v[0:1] op_sel:[0,1]
	s_andn2_b64 exec, exec, s[14:15]
	s_cbranch_execnz .LBB2_11
.LBB2_12:
	s_or_b64 exec, exec, s[12:13]
	v_mov_b32_e32 v3, 0
	global_load_dwordx2 v[0:1], v3, s[6:7] offset:16
	s_mov_b64 s[12:13], exec
	v_mbcnt_lo_u32_b32 v2, s12, 0
	v_mbcnt_hi_u32_b32 v2, s13, v2
	v_cmp_eq_u32_e32 vcc, 0, v2
	s_and_saveexec_b64 s[14:15], vcc
	s_cbranch_execz .LBB2_14
; %bb.13:
	s_bcnt1_i32_b64 s12, s[12:13]
	v_mov_b32_e32 v2, s12
	buffer_wbl2
	s_waitcnt vmcnt(0)
	global_atomic_add_x2 v[0:1], v[2:3], off offset:8
.LBB2_14:
	s_or_b64 exec, exec, s[14:15]
	s_waitcnt vmcnt(0)
	global_load_dwordx2 v[2:3], v[0:1], off offset:16
	s_waitcnt vmcnt(0)
	v_cmp_eq_u64_e32 vcc, 0, v[2:3]
	s_cbranch_vccnz .LBB2_16
; %bb.15:
	global_load_dword v0, v[0:1], off offset:24
	v_mov_b32_e32 v1, 0
	buffer_wbl2
	s_waitcnt vmcnt(0)
	global_store_dwordx2 v[2:3], v[0:1], off
	v_and_b32_e32 v0, 0xffffff, v0
	v_readfirstlane_b32 m0, v0
	s_sendmsg sendmsg(MSG_INTERRUPT)
.LBB2_16:
	s_or_b64 exec, exec, s[10:11]
	s_branch .LBB2_20
.LBB2_17:                               ;   in Loop: Header=BB2_20 Depth=1
	s_or_b64 exec, exec, s[10:11]
	v_readfirstlane_b32 s10, v0
	s_cmp_eq_u32 s10, 0
	s_cbranch_scc1 .LBB2_19
; %bb.18:                               ;   in Loop: Header=BB2_20 Depth=1
	s_sleep 1
	s_cbranch_execnz .LBB2_20
	s_branch .LBB2_22
.LBB2_19:
	s_branch .LBB2_22
.LBB2_20:                               ; =>This Inner Loop Header: Depth=1
	v_mov_b32_e32 v0, 1
	s_and_saveexec_b64 s[10:11], s[4:5]
	s_cbranch_execz .LBB2_17
; %bb.21:                               ;   in Loop: Header=BB2_20 Depth=1
	global_load_dword v0, v[10:11], off offset:20 glc
	s_waitcnt vmcnt(0)
	buffer_invl2
	buffer_wbinvl1_vol
	v_and_b32_e32 v0, 1, v0
	s_branch .LBB2_17
.LBB2_22:
	s_and_saveexec_b64 s[10:11], s[4:5]
	s_cbranch_execz .LBB2_25
; %bb.23:
	v_mov_b32_e32 v6, 0
	global_load_dwordx2 v[4:5], v6, s[6:7] offset:40
	global_load_dwordx2 v[8:9], v6, s[6:7] offset:24 glc
	global_load_dwordx2 v[10:11], v6, s[6:7]
	v_mov_b32_e32 v1, s9
	s_mov_b64 s[4:5], 0
	s_waitcnt vmcnt(2)
	v_add_co_u32_e32 v3, vcc, 1, v4
	v_addc_co_u32_e32 v7, vcc, 0, v5, vcc
	v_add_co_u32_e32 v0, vcc, s8, v3
	v_addc_co_u32_e32 v1, vcc, v7, v1, vcc
	v_cmp_eq_u64_e32 vcc, 0, v[0:1]
	v_cndmask_b32_e32 v1, v1, v7, vcc
	v_cndmask_b32_e32 v0, v0, v3, vcc
	v_and_b32_e32 v3, v1, v5
	v_and_b32_e32 v4, v0, v4
	v_mul_lo_u32 v3, v3, 24
	v_mul_hi_u32 v5, v4, 24
	v_mul_lo_u32 v4, v4, 24
	v_add_u32_e32 v3, v5, v3
	s_waitcnt vmcnt(0)
	v_add_co_u32_e32 v4, vcc, v10, v4
	v_addc_co_u32_e32 v5, vcc, v11, v3, vcc
	v_mov_b32_e32 v2, v8
	global_store_dwordx2 v[4:5], v[8:9], off
	v_mov_b32_e32 v3, v9
	buffer_wbl2
	s_waitcnt vmcnt(0)
	global_atomic_cmpswap_x2 v[2:3], v6, v[0:3], s[6:7] offset:24 glc
	s_waitcnt vmcnt(0)
	v_cmp_ne_u64_e32 vcc, v[2:3], v[8:9]
	s_and_b64 exec, exec, vcc
	s_cbranch_execz .LBB2_25
.LBB2_24:                               ; =>This Inner Loop Header: Depth=1
	s_sleep 1
	global_store_dwordx2 v[4:5], v[2:3], off
	buffer_wbl2
	s_waitcnt vmcnt(0)
	global_atomic_cmpswap_x2 v[8:9], v6, v[0:3], s[6:7] offset:24 glc
	s_waitcnt vmcnt(0)
	v_cmp_eq_u64_e32 vcc, v[8:9], v[2:3]
	s_or_b64 s[4:5], vcc, s[4:5]
	v_pk_mov_b32 v[2:3], v[8:9], v[8:9] op_sel:[0,1]
	s_andn2_b64 exec, exec, s[4:5]
	s_cbranch_execnz .LBB2_24
.LBB2_25:
	s_or_b64 exec, exec, s[10:11]
	s_waitcnt vmcnt(0) lgkmcnt(0)
	s_setpc_b64 s[30:31]
.Lfunc_end2:
	.size	__ockl_printf_append_args, .Lfunc_end2-__ockl_printf_append_args
                                        ; -- End function
	.section	.AMDGPU.csdata,"",@progbits
; Function info:
; codeLenInByte = 1284
; NumSgprs: 36
; NumVgprs: 16
; NumAgprs: 0
; TotalNumVgprs: 16
; ScratchSize: 0
; MemoryBound: 0
	.text
	.p2align	2                               ; -- Begin function _ZL14no_device_codePKciS0_iS0_
	.type	_ZL14no_device_codePKciS0_iS0_,@function
_ZL14no_device_codePKciS0_iS0_:         ; @_ZL14no_device_codePKciS0_iS0_
; %bb.0:
	s_waitcnt vmcnt(0) expcnt(0) lgkmcnt(0)
	s_mov_b32 s25, s33
	s_mov_b32 s33, s32
	s_xor_saveexec_b64 s[4:5], -1
	buffer_store_dword v38, off, s[0:3], s33 ; 4-byte Folded Spill
	s_mov_b64 exec, s[4:5]
	v_writelane_b32 v38, s30, 0
	s_addk_i32 s32, 0x400
	v_writelane_b32 v38, s31, 1
	s_load_dwordx2 s[6:7], s[8:9], 0x50
	v_mbcnt_lo_u32_b32 v1, -1, 0
	v_mbcnt_hi_u32_b32 v37, -1, v1
	v_readfirstlane_b32 s4, v37
	s_mov_b64 s[26:27], s[8:9]
	v_cmp_eq_u32_e64 s[4:5], s4, v37
	v_pk_mov_b32 v[8:9], 0, 0
	s_and_saveexec_b64 s[10:11], s[4:5]
	s_cbranch_execz .LBB3_6
; %bb.1:
	v_mov_b32_e32 v1, 0
	s_waitcnt lgkmcnt(0)
	global_load_dwordx2 v[4:5], v1, s[6:7] offset:24 glc
	s_waitcnt vmcnt(0)
	buffer_invl2
	buffer_wbinvl1_vol
	global_load_dwordx2 v[2:3], v1, s[6:7] offset:40
	global_load_dwordx2 v[6:7], v1, s[6:7]
	s_waitcnt vmcnt(1)
	v_and_b32_e32 v2, v2, v4
	v_and_b32_e32 v3, v3, v5
	v_mul_lo_u32 v3, v3, 24
	v_mul_hi_u32 v8, v2, 24
	v_mul_lo_u32 v2, v2, 24
	v_add_u32_e32 v3, v8, v3
	s_waitcnt vmcnt(0)
	v_add_co_u32_e32 v2, vcc, v6, v2
	v_addc_co_u32_e32 v3, vcc, v7, v3, vcc
	global_load_dwordx2 v[2:3], v[2:3], off glc
	s_waitcnt vmcnt(0)
	global_atomic_cmpswap_x2 v[8:9], v1, v[2:5], s[6:7] offset:24 glc
	s_waitcnt vmcnt(0)
	buffer_invl2
	buffer_wbinvl1_vol
	v_cmp_ne_u64_e32 vcc, v[8:9], v[4:5]
	s_and_saveexec_b64 s[12:13], vcc
	s_cbranch_execz .LBB3_5
; %bb.2:
	s_mov_b64 s[14:15], 0
.LBB3_3:                                ; =>This Inner Loop Header: Depth=1
	s_sleep 1
	global_load_dwordx2 v[2:3], v1, s[6:7] offset:40
	global_load_dwordx2 v[6:7], v1, s[6:7]
	v_pk_mov_b32 v[4:5], v[8:9], v[8:9] op_sel:[0,1]
	s_waitcnt vmcnt(1)
	v_and_b32_e32 v2, v2, v4
	v_and_b32_e32 v8, v3, v5
	s_waitcnt vmcnt(0)
	v_mad_u64_u32 v[2:3], s[16:17], v2, 24, v[6:7]
	v_mov_b32_e32 v6, v3
	v_mad_u64_u32 v[6:7], s[16:17], v8, 24, v[6:7]
	v_mov_b32_e32 v3, v6
	global_load_dwordx2 v[2:3], v[2:3], off glc
	s_waitcnt vmcnt(0)
	global_atomic_cmpswap_x2 v[8:9], v1, v[2:5], s[6:7] offset:24 glc
	s_waitcnt vmcnt(0)
	buffer_invl2
	buffer_wbinvl1_vol
	v_cmp_eq_u64_e32 vcc, v[8:9], v[4:5]
	s_or_b64 s[14:15], vcc, s[14:15]
	s_andn2_b64 exec, exec, s[14:15]
	s_cbranch_execnz .LBB3_3
; %bb.4:
	s_or_b64 exec, exec, s[14:15]
.LBB3_5:
	s_or_b64 exec, exec, s[12:13]
.LBB3_6:
	s_or_b64 exec, exec, s[10:11]
	v_mov_b32_e32 v7, 0
	s_waitcnt lgkmcnt(0)
	global_load_dwordx2 v[10:11], v7, s[6:7] offset:40
	global_load_dwordx4 v[2:5], v7, s[6:7]
	v_readfirstlane_b32 s10, v8
	v_readfirstlane_b32 s11, v9
	s_mov_b64 s[12:13], exec
	s_waitcnt vmcnt(1)
	v_readfirstlane_b32 s14, v10
	v_readfirstlane_b32 s15, v11
	s_and_b64 s[14:15], s[10:11], s[14:15]
	s_mul_i32 s16, s15, 24
	s_mul_hi_u32 s17, s14, 24
	s_mul_i32 s18, s14, 24
	s_add_i32 s16, s17, s16
	v_mov_b32_e32 v1, s16
	s_waitcnt vmcnt(0)
	v_add_co_u32_e32 v10, vcc, s18, v2
	v_addc_co_u32_e32 v11, vcc, v3, v1, vcc
	s_and_saveexec_b64 s[16:17], s[4:5]
	s_cbranch_execz .LBB3_8
; %bb.7:
	v_pk_mov_b32 v[12:13], s[12:13], s[12:13] op_sel:[0,1]
	v_mov_b32_e32 v14, 2
	v_mov_b32_e32 v15, 1
	global_store_dwordx4 v[10:11], v[12:15], off offset:8
.LBB3_8:
	s_or_b64 exec, exec, s[16:17]
	s_lshl_b64 s[12:13], s[14:15], 12
	v_mov_b32_e32 v1, s13
	v_add_co_u32_e32 v4, vcc, s12, v4
	v_addc_co_u32_e32 v1, vcc, v5, v1, vcc
	s_mov_b32 s12, 0
	v_lshlrev_b32_e32 v36, 6, v37
	v_mov_b32_e32 v6, 33
	v_mov_b32_e32 v8, v7
	;; [unrolled: 1-line block ×3, first 2 shown]
	v_readfirstlane_b32 s16, v4
	v_readfirstlane_b32 s17, v1
	s_mov_b32 s13, s12
	v_add_co_u32_e32 v12, vcc, v4, v36
	s_mov_b32 s14, s12
	s_mov_b32 s15, s12
	s_nop 0
	global_store_dwordx4 v36, v[6:9], s[16:17]
	v_pk_mov_b32 v[4:5], s[12:13], s[12:13] op_sel:[0,1]
	v_addc_co_u32_e32 v13, vcc, 0, v1, vcc
	v_pk_mov_b32 v[6:7], s[14:15], s[14:15] op_sel:[0,1]
	global_store_dwordx4 v36, v[4:7], s[16:17] offset:16
	global_store_dwordx4 v36, v[4:7], s[16:17] offset:32
	;; [unrolled: 1-line block ×3, first 2 shown]
	s_and_saveexec_b64 s[12:13], s[4:5]
	s_cbranch_execz .LBB3_16
; %bb.9:
	v_mov_b32_e32 v1, 0
	global_load_dwordx2 v[16:17], v1, s[6:7] offset:32 glc
	global_load_dwordx2 v[4:5], v1, s[6:7] offset:40
	v_mov_b32_e32 v14, s10
	v_mov_b32_e32 v15, s11
	s_waitcnt vmcnt(0)
	v_and_b32_e32 v4, s10, v4
	v_and_b32_e32 v5, s11, v5
	v_mul_lo_u32 v5, v5, 24
	v_mul_hi_u32 v6, v4, 24
	v_mul_lo_u32 v4, v4, 24
	v_add_u32_e32 v5, v6, v5
	v_add_co_u32_e32 v6, vcc, v2, v4
	v_addc_co_u32_e32 v7, vcc, v3, v5, vcc
	global_store_dwordx2 v[6:7], v[16:17], off
	buffer_wbl2
	s_waitcnt vmcnt(0)
	global_atomic_cmpswap_x2 v[4:5], v1, v[14:17], s[6:7] offset:32 glc
	s_waitcnt vmcnt(0)
	v_cmp_ne_u64_e32 vcc, v[4:5], v[16:17]
	s_and_saveexec_b64 s[14:15], vcc
	s_cbranch_execz .LBB3_12
; %bb.10:
	s_mov_b64 s[16:17], 0
.LBB3_11:                               ; =>This Inner Loop Header: Depth=1
	s_sleep 1
	global_store_dwordx2 v[6:7], v[4:5], off
	v_mov_b32_e32 v2, s10
	v_mov_b32_e32 v3, s11
	buffer_wbl2
	s_waitcnt vmcnt(0)
	global_atomic_cmpswap_x2 v[2:3], v1, v[2:5], s[6:7] offset:32 glc
	s_waitcnt vmcnt(0)
	v_cmp_eq_u64_e32 vcc, v[2:3], v[4:5]
	s_or_b64 s[16:17], vcc, s[16:17]
	v_pk_mov_b32 v[4:5], v[2:3], v[2:3] op_sel:[0,1]
	s_andn2_b64 exec, exec, s[16:17]
	s_cbranch_execnz .LBB3_11
.LBB3_12:
	s_or_b64 exec, exec, s[14:15]
	v_mov_b32_e32 v5, 0
	global_load_dwordx2 v[2:3], v5, s[6:7] offset:16
	s_mov_b64 s[14:15], exec
	v_mbcnt_lo_u32_b32 v1, s14, 0
	v_mbcnt_hi_u32_b32 v1, s15, v1
	v_cmp_eq_u32_e32 vcc, 0, v1
	s_and_saveexec_b64 s[16:17], vcc
	s_cbranch_execz .LBB3_14
; %bb.13:
	s_bcnt1_i32_b64 s14, s[14:15]
	v_mov_b32_e32 v4, s14
	buffer_wbl2
	s_waitcnt vmcnt(0)
	global_atomic_add_x2 v[2:3], v[4:5], off offset:8
.LBB3_14:
	s_or_b64 exec, exec, s[16:17]
	s_waitcnt vmcnt(0)
	global_load_dwordx2 v[4:5], v[2:3], off offset:16
	s_waitcnt vmcnt(0)
	v_cmp_eq_u64_e32 vcc, 0, v[4:5]
	s_cbranch_vccnz .LBB3_16
; %bb.15:
	global_load_dword v2, v[2:3], off offset:24
	v_mov_b32_e32 v3, 0
	s_waitcnt vmcnt(0)
	v_and_b32_e32 v1, 0xffffff, v2
	v_readfirstlane_b32 m0, v1
	buffer_wbl2
	global_store_dwordx2 v[4:5], v[2:3], off
	s_sendmsg sendmsg(MSG_INTERRUPT)
.LBB3_16:
	s_or_b64 exec, exec, s[12:13]
	s_branch .LBB3_20
.LBB3_17:                               ;   in Loop: Header=BB3_20 Depth=1
	s_or_b64 exec, exec, s[12:13]
	v_readfirstlane_b32 s12, v1
	s_cmp_eq_u32 s12, 0
	s_cbranch_scc1 .LBB3_19
; %bb.18:                               ;   in Loop: Header=BB3_20 Depth=1
	s_sleep 1
	s_cbranch_execnz .LBB3_20
	s_branch .LBB3_22
.LBB3_19:
	s_branch .LBB3_22
.LBB3_20:                               ; =>This Inner Loop Header: Depth=1
	v_mov_b32_e32 v1, 1
	s_and_saveexec_b64 s[12:13], s[4:5]
	s_cbranch_execz .LBB3_17
; %bb.21:                               ;   in Loop: Header=BB3_20 Depth=1
	global_load_dword v1, v[10:11], off offset:20 glc
	s_waitcnt vmcnt(0)
	buffer_invl2
	buffer_wbinvl1_vol
	v_and_b32_e32 v1, 1, v1
	s_branch .LBB3_17
.LBB3_22:
	global_load_dwordx2 v[6:7], v[12:13], off
	s_and_saveexec_b64 s[12:13], s[4:5]
	s_cbranch_execz .LBB3_25
; %bb.23:
	v_mov_b32_e32 v1, 0
	global_load_dwordx2 v[8:9], v1, s[6:7] offset:40
	global_load_dwordx2 v[10:11], v1, s[6:7] offset:24 glc
	global_load_dwordx2 v[12:13], v1, s[6:7]
	v_mov_b32_e32 v3, s11
	s_mov_b64 s[4:5], 0
	s_waitcnt vmcnt(2)
	v_add_co_u32_e32 v5, vcc, 1, v8
	v_addc_co_u32_e32 v14, vcc, 0, v9, vcc
	v_add_co_u32_e32 v2, vcc, s10, v5
	v_addc_co_u32_e32 v3, vcc, v14, v3, vcc
	v_cmp_eq_u64_e32 vcc, 0, v[2:3]
	v_cndmask_b32_e32 v3, v3, v14, vcc
	v_cndmask_b32_e32 v2, v2, v5, vcc
	v_and_b32_e32 v5, v3, v9
	v_and_b32_e32 v8, v2, v8
	v_mul_lo_u32 v5, v5, 24
	v_mul_hi_u32 v9, v8, 24
	v_mul_lo_u32 v8, v8, 24
	v_add_u32_e32 v5, v9, v5
	s_waitcnt vmcnt(0)
	v_add_co_u32_e32 v8, vcc, v12, v8
	v_addc_co_u32_e32 v9, vcc, v13, v5, vcc
	v_mov_b32_e32 v4, v10
	global_store_dwordx2 v[8:9], v[10:11], off
	v_mov_b32_e32 v5, v11
	buffer_wbl2
	s_waitcnt vmcnt(0)
	global_atomic_cmpswap_x2 v[4:5], v1, v[2:5], s[6:7] offset:24 glc
	s_waitcnt vmcnt(0)
	v_cmp_ne_u64_e32 vcc, v[4:5], v[10:11]
	s_and_b64 exec, exec, vcc
	s_cbranch_execz .LBB3_25
.LBB3_24:                               ; =>This Inner Loop Header: Depth=1
	s_sleep 1
	global_store_dwordx2 v[8:9], v[4:5], off
	buffer_wbl2
	s_waitcnt vmcnt(0)
	global_atomic_cmpswap_x2 v[10:11], v1, v[2:5], s[6:7] offset:24 glc
	s_waitcnt vmcnt(0)
	v_cmp_eq_u64_e32 vcc, v[10:11], v[4:5]
	s_or_b64 s[4:5], vcc, s[4:5]
	v_pk_mov_b32 v[4:5], v[10:11], v[10:11] op_sel:[0,1]
	s_andn2_b64 exec, exec, s[4:5]
	s_cbranch_execnz .LBB3_24
.LBB3_25:
	s_or_b64 exec, exec, s[12:13]
	s_getpc_b64 s[10:11]
	s_add_u32 s10, s10, .str.3@rel32@lo+4
	s_addc_u32 s11, s11, .str.3@rel32@hi+12
	s_cmp_lg_u64 s[10:11], 0
	s_cbranch_scc0 .LBB3_109
; %bb.26:
	s_waitcnt vmcnt(0)
	v_and_b32_e32 v28, 2, v6
	v_mov_b32_e32 v31, 0
	v_and_b32_e32 v2, -3, v6
	v_mov_b32_e32 v3, v7
	s_mov_b64 s[12:13], 0x4d
	v_mov_b32_e32 v10, 2
	v_mov_b32_e32 v11, 1
	s_branch .LBB3_28
.LBB3_27:                               ;   in Loop: Header=BB3_28 Depth=1
	s_or_b64 exec, exec, s[18:19]
	s_sub_u32 s12, s12, s14
	s_subb_u32 s13, s13, s15
	s_add_u32 s10, s10, s14
	s_addc_u32 s11, s11, s15
	s_cmp_lg_u64 s[12:13], 0
	s_cbranch_scc0 .LBB3_110
.LBB3_28:                               ; =>This Loop Header: Depth=1
                                        ;     Child Loop BB3_31 Depth 2
                                        ;     Child Loop BB3_38 Depth 2
	;; [unrolled: 1-line block ×11, first 2 shown]
	v_cmp_lt_u64_e64 s[4:5], s[12:13], 56
	s_and_b64 s[4:5], s[4:5], exec
	v_cmp_gt_u64_e64 s[4:5], s[12:13], 7
	s_cselect_b32 s15, s13, 0
	s_cselect_b32 s14, s12, 56
	s_and_b64 vcc, exec, s[4:5]
	s_cbranch_vccnz .LBB3_33
; %bb.29:                               ;   in Loop: Header=BB3_28 Depth=1
	s_mov_b64 s[4:5], 0
	s_cmp_eq_u64 s[12:13], 0
	s_waitcnt vmcnt(0)
	v_pk_mov_b32 v[4:5], 0, 0
	s_cbranch_scc1 .LBB3_32
; %bb.30:                               ;   in Loop: Header=BB3_28 Depth=1
	s_lshl_b64 s[16:17], s[14:15], 3
	s_mov_b64 s[18:19], 0
	v_pk_mov_b32 v[4:5], 0, 0
	s_mov_b64 s[20:21], s[10:11]
.LBB3_31:                               ;   Parent Loop BB3_28 Depth=1
                                        ; =>  This Inner Loop Header: Depth=2
	global_load_ubyte v1, v31, s[20:21]
	s_waitcnt vmcnt(0)
	v_and_b32_e32 v30, 0xffff, v1
	v_lshlrev_b64 v[8:9], s18, v[30:31]
	s_add_u32 s18, s18, 8
	s_addc_u32 s19, s19, 0
	s_add_u32 s20, s20, 1
	s_addc_u32 s21, s21, 0
	v_or_b32_e32 v4, v8, v4
	s_cmp_lg_u32 s16, s18
	v_or_b32_e32 v5, v9, v5
	s_cbranch_scc1 .LBB3_31
.LBB3_32:                               ;   in Loop: Header=BB3_28 Depth=1
	s_mov_b32 s20, 0
	s_andn2_b64 vcc, exec, s[4:5]
	s_mov_b64 s[4:5], s[10:11]
	s_cbranch_vccz .LBB3_34
	s_branch .LBB3_35
.LBB3_33:                               ;   in Loop: Header=BB3_28 Depth=1
                                        ; implicit-def: $vgpr4_vgpr5
                                        ; implicit-def: $sgpr20
	s_mov_b64 s[4:5], s[10:11]
.LBB3_34:                               ;   in Loop: Header=BB3_28 Depth=1
	global_load_dwordx2 v[4:5], v31, s[10:11]
	s_add_i32 s20, s14, -8
	s_add_u32 s4, s10, 8
	s_addc_u32 s5, s11, 0
.LBB3_35:                               ;   in Loop: Header=BB3_28 Depth=1
	s_cmp_gt_u32 s20, 7
	s_cbranch_scc1 .LBB3_39
; %bb.36:                               ;   in Loop: Header=BB3_28 Depth=1
	s_cmp_eq_u32 s20, 0
	s_cbranch_scc1 .LBB3_40
; %bb.37:                               ;   in Loop: Header=BB3_28 Depth=1
	s_mov_b64 s[16:17], 0
	v_pk_mov_b32 v[12:13], 0, 0
	s_mov_b64 s[18:19], 0
.LBB3_38:                               ;   Parent Loop BB3_28 Depth=1
                                        ; =>  This Inner Loop Header: Depth=2
	s_add_u32 s22, s4, s18
	s_addc_u32 s23, s5, s19
	global_load_ubyte v1, v31, s[22:23]
	s_add_u32 s18, s18, 1
	s_addc_u32 s19, s19, 0
	s_waitcnt vmcnt(0)
	v_and_b32_e32 v30, 0xffff, v1
	v_lshlrev_b64 v[8:9], s16, v[30:31]
	s_add_u32 s16, s16, 8
	s_addc_u32 s17, s17, 0
	v_or_b32_e32 v12, v8, v12
	s_cmp_lg_u32 s20, s18
	v_or_b32_e32 v13, v9, v13
	s_cbranch_scc1 .LBB3_38
	s_branch .LBB3_41
.LBB3_39:                               ;   in Loop: Header=BB3_28 Depth=1
                                        ; implicit-def: $vgpr12_vgpr13
                                        ; implicit-def: $sgpr21
	s_branch .LBB3_42
.LBB3_40:                               ;   in Loop: Header=BB3_28 Depth=1
	v_pk_mov_b32 v[12:13], 0, 0
.LBB3_41:                               ;   in Loop: Header=BB3_28 Depth=1
	s_mov_b32 s21, 0
	s_cbranch_execnz .LBB3_43
.LBB3_42:                               ;   in Loop: Header=BB3_28 Depth=1
	global_load_dwordx2 v[12:13], v31, s[4:5]
	s_add_i32 s21, s20, -8
	s_add_u32 s4, s4, 8
	s_addc_u32 s5, s5, 0
.LBB3_43:                               ;   in Loop: Header=BB3_28 Depth=1
	s_cmp_gt_u32 s21, 7
	s_cbranch_scc1 .LBB3_47
; %bb.44:                               ;   in Loop: Header=BB3_28 Depth=1
	s_cmp_eq_u32 s21, 0
	s_cbranch_scc1 .LBB3_48
; %bb.45:                               ;   in Loop: Header=BB3_28 Depth=1
	s_mov_b64 s[16:17], 0
	v_pk_mov_b32 v[14:15], 0, 0
	s_mov_b64 s[18:19], 0
.LBB3_46:                               ;   Parent Loop BB3_28 Depth=1
                                        ; =>  This Inner Loop Header: Depth=2
	s_add_u32 s22, s4, s18
	s_addc_u32 s23, s5, s19
	global_load_ubyte v1, v31, s[22:23]
	s_add_u32 s18, s18, 1
	s_addc_u32 s19, s19, 0
	s_waitcnt vmcnt(0)
	v_and_b32_e32 v30, 0xffff, v1
	v_lshlrev_b64 v[8:9], s16, v[30:31]
	s_add_u32 s16, s16, 8
	s_addc_u32 s17, s17, 0
	v_or_b32_e32 v14, v8, v14
	s_cmp_lg_u32 s21, s18
	v_or_b32_e32 v15, v9, v15
	s_cbranch_scc1 .LBB3_46
	s_branch .LBB3_49
.LBB3_47:                               ;   in Loop: Header=BB3_28 Depth=1
                                        ; implicit-def: $sgpr20
	s_branch .LBB3_50
.LBB3_48:                               ;   in Loop: Header=BB3_28 Depth=1
	v_pk_mov_b32 v[14:15], 0, 0
.LBB3_49:                               ;   in Loop: Header=BB3_28 Depth=1
	s_mov_b32 s20, 0
	s_cbranch_execnz .LBB3_51
.LBB3_50:                               ;   in Loop: Header=BB3_28 Depth=1
	global_load_dwordx2 v[14:15], v31, s[4:5]
	s_add_i32 s20, s21, -8
	s_add_u32 s4, s4, 8
	s_addc_u32 s5, s5, 0
.LBB3_51:                               ;   in Loop: Header=BB3_28 Depth=1
	s_cmp_gt_u32 s20, 7
	s_cbranch_scc1 .LBB3_55
; %bb.52:                               ;   in Loop: Header=BB3_28 Depth=1
	s_cmp_eq_u32 s20, 0
	s_cbranch_scc1 .LBB3_56
; %bb.53:                               ;   in Loop: Header=BB3_28 Depth=1
	s_mov_b64 s[16:17], 0
	v_pk_mov_b32 v[16:17], 0, 0
	s_mov_b64 s[18:19], 0
.LBB3_54:                               ;   Parent Loop BB3_28 Depth=1
                                        ; =>  This Inner Loop Header: Depth=2
	s_add_u32 s22, s4, s18
	s_addc_u32 s23, s5, s19
	global_load_ubyte v1, v31, s[22:23]
	s_add_u32 s18, s18, 1
	s_addc_u32 s19, s19, 0
	s_waitcnt vmcnt(0)
	v_and_b32_e32 v30, 0xffff, v1
	v_lshlrev_b64 v[8:9], s16, v[30:31]
	s_add_u32 s16, s16, 8
	s_addc_u32 s17, s17, 0
	v_or_b32_e32 v16, v8, v16
	s_cmp_lg_u32 s20, s18
	v_or_b32_e32 v17, v9, v17
	s_cbranch_scc1 .LBB3_54
	s_branch .LBB3_57
.LBB3_55:                               ;   in Loop: Header=BB3_28 Depth=1
                                        ; implicit-def: $vgpr16_vgpr17
                                        ; implicit-def: $sgpr21
	s_branch .LBB3_58
.LBB3_56:                               ;   in Loop: Header=BB3_28 Depth=1
	v_pk_mov_b32 v[16:17], 0, 0
.LBB3_57:                               ;   in Loop: Header=BB3_28 Depth=1
	s_mov_b32 s21, 0
	s_cbranch_execnz .LBB3_59
.LBB3_58:                               ;   in Loop: Header=BB3_28 Depth=1
	global_load_dwordx2 v[16:17], v31, s[4:5]
	s_add_i32 s21, s20, -8
	s_add_u32 s4, s4, 8
	s_addc_u32 s5, s5, 0
.LBB3_59:                               ;   in Loop: Header=BB3_28 Depth=1
	s_cmp_gt_u32 s21, 7
	s_cbranch_scc1 .LBB3_63
; %bb.60:                               ;   in Loop: Header=BB3_28 Depth=1
	s_cmp_eq_u32 s21, 0
	s_cbranch_scc1 .LBB3_64
; %bb.61:                               ;   in Loop: Header=BB3_28 Depth=1
	s_mov_b64 s[16:17], 0
	v_pk_mov_b32 v[18:19], 0, 0
	s_mov_b64 s[18:19], 0
.LBB3_62:                               ;   Parent Loop BB3_28 Depth=1
                                        ; =>  This Inner Loop Header: Depth=2
	s_add_u32 s22, s4, s18
	s_addc_u32 s23, s5, s19
	global_load_ubyte v1, v31, s[22:23]
	s_add_u32 s18, s18, 1
	s_addc_u32 s19, s19, 0
	s_waitcnt vmcnt(0)
	v_and_b32_e32 v30, 0xffff, v1
	v_lshlrev_b64 v[8:9], s16, v[30:31]
	s_add_u32 s16, s16, 8
	s_addc_u32 s17, s17, 0
	v_or_b32_e32 v18, v8, v18
	s_cmp_lg_u32 s21, s18
	v_or_b32_e32 v19, v9, v19
	s_cbranch_scc1 .LBB3_62
	s_branch .LBB3_65
.LBB3_63:                               ;   in Loop: Header=BB3_28 Depth=1
                                        ; implicit-def: $sgpr20
	s_branch .LBB3_66
.LBB3_64:                               ;   in Loop: Header=BB3_28 Depth=1
	v_pk_mov_b32 v[18:19], 0, 0
.LBB3_65:                               ;   in Loop: Header=BB3_28 Depth=1
	s_mov_b32 s20, 0
	s_cbranch_execnz .LBB3_67
.LBB3_66:                               ;   in Loop: Header=BB3_28 Depth=1
	global_load_dwordx2 v[18:19], v31, s[4:5]
	s_add_i32 s20, s21, -8
	s_add_u32 s4, s4, 8
	s_addc_u32 s5, s5, 0
.LBB3_67:                               ;   in Loop: Header=BB3_28 Depth=1
	s_cmp_gt_u32 s20, 7
	s_cbranch_scc1 .LBB3_71
; %bb.68:                               ;   in Loop: Header=BB3_28 Depth=1
	s_cmp_eq_u32 s20, 0
	s_cbranch_scc1 .LBB3_72
; %bb.69:                               ;   in Loop: Header=BB3_28 Depth=1
	s_mov_b64 s[16:17], 0
	v_pk_mov_b32 v[20:21], 0, 0
	s_mov_b64 s[18:19], 0
.LBB3_70:                               ;   Parent Loop BB3_28 Depth=1
                                        ; =>  This Inner Loop Header: Depth=2
	s_add_u32 s22, s4, s18
	s_addc_u32 s23, s5, s19
	global_load_ubyte v1, v31, s[22:23]
	s_add_u32 s18, s18, 1
	s_addc_u32 s19, s19, 0
	s_waitcnt vmcnt(0)
	v_and_b32_e32 v30, 0xffff, v1
	v_lshlrev_b64 v[8:9], s16, v[30:31]
	s_add_u32 s16, s16, 8
	s_addc_u32 s17, s17, 0
	v_or_b32_e32 v20, v8, v20
	s_cmp_lg_u32 s20, s18
	v_or_b32_e32 v21, v9, v21
	s_cbranch_scc1 .LBB3_70
	s_branch .LBB3_73
.LBB3_71:                               ;   in Loop: Header=BB3_28 Depth=1
                                        ; implicit-def: $vgpr20_vgpr21
                                        ; implicit-def: $sgpr21
	s_branch .LBB3_74
.LBB3_72:                               ;   in Loop: Header=BB3_28 Depth=1
	v_pk_mov_b32 v[20:21], 0, 0
.LBB3_73:                               ;   in Loop: Header=BB3_28 Depth=1
	s_mov_b32 s21, 0
	s_cbranch_execnz .LBB3_75
.LBB3_74:                               ;   in Loop: Header=BB3_28 Depth=1
	global_load_dwordx2 v[20:21], v31, s[4:5]
	s_add_i32 s21, s20, -8
	s_add_u32 s4, s4, 8
	s_addc_u32 s5, s5, 0
.LBB3_75:                               ;   in Loop: Header=BB3_28 Depth=1
	s_cmp_gt_u32 s21, 7
	s_cbranch_scc1 .LBB3_79
; %bb.76:                               ;   in Loop: Header=BB3_28 Depth=1
	s_cmp_eq_u32 s21, 0
	s_cbranch_scc1 .LBB3_80
; %bb.77:                               ;   in Loop: Header=BB3_28 Depth=1
	s_mov_b64 s[16:17], 0
	v_pk_mov_b32 v[22:23], 0, 0
	s_mov_b64 s[18:19], s[4:5]
.LBB3_78:                               ;   Parent Loop BB3_28 Depth=1
                                        ; =>  This Inner Loop Header: Depth=2
	global_load_ubyte v1, v31, s[18:19]
	s_add_i32 s21, s21, -1
	s_waitcnt vmcnt(0)
	v_and_b32_e32 v30, 0xffff, v1
	v_lshlrev_b64 v[8:9], s16, v[30:31]
	s_add_u32 s16, s16, 8
	s_addc_u32 s17, s17, 0
	s_add_u32 s18, s18, 1
	s_addc_u32 s19, s19, 0
	v_or_b32_e32 v22, v8, v22
	s_cmp_lg_u32 s21, 0
	v_or_b32_e32 v23, v9, v23
	s_cbranch_scc1 .LBB3_78
	s_branch .LBB3_81
.LBB3_79:                               ;   in Loop: Header=BB3_28 Depth=1
	s_branch .LBB3_82
.LBB3_80:                               ;   in Loop: Header=BB3_28 Depth=1
	v_pk_mov_b32 v[22:23], 0, 0
.LBB3_81:                               ;   in Loop: Header=BB3_28 Depth=1
	s_cbranch_execnz .LBB3_83
.LBB3_82:                               ;   in Loop: Header=BB3_28 Depth=1
	global_load_dwordx2 v[22:23], v31, s[4:5]
.LBB3_83:                               ;   in Loop: Header=BB3_28 Depth=1
	v_readfirstlane_b32 s4, v37
	v_cmp_eq_u32_e64 s[4:5], s4, v37
	v_pk_mov_b32 v[8:9], 0, 0
	s_and_saveexec_b64 s[16:17], s[4:5]
	s_cbranch_execz .LBB3_89
; %bb.84:                               ;   in Loop: Header=BB3_28 Depth=1
	global_load_dwordx2 v[26:27], v31, s[6:7] offset:24 glc
	s_waitcnt vmcnt(0)
	buffer_invl2
	buffer_wbinvl1_vol
	global_load_dwordx2 v[8:9], v31, s[6:7] offset:40
	global_load_dwordx2 v[24:25], v31, s[6:7]
	s_waitcnt vmcnt(1)
	v_and_b32_e32 v1, v8, v26
	v_and_b32_e32 v8, v9, v27
	v_mul_lo_u32 v8, v8, 24
	v_mul_hi_u32 v9, v1, 24
	v_mul_lo_u32 v1, v1, 24
	v_add_u32_e32 v9, v9, v8
	s_waitcnt vmcnt(0)
	v_add_co_u32_e32 v8, vcc, v24, v1
	v_addc_co_u32_e32 v9, vcc, v25, v9, vcc
	global_load_dwordx2 v[24:25], v[8:9], off glc
	s_waitcnt vmcnt(0)
	global_atomic_cmpswap_x2 v[8:9], v31, v[24:27], s[6:7] offset:24 glc
	s_waitcnt vmcnt(0)
	buffer_invl2
	buffer_wbinvl1_vol
	v_cmp_ne_u64_e32 vcc, v[8:9], v[26:27]
	s_and_saveexec_b64 s[18:19], vcc
	s_cbranch_execz .LBB3_88
; %bb.85:                               ;   in Loop: Header=BB3_28 Depth=1
	s_mov_b64 s[20:21], 0
.LBB3_86:                               ;   Parent Loop BB3_28 Depth=1
                                        ; =>  This Inner Loop Header: Depth=2
	s_sleep 1
	global_load_dwordx2 v[24:25], v31, s[6:7] offset:40
	global_load_dwordx2 v[32:33], v31, s[6:7]
	v_pk_mov_b32 v[26:27], v[8:9], v[8:9] op_sel:[0,1]
	s_waitcnt vmcnt(1)
	v_and_b32_e32 v8, v24, v26
	s_waitcnt vmcnt(0)
	v_mad_u64_u32 v[8:9], s[22:23], v8, 24, v[32:33]
	v_and_b32_e32 v1, v25, v27
	v_mov_b32_e32 v24, v9
	v_mad_u64_u32 v[24:25], s[22:23], v1, 24, v[24:25]
	v_mov_b32_e32 v9, v24
	global_load_dwordx2 v[24:25], v[8:9], off glc
	s_waitcnt vmcnt(0)
	global_atomic_cmpswap_x2 v[8:9], v31, v[24:27], s[6:7] offset:24 glc
	s_waitcnt vmcnt(0)
	buffer_invl2
	buffer_wbinvl1_vol
	v_cmp_eq_u64_e32 vcc, v[8:9], v[26:27]
	s_or_b64 s[20:21], vcc, s[20:21]
	s_andn2_b64 exec, exec, s[20:21]
	s_cbranch_execnz .LBB3_86
; %bb.87:                               ;   in Loop: Header=BB3_28 Depth=1
	s_or_b64 exec, exec, s[20:21]
.LBB3_88:                               ;   in Loop: Header=BB3_28 Depth=1
	s_or_b64 exec, exec, s[18:19]
.LBB3_89:                               ;   in Loop: Header=BB3_28 Depth=1
	s_or_b64 exec, exec, s[16:17]
	global_load_dwordx2 v[32:33], v31, s[6:7] offset:40
	global_load_dwordx4 v[24:27], v31, s[6:7]
	v_readfirstlane_b32 s16, v8
	v_readfirstlane_b32 s17, v9
	s_mov_b64 s[18:19], exec
	s_waitcnt vmcnt(1)
	v_readfirstlane_b32 s20, v32
	v_readfirstlane_b32 s21, v33
	s_and_b64 s[20:21], s[16:17], s[20:21]
	s_mul_i32 s22, s21, 24
	s_mul_hi_u32 s23, s20, 24
	s_mul_i32 s24, s20, 24
	s_add_i32 s22, s23, s22
	v_mov_b32_e32 v1, s22
	s_waitcnt vmcnt(0)
	v_add_co_u32_e32 v32, vcc, s24, v24
	v_addc_co_u32_e32 v33, vcc, v25, v1, vcc
	s_and_saveexec_b64 s[22:23], s[4:5]
	s_cbranch_execz .LBB3_91
; %bb.90:                               ;   in Loop: Header=BB3_28 Depth=1
	v_pk_mov_b32 v[8:9], s[18:19], s[18:19] op_sel:[0,1]
	global_store_dwordx4 v[32:33], v[8:11], off offset:8
.LBB3_91:                               ;   in Loop: Header=BB3_28 Depth=1
	s_or_b64 exec, exec, s[22:23]
	s_lshl_b64 s[18:19], s[20:21], 12
	v_mov_b32_e32 v1, s19
	v_add_co_u32_e32 v8, vcc, s18, v26
	v_addc_co_u32_e32 v1, vcc, v27, v1, vcc
	v_or_b32_e32 v26, v2, v28
	v_cmp_gt_u64_e64 vcc, s[12:13], 56
	s_lshl_b32 s18, s14, 2
	v_cndmask_b32_e32 v2, v26, v2, vcc
	s_add_i32 s18, s18, 28
	v_or_b32_e32 v9, 0, v3
	s_and_b32 s18, s18, 0x1e0
	v_and_b32_e32 v2, 0xffffff1f, v2
	v_cndmask_b32_e32 v3, v9, v3, vcc
	v_or_b32_e32 v2, s18, v2
	v_readfirstlane_b32 s18, v8
	v_readfirstlane_b32 s19, v1
	s_nop 4
	global_store_dwordx4 v36, v[2:5], s[18:19]
	global_store_dwordx4 v36, v[12:15], s[18:19] offset:16
	global_store_dwordx4 v36, v[16:19], s[18:19] offset:32
	;; [unrolled: 1-line block ×3, first 2 shown]
	s_and_saveexec_b64 s[18:19], s[4:5]
	s_cbranch_execz .LBB3_99
; %bb.92:                               ;   in Loop: Header=BB3_28 Depth=1
	global_load_dwordx2 v[16:17], v31, s[6:7] offset:32 glc
	global_load_dwordx2 v[2:3], v31, s[6:7] offset:40
	v_mov_b32_e32 v14, s16
	v_mov_b32_e32 v15, s17
	s_waitcnt vmcnt(0)
	v_readfirstlane_b32 s20, v2
	v_readfirstlane_b32 s21, v3
	s_and_b64 s[20:21], s[20:21], s[16:17]
	s_mul_i32 s21, s21, 24
	s_mul_hi_u32 s22, s20, 24
	s_mul_i32 s20, s20, 24
	s_add_i32 s21, s22, s21
	v_mov_b32_e32 v2, s21
	v_add_co_u32_e32 v12, vcc, s20, v24
	v_addc_co_u32_e32 v13, vcc, v25, v2, vcc
	global_store_dwordx2 v[12:13], v[16:17], off
	buffer_wbl2
	s_waitcnt vmcnt(0)
	global_atomic_cmpswap_x2 v[4:5], v31, v[14:17], s[6:7] offset:32 glc
	s_waitcnt vmcnt(0)
	v_cmp_ne_u64_e32 vcc, v[4:5], v[16:17]
	s_and_saveexec_b64 s[20:21], vcc
	s_cbranch_execz .LBB3_95
; %bb.93:                               ;   in Loop: Header=BB3_28 Depth=1
	s_mov_b64 s[22:23], 0
.LBB3_94:                               ;   Parent Loop BB3_28 Depth=1
                                        ; =>  This Inner Loop Header: Depth=2
	s_sleep 1
	global_store_dwordx2 v[12:13], v[4:5], off
	v_mov_b32_e32 v2, s16
	v_mov_b32_e32 v3, s17
	buffer_wbl2
	s_waitcnt vmcnt(0)
	global_atomic_cmpswap_x2 v[2:3], v31, v[2:5], s[6:7] offset:32 glc
	s_waitcnt vmcnt(0)
	v_cmp_eq_u64_e32 vcc, v[2:3], v[4:5]
	s_or_b64 s[22:23], vcc, s[22:23]
	v_pk_mov_b32 v[4:5], v[2:3], v[2:3] op_sel:[0,1]
	s_andn2_b64 exec, exec, s[22:23]
	s_cbranch_execnz .LBB3_94
.LBB3_95:                               ;   in Loop: Header=BB3_28 Depth=1
	s_or_b64 exec, exec, s[20:21]
	global_load_dwordx2 v[2:3], v31, s[6:7] offset:16
	s_mov_b64 s[22:23], exec
	v_mbcnt_lo_u32_b32 v4, s22, 0
	v_mbcnt_hi_u32_b32 v4, s23, v4
	v_cmp_eq_u32_e32 vcc, 0, v4
	s_and_saveexec_b64 s[20:21], vcc
	s_cbranch_execz .LBB3_97
; %bb.96:                               ;   in Loop: Header=BB3_28 Depth=1
	s_bcnt1_i32_b64 s22, s[22:23]
	v_mov_b32_e32 v30, s22
	buffer_wbl2
	s_waitcnt vmcnt(0)
	global_atomic_add_x2 v[2:3], v[30:31], off offset:8
.LBB3_97:                               ;   in Loop: Header=BB3_28 Depth=1
	s_or_b64 exec, exec, s[20:21]
	s_waitcnt vmcnt(0)
	global_load_dwordx2 v[4:5], v[2:3], off offset:16
	s_waitcnt vmcnt(0)
	v_cmp_eq_u64_e32 vcc, 0, v[4:5]
	s_cbranch_vccnz .LBB3_99
; %bb.98:                               ;   in Loop: Header=BB3_28 Depth=1
	global_load_dword v30, v[2:3], off offset:24
	s_waitcnt vmcnt(0)
	v_and_b32_e32 v2, 0xffffff, v30
	v_readfirstlane_b32 m0, v2
	buffer_wbl2
	global_store_dwordx2 v[4:5], v[30:31], off
	s_sendmsg sendmsg(MSG_INTERRUPT)
.LBB3_99:                               ;   in Loop: Header=BB3_28 Depth=1
	s_or_b64 exec, exec, s[18:19]
	v_add_co_u32_e32 v2, vcc, v8, v36
	v_addc_co_u32_e32 v3, vcc, 0, v1, vcc
	s_branch .LBB3_103
.LBB3_100:                              ;   in Loop: Header=BB3_103 Depth=2
	s_or_b64 exec, exec, s[18:19]
	v_readfirstlane_b32 s18, v1
	s_cmp_eq_u32 s18, 0
	s_cbranch_scc1 .LBB3_102
; %bb.101:                              ;   in Loop: Header=BB3_103 Depth=2
	s_sleep 1
	s_cbranch_execnz .LBB3_103
	s_branch .LBB3_105
.LBB3_102:                              ;   in Loop: Header=BB3_28 Depth=1
	s_branch .LBB3_105
.LBB3_103:                              ;   Parent Loop BB3_28 Depth=1
                                        ; =>  This Inner Loop Header: Depth=2
	v_mov_b32_e32 v1, 1
	s_and_saveexec_b64 s[18:19], s[4:5]
	s_cbranch_execz .LBB3_100
; %bb.104:                              ;   in Loop: Header=BB3_103 Depth=2
	global_load_dword v1, v[32:33], off offset:20 glc
	s_waitcnt vmcnt(0)
	buffer_invl2
	buffer_wbinvl1_vol
	v_and_b32_e32 v1, 1, v1
	s_branch .LBB3_100
.LBB3_105:                              ;   in Loop: Header=BB3_28 Depth=1
	global_load_dwordx4 v[2:5], v[2:3], off
	s_and_saveexec_b64 s[18:19], s[4:5]
	s_cbranch_execz .LBB3_27
; %bb.106:                              ;   in Loop: Header=BB3_28 Depth=1
	global_load_dwordx2 v[4:5], v31, s[6:7] offset:40
	global_load_dwordx2 v[8:9], v31, s[6:7] offset:24 glc
	global_load_dwordx2 v[16:17], v31, s[6:7]
	v_mov_b32_e32 v1, s17
	s_waitcnt vmcnt(2)
	v_add_co_u32_e32 v15, vcc, 1, v4
	v_addc_co_u32_e32 v18, vcc, 0, v5, vcc
	v_add_co_u32_e32 v12, vcc, s16, v15
	v_addc_co_u32_e32 v13, vcc, v18, v1, vcc
	v_cmp_eq_u64_e32 vcc, 0, v[12:13]
	v_cndmask_b32_e32 v13, v13, v18, vcc
	v_cndmask_b32_e32 v12, v12, v15, vcc
	v_and_b32_e32 v1, v13, v5
	v_and_b32_e32 v4, v12, v4
	v_mul_lo_u32 v1, v1, 24
	v_mul_hi_u32 v5, v4, 24
	v_mul_lo_u32 v4, v4, 24
	v_add_u32_e32 v1, v5, v1
	s_waitcnt vmcnt(0)
	v_add_co_u32_e32 v4, vcc, v16, v4
	v_addc_co_u32_e32 v5, vcc, v17, v1, vcc
	v_mov_b32_e32 v14, v8
	global_store_dwordx2 v[4:5], v[8:9], off
	v_mov_b32_e32 v15, v9
	buffer_wbl2
	s_waitcnt vmcnt(0)
	global_atomic_cmpswap_x2 v[14:15], v31, v[12:15], s[6:7] offset:24 glc
	s_waitcnt vmcnt(0)
	v_cmp_ne_u64_e32 vcc, v[14:15], v[8:9]
	s_and_b64 exec, exec, vcc
	s_cbranch_execz .LBB3_27
; %bb.107:                              ;   in Loop: Header=BB3_28 Depth=1
	s_mov_b64 s[4:5], 0
.LBB3_108:                              ;   Parent Loop BB3_28 Depth=1
                                        ; =>  This Inner Loop Header: Depth=2
	s_sleep 1
	global_store_dwordx2 v[4:5], v[14:15], off
	buffer_wbl2
	s_waitcnt vmcnt(0)
	global_atomic_cmpswap_x2 v[8:9], v31, v[12:15], s[6:7] offset:24 glc
	s_waitcnt vmcnt(0)
	v_cmp_eq_u64_e32 vcc, v[8:9], v[14:15]
	s_or_b64 s[4:5], vcc, s[4:5]
	v_pk_mov_b32 v[14:15], v[8:9], v[8:9] op_sel:[0,1]
	s_andn2_b64 exec, exec, s[4:5]
	s_cbranch_execnz .LBB3_108
	s_branch .LBB3_27
.LBB3_109:
                                        ; implicit-def: $vgpr2_vgpr3
	s_cbranch_execnz .LBB3_111
	s_branch .LBB3_137
.LBB3_110:
	s_branch .LBB3_137
.LBB3_111:
	v_readfirstlane_b32 s4, v37
	v_cmp_eq_u32_e64 s[4:5], s4, v37
	v_pk_mov_b32 v[10:11], 0, 0
	s_and_saveexec_b64 s[10:11], s[4:5]
	s_cbranch_execz .LBB3_117
; %bb.112:
	v_mov_b32_e32 v1, 0
	global_load_dwordx2 v[4:5], v1, s[6:7] offset:24 glc
	s_waitcnt vmcnt(0)
	buffer_invl2
	buffer_wbinvl1_vol
	global_load_dwordx2 v[2:3], v1, s[6:7] offset:40
	global_load_dwordx2 v[8:9], v1, s[6:7]
	s_waitcnt vmcnt(1)
	v_and_b32_e32 v2, v2, v4
	v_and_b32_e32 v3, v3, v5
	v_mul_lo_u32 v3, v3, 24
	v_mul_hi_u32 v10, v2, 24
	v_mul_lo_u32 v2, v2, 24
	v_add_u32_e32 v3, v10, v3
	s_waitcnt vmcnt(0)
	v_add_co_u32_e32 v2, vcc, v8, v2
	v_addc_co_u32_e32 v3, vcc, v9, v3, vcc
	global_load_dwordx2 v[2:3], v[2:3], off glc
	s_waitcnt vmcnt(0)
	global_atomic_cmpswap_x2 v[10:11], v1, v[2:5], s[6:7] offset:24 glc
	s_waitcnt vmcnt(0)
	buffer_invl2
	buffer_wbinvl1_vol
	v_cmp_ne_u64_e32 vcc, v[10:11], v[4:5]
	s_and_saveexec_b64 s[12:13], vcc
	s_cbranch_execz .LBB3_116
; %bb.113:
	s_mov_b64 s[14:15], 0
.LBB3_114:                              ; =>This Inner Loop Header: Depth=1
	s_sleep 1
	global_load_dwordx2 v[2:3], v1, s[6:7] offset:40
	global_load_dwordx2 v[8:9], v1, s[6:7]
	v_pk_mov_b32 v[4:5], v[10:11], v[10:11] op_sel:[0,1]
	s_waitcnt vmcnt(1)
	v_and_b32_e32 v2, v2, v4
	v_and_b32_e32 v10, v3, v5
	s_waitcnt vmcnt(0)
	v_mad_u64_u32 v[2:3], s[16:17], v2, 24, v[8:9]
	v_mov_b32_e32 v8, v3
	v_mad_u64_u32 v[8:9], s[16:17], v10, 24, v[8:9]
	v_mov_b32_e32 v3, v8
	global_load_dwordx2 v[2:3], v[2:3], off glc
	s_waitcnt vmcnt(0)
	global_atomic_cmpswap_x2 v[10:11], v1, v[2:5], s[6:7] offset:24 glc
	s_waitcnt vmcnt(0)
	buffer_invl2
	buffer_wbinvl1_vol
	v_cmp_eq_u64_e32 vcc, v[10:11], v[4:5]
	s_or_b64 s[14:15], vcc, s[14:15]
	s_andn2_b64 exec, exec, s[14:15]
	s_cbranch_execnz .LBB3_114
; %bb.115:
	s_or_b64 exec, exec, s[14:15]
.LBB3_116:
	s_or_b64 exec, exec, s[12:13]
.LBB3_117:
	s_or_b64 exec, exec, s[10:11]
	v_mov_b32_e32 v8, 0
	global_load_dwordx2 v[12:13], v8, s[6:7] offset:40
	global_load_dwordx4 v[2:5], v8, s[6:7]
	v_readfirstlane_b32 s10, v10
	v_readfirstlane_b32 s11, v11
	s_mov_b64 s[12:13], exec
	s_waitcnt vmcnt(1)
	v_readfirstlane_b32 s14, v12
	v_readfirstlane_b32 s15, v13
	s_and_b64 s[14:15], s[10:11], s[14:15]
	s_mul_i32 s16, s15, 24
	s_mul_hi_u32 s17, s14, 24
	s_mul_i32 s18, s14, 24
	s_add_i32 s16, s17, s16
	v_mov_b32_e32 v1, s16
	s_waitcnt vmcnt(0)
	v_add_co_u32_e32 v10, vcc, s18, v2
	v_addc_co_u32_e32 v11, vcc, v3, v1, vcc
	s_and_saveexec_b64 s[16:17], s[4:5]
	s_cbranch_execz .LBB3_119
; %bb.118:
	v_pk_mov_b32 v[12:13], s[12:13], s[12:13] op_sel:[0,1]
	v_mov_b32_e32 v14, 2
	v_mov_b32_e32 v15, 1
	global_store_dwordx4 v[10:11], v[12:15], off offset:8
.LBB3_119:
	s_or_b64 exec, exec, s[16:17]
	s_lshl_b64 s[12:13], s[14:15], 12
	v_mov_b32_e32 v1, s13
	v_add_co_u32_e32 v4, vcc, s12, v4
	s_movk_i32 s12, 0xff1f
	v_addc_co_u32_e32 v1, vcc, v5, v1, vcc
	v_and_or_b32 v6, v6, s12, 32
	s_mov_b32 s12, 0
	v_mov_b32_e32 v9, v8
	v_readfirstlane_b32 s16, v4
	v_readfirstlane_b32 s17, v1
	s_mov_b32 s13, s12
	v_add_co_u32_e32 v12, vcc, v4, v36
	s_mov_b32 s14, s12
	s_mov_b32 s15, s12
	s_nop 0
	global_store_dwordx4 v36, v[6:9], s[16:17]
	v_pk_mov_b32 v[4:5], s[12:13], s[12:13] op_sel:[0,1]
	v_addc_co_u32_e32 v13, vcc, 0, v1, vcc
	v_pk_mov_b32 v[6:7], s[14:15], s[14:15] op_sel:[0,1]
	global_store_dwordx4 v36, v[4:7], s[16:17] offset:16
	global_store_dwordx4 v36, v[4:7], s[16:17] offset:32
	;; [unrolled: 1-line block ×3, first 2 shown]
	s_and_saveexec_b64 s[12:13], s[4:5]
	s_cbranch_execz .LBB3_127
; %bb.120:
	v_mov_b32_e32 v1, 0
	global_load_dwordx2 v[16:17], v1, s[6:7] offset:32 glc
	global_load_dwordx2 v[4:5], v1, s[6:7] offset:40
	v_mov_b32_e32 v14, s10
	v_mov_b32_e32 v15, s11
	s_waitcnt vmcnt(0)
	v_readfirstlane_b32 s14, v4
	v_readfirstlane_b32 s15, v5
	s_and_b64 s[14:15], s[14:15], s[10:11]
	s_mul_i32 s15, s15, 24
	s_mul_hi_u32 s16, s14, 24
	s_mul_i32 s14, s14, 24
	s_add_i32 s15, s16, s15
	v_mov_b32_e32 v4, s15
	v_add_co_u32_e32 v6, vcc, s14, v2
	v_addc_co_u32_e32 v7, vcc, v3, v4, vcc
	global_store_dwordx2 v[6:7], v[16:17], off
	buffer_wbl2
	s_waitcnt vmcnt(0)
	global_atomic_cmpswap_x2 v[4:5], v1, v[14:17], s[6:7] offset:32 glc
	s_waitcnt vmcnt(0)
	v_cmp_ne_u64_e32 vcc, v[4:5], v[16:17]
	s_and_saveexec_b64 s[14:15], vcc
	s_cbranch_execz .LBB3_123
; %bb.121:
	s_mov_b64 s[16:17], 0
.LBB3_122:                              ; =>This Inner Loop Header: Depth=1
	s_sleep 1
	global_store_dwordx2 v[6:7], v[4:5], off
	v_mov_b32_e32 v2, s10
	v_mov_b32_e32 v3, s11
	buffer_wbl2
	s_waitcnt vmcnt(0)
	global_atomic_cmpswap_x2 v[2:3], v1, v[2:5], s[6:7] offset:32 glc
	s_waitcnt vmcnt(0)
	v_cmp_eq_u64_e32 vcc, v[2:3], v[4:5]
	s_or_b64 s[16:17], vcc, s[16:17]
	v_pk_mov_b32 v[4:5], v[2:3], v[2:3] op_sel:[0,1]
	s_andn2_b64 exec, exec, s[16:17]
	s_cbranch_execnz .LBB3_122
.LBB3_123:
	s_or_b64 exec, exec, s[14:15]
	v_mov_b32_e32 v5, 0
	global_load_dwordx2 v[2:3], v5, s[6:7] offset:16
	s_mov_b64 s[14:15], exec
	v_mbcnt_lo_u32_b32 v1, s14, 0
	v_mbcnt_hi_u32_b32 v1, s15, v1
	v_cmp_eq_u32_e32 vcc, 0, v1
	s_and_saveexec_b64 s[16:17], vcc
	s_cbranch_execz .LBB3_125
; %bb.124:
	s_bcnt1_i32_b64 s14, s[14:15]
	v_mov_b32_e32 v4, s14
	buffer_wbl2
	s_waitcnt vmcnt(0)
	global_atomic_add_x2 v[2:3], v[4:5], off offset:8
.LBB3_125:
	s_or_b64 exec, exec, s[16:17]
	s_waitcnt vmcnt(0)
	global_load_dwordx2 v[4:5], v[2:3], off offset:16
	s_waitcnt vmcnt(0)
	v_cmp_eq_u64_e32 vcc, 0, v[4:5]
	s_cbranch_vccnz .LBB3_127
; %bb.126:
	global_load_dword v2, v[2:3], off offset:24
	v_mov_b32_e32 v3, 0
	s_waitcnt vmcnt(0)
	v_and_b32_e32 v1, 0xffffff, v2
	v_readfirstlane_b32 m0, v1
	buffer_wbl2
	global_store_dwordx2 v[4:5], v[2:3], off
	s_sendmsg sendmsg(MSG_INTERRUPT)
.LBB3_127:
	s_or_b64 exec, exec, s[12:13]
	s_branch .LBB3_131
.LBB3_128:                              ;   in Loop: Header=BB3_131 Depth=1
	s_or_b64 exec, exec, s[12:13]
	v_readfirstlane_b32 s12, v1
	s_cmp_eq_u32 s12, 0
	s_cbranch_scc1 .LBB3_130
; %bb.129:                              ;   in Loop: Header=BB3_131 Depth=1
	s_sleep 1
	s_cbranch_execnz .LBB3_131
	s_branch .LBB3_133
.LBB3_130:
	s_branch .LBB3_133
.LBB3_131:                              ; =>This Inner Loop Header: Depth=1
	v_mov_b32_e32 v1, 1
	s_and_saveexec_b64 s[12:13], s[4:5]
	s_cbranch_execz .LBB3_128
; %bb.132:                              ;   in Loop: Header=BB3_131 Depth=1
	global_load_dword v1, v[10:11], off offset:20 glc
	s_waitcnt vmcnt(0)
	buffer_invl2
	buffer_wbinvl1_vol
	v_and_b32_e32 v1, 1, v1
	s_branch .LBB3_128
.LBB3_133:
	global_load_dwordx2 v[2:3], v[12:13], off
	s_and_saveexec_b64 s[12:13], s[4:5]
	s_cbranch_execz .LBB3_136
; %bb.134:
	v_mov_b32_e32 v1, 0
	global_load_dwordx2 v[8:9], v1, s[6:7] offset:40
	global_load_dwordx2 v[10:11], v1, s[6:7] offset:24 glc
	global_load_dwordx2 v[12:13], v1, s[6:7]
	v_mov_b32_e32 v5, s11
	s_mov_b64 s[4:5], 0
	s_waitcnt vmcnt(2)
	v_add_co_u32_e32 v7, vcc, 1, v8
	v_addc_co_u32_e32 v14, vcc, 0, v9, vcc
	v_add_co_u32_e32 v4, vcc, s10, v7
	v_addc_co_u32_e32 v5, vcc, v14, v5, vcc
	v_cmp_eq_u64_e32 vcc, 0, v[4:5]
	v_cndmask_b32_e32 v5, v5, v14, vcc
	v_cndmask_b32_e32 v4, v4, v7, vcc
	v_and_b32_e32 v7, v5, v9
	v_and_b32_e32 v8, v4, v8
	v_mul_lo_u32 v7, v7, 24
	v_mul_hi_u32 v9, v8, 24
	v_mul_lo_u32 v8, v8, 24
	v_add_u32_e32 v7, v9, v7
	s_waitcnt vmcnt(0)
	v_add_co_u32_e32 v8, vcc, v12, v8
	v_addc_co_u32_e32 v9, vcc, v13, v7, vcc
	v_mov_b32_e32 v6, v10
	global_store_dwordx2 v[8:9], v[10:11], off
	v_mov_b32_e32 v7, v11
	buffer_wbl2
	s_waitcnt vmcnt(0)
	global_atomic_cmpswap_x2 v[6:7], v1, v[4:7], s[6:7] offset:24 glc
	s_waitcnt vmcnt(0)
	v_cmp_ne_u64_e32 vcc, v[6:7], v[10:11]
	s_and_b64 exec, exec, vcc
	s_cbranch_execz .LBB3_136
.LBB3_135:                              ; =>This Inner Loop Header: Depth=1
	s_sleep 1
	global_store_dwordx2 v[8:9], v[6:7], off
	buffer_wbl2
	s_waitcnt vmcnt(0)
	global_atomic_cmpswap_x2 v[10:11], v1, v[4:7], s[6:7] offset:24 glc
	s_waitcnt vmcnt(0)
	v_cmp_eq_u64_e32 vcc, v[10:11], v[6:7]
	s_or_b64 s[4:5], vcc, s[4:5]
	v_pk_mov_b32 v[6:7], v[10:11], v[10:11] op_sel:[0,1]
	s_andn2_b64 exec, exec, s[4:5]
	s_cbranch_execnz .LBB3_135
.LBB3_136:
	s_or_b64 exec, exec, s[12:13]
.LBB3_137:
	s_getpc_b64 s[10:11]
	s_add_u32 s10, s10, .str.1@rel32@lo+4
	s_addc_u32 s11, s11, .str.1@rel32@hi+12
	s_cmp_lg_u64 s[10:11], 0
	s_cselect_b64 s[4:5], -1, 0
	s_cmp_eq_u64 s[10:11], 0
	s_mov_b64 s[10:11], 0
	s_cbranch_scc1 .LBB3_141
; %bb.138:
	v_mov_b32_e32 v1, 0
	s_getpc_b64 s[10:11]
	s_add_u32 s10, s10, .str.1@rel32@lo+3
	s_addc_u32 s11, s11, .str.1@rel32@hi+11
.LBB3_139:                              ; =>This Inner Loop Header: Depth=1
	global_load_ubyte v4, v1, s[10:11] offset:1
	s_add_u32 s12, s10, 1
	s_addc_u32 s13, s11, 0
	s_mov_b64 s[10:11], s[12:13]
	s_waitcnt vmcnt(0)
	v_cmp_ne_u16_e32 vcc, 0, v4
	s_cbranch_vccnz .LBB3_139
; %bb.140:
	s_getpc_b64 s[10:11]
	s_add_u32 s10, s10, .str.1@rel32@lo+4
	s_addc_u32 s11, s11, .str.1@rel32@hi+12
	s_sub_u32 s10, s12, s10
	s_subb_u32 s11, s13, s11
	s_add_u32 s10, s10, 1
	s_addc_u32 s11, s11, 0
.LBB3_141:
	s_and_b64 vcc, exec, s[4:5]
	s_cbranch_vccz .LBB3_225
; %bb.142:
	s_waitcnt vmcnt(0)
	v_and_b32_e32 v30, 2, v2
	v_mov_b32_e32 v33, 0
	v_and_b32_e32 v4, -3, v2
	v_mov_b32_e32 v5, v3
	v_mov_b32_e32 v8, 2
	;; [unrolled: 1-line block ×3, first 2 shown]
	s_getpc_b64 s[12:13]
	s_add_u32 s12, s12, .str.1@rel32@lo+4
	s_addc_u32 s13, s13, .str.1@rel32@hi+12
	s_branch .LBB3_144
.LBB3_143:                              ;   in Loop: Header=BB3_144 Depth=1
	s_or_b64 exec, exec, s[18:19]
	s_sub_u32 s10, s10, s14
	s_subb_u32 s11, s11, s15
	s_add_u32 s12, s12, s14
	s_addc_u32 s13, s13, s15
	s_cmp_lg_u64 s[10:11], 0
	s_cbranch_scc0 .LBB3_226
.LBB3_144:                              ; =>This Loop Header: Depth=1
                                        ;     Child Loop BB3_147 Depth 2
                                        ;     Child Loop BB3_154 Depth 2
	;; [unrolled: 1-line block ×11, first 2 shown]
	v_cmp_lt_u64_e64 s[4:5], s[10:11], 56
	s_and_b64 s[4:5], s[4:5], exec
	v_cmp_gt_u64_e64 s[4:5], s[10:11], 7
	s_cselect_b32 s15, s11, 0
	s_cselect_b32 s14, s10, 56
	s_and_b64 vcc, exec, s[4:5]
	s_cbranch_vccnz .LBB3_149
; %bb.145:                              ;   in Loop: Header=BB3_144 Depth=1
	s_mov_b64 s[4:5], 0
	s_cmp_eq_u64 s[10:11], 0
	v_pk_mov_b32 v[12:13], 0, 0
	s_cbranch_scc1 .LBB3_148
; %bb.146:                              ;   in Loop: Header=BB3_144 Depth=1
	s_lshl_b64 s[16:17], s[14:15], 3
	s_mov_b64 s[18:19], 0
	v_pk_mov_b32 v[12:13], 0, 0
	s_mov_b64 s[20:21], s[12:13]
.LBB3_147:                              ;   Parent Loop BB3_144 Depth=1
                                        ; =>  This Inner Loop Header: Depth=2
	global_load_ubyte v1, v33, s[20:21]
	s_waitcnt vmcnt(0)
	v_and_b32_e32 v32, 0xffff, v1
	v_lshlrev_b64 v[6:7], s18, v[32:33]
	s_add_u32 s18, s18, 8
	s_addc_u32 s19, s19, 0
	s_add_u32 s20, s20, 1
	s_addc_u32 s21, s21, 0
	v_or_b32_e32 v12, v6, v12
	s_cmp_lg_u32 s16, s18
	v_or_b32_e32 v13, v7, v13
	s_cbranch_scc1 .LBB3_147
.LBB3_148:                              ;   in Loop: Header=BB3_144 Depth=1
	s_mov_b32 s20, 0
	s_andn2_b64 vcc, exec, s[4:5]
	s_mov_b64 s[4:5], s[12:13]
	s_cbranch_vccz .LBB3_150
	s_branch .LBB3_151
.LBB3_149:                              ;   in Loop: Header=BB3_144 Depth=1
                                        ; implicit-def: $vgpr12_vgpr13
                                        ; implicit-def: $sgpr20
	s_mov_b64 s[4:5], s[12:13]
.LBB3_150:                              ;   in Loop: Header=BB3_144 Depth=1
	global_load_dwordx2 v[12:13], v33, s[12:13]
	s_add_i32 s20, s14, -8
	s_add_u32 s4, s12, 8
	s_addc_u32 s5, s13, 0
.LBB3_151:                              ;   in Loop: Header=BB3_144 Depth=1
	s_cmp_gt_u32 s20, 7
	s_cbranch_scc1 .LBB3_155
; %bb.152:                              ;   in Loop: Header=BB3_144 Depth=1
	s_cmp_eq_u32 s20, 0
	s_cbranch_scc1 .LBB3_156
; %bb.153:                              ;   in Loop: Header=BB3_144 Depth=1
	s_mov_b64 s[16:17], 0
	v_pk_mov_b32 v[14:15], 0, 0
	s_mov_b64 s[18:19], 0
.LBB3_154:                              ;   Parent Loop BB3_144 Depth=1
                                        ; =>  This Inner Loop Header: Depth=2
	s_add_u32 s22, s4, s18
	s_addc_u32 s23, s5, s19
	global_load_ubyte v1, v33, s[22:23]
	s_add_u32 s18, s18, 1
	s_addc_u32 s19, s19, 0
	s_waitcnt vmcnt(0)
	v_and_b32_e32 v32, 0xffff, v1
	v_lshlrev_b64 v[6:7], s16, v[32:33]
	s_add_u32 s16, s16, 8
	s_addc_u32 s17, s17, 0
	v_or_b32_e32 v14, v6, v14
	s_cmp_lg_u32 s20, s18
	v_or_b32_e32 v15, v7, v15
	s_cbranch_scc1 .LBB3_154
	s_branch .LBB3_157
.LBB3_155:                              ;   in Loop: Header=BB3_144 Depth=1
                                        ; implicit-def: $vgpr14_vgpr15
                                        ; implicit-def: $sgpr21
	s_branch .LBB3_158
.LBB3_156:                              ;   in Loop: Header=BB3_144 Depth=1
	v_pk_mov_b32 v[14:15], 0, 0
.LBB3_157:                              ;   in Loop: Header=BB3_144 Depth=1
	s_mov_b32 s21, 0
	s_cbranch_execnz .LBB3_159
.LBB3_158:                              ;   in Loop: Header=BB3_144 Depth=1
	global_load_dwordx2 v[14:15], v33, s[4:5]
	s_add_i32 s21, s20, -8
	s_add_u32 s4, s4, 8
	s_addc_u32 s5, s5, 0
.LBB3_159:                              ;   in Loop: Header=BB3_144 Depth=1
	s_cmp_gt_u32 s21, 7
	s_cbranch_scc1 .LBB3_163
; %bb.160:                              ;   in Loop: Header=BB3_144 Depth=1
	s_cmp_eq_u32 s21, 0
	s_cbranch_scc1 .LBB3_164
; %bb.161:                              ;   in Loop: Header=BB3_144 Depth=1
	s_mov_b64 s[16:17], 0
	v_pk_mov_b32 v[16:17], 0, 0
	s_mov_b64 s[18:19], 0
.LBB3_162:                              ;   Parent Loop BB3_144 Depth=1
                                        ; =>  This Inner Loop Header: Depth=2
	s_add_u32 s22, s4, s18
	s_addc_u32 s23, s5, s19
	global_load_ubyte v1, v33, s[22:23]
	s_add_u32 s18, s18, 1
	s_addc_u32 s19, s19, 0
	s_waitcnt vmcnt(0)
	v_and_b32_e32 v32, 0xffff, v1
	v_lshlrev_b64 v[6:7], s16, v[32:33]
	s_add_u32 s16, s16, 8
	s_addc_u32 s17, s17, 0
	v_or_b32_e32 v16, v6, v16
	s_cmp_lg_u32 s21, s18
	v_or_b32_e32 v17, v7, v17
	s_cbranch_scc1 .LBB3_162
	s_branch .LBB3_165
.LBB3_163:                              ;   in Loop: Header=BB3_144 Depth=1
                                        ; implicit-def: $sgpr20
	s_branch .LBB3_166
.LBB3_164:                              ;   in Loop: Header=BB3_144 Depth=1
	v_pk_mov_b32 v[16:17], 0, 0
.LBB3_165:                              ;   in Loop: Header=BB3_144 Depth=1
	s_mov_b32 s20, 0
	s_cbranch_execnz .LBB3_167
.LBB3_166:                              ;   in Loop: Header=BB3_144 Depth=1
	global_load_dwordx2 v[16:17], v33, s[4:5]
	s_add_i32 s20, s21, -8
	s_add_u32 s4, s4, 8
	s_addc_u32 s5, s5, 0
.LBB3_167:                              ;   in Loop: Header=BB3_144 Depth=1
	s_cmp_gt_u32 s20, 7
	s_cbranch_scc1 .LBB3_171
; %bb.168:                              ;   in Loop: Header=BB3_144 Depth=1
	s_cmp_eq_u32 s20, 0
	s_cbranch_scc1 .LBB3_172
; %bb.169:                              ;   in Loop: Header=BB3_144 Depth=1
	s_mov_b64 s[16:17], 0
	v_pk_mov_b32 v[18:19], 0, 0
	s_mov_b64 s[18:19], 0
.LBB3_170:                              ;   Parent Loop BB3_144 Depth=1
                                        ; =>  This Inner Loop Header: Depth=2
	s_add_u32 s22, s4, s18
	s_addc_u32 s23, s5, s19
	global_load_ubyte v1, v33, s[22:23]
	s_add_u32 s18, s18, 1
	s_addc_u32 s19, s19, 0
	s_waitcnt vmcnt(0)
	v_and_b32_e32 v32, 0xffff, v1
	v_lshlrev_b64 v[6:7], s16, v[32:33]
	s_add_u32 s16, s16, 8
	s_addc_u32 s17, s17, 0
	v_or_b32_e32 v18, v6, v18
	s_cmp_lg_u32 s20, s18
	v_or_b32_e32 v19, v7, v19
	s_cbranch_scc1 .LBB3_170
	s_branch .LBB3_173
.LBB3_171:                              ;   in Loop: Header=BB3_144 Depth=1
                                        ; implicit-def: $vgpr18_vgpr19
                                        ; implicit-def: $sgpr21
	s_branch .LBB3_174
.LBB3_172:                              ;   in Loop: Header=BB3_144 Depth=1
	v_pk_mov_b32 v[18:19], 0, 0
.LBB3_173:                              ;   in Loop: Header=BB3_144 Depth=1
	s_mov_b32 s21, 0
	s_cbranch_execnz .LBB3_175
.LBB3_174:                              ;   in Loop: Header=BB3_144 Depth=1
	global_load_dwordx2 v[18:19], v33, s[4:5]
	s_add_i32 s21, s20, -8
	s_add_u32 s4, s4, 8
	s_addc_u32 s5, s5, 0
.LBB3_175:                              ;   in Loop: Header=BB3_144 Depth=1
	s_cmp_gt_u32 s21, 7
	s_cbranch_scc1 .LBB3_179
; %bb.176:                              ;   in Loop: Header=BB3_144 Depth=1
	s_cmp_eq_u32 s21, 0
	s_cbranch_scc1 .LBB3_180
; %bb.177:                              ;   in Loop: Header=BB3_144 Depth=1
	s_mov_b64 s[16:17], 0
	v_pk_mov_b32 v[20:21], 0, 0
	s_mov_b64 s[18:19], 0
.LBB3_178:                              ;   Parent Loop BB3_144 Depth=1
                                        ; =>  This Inner Loop Header: Depth=2
	s_add_u32 s22, s4, s18
	s_addc_u32 s23, s5, s19
	global_load_ubyte v1, v33, s[22:23]
	s_add_u32 s18, s18, 1
	s_addc_u32 s19, s19, 0
	s_waitcnt vmcnt(0)
	v_and_b32_e32 v32, 0xffff, v1
	v_lshlrev_b64 v[6:7], s16, v[32:33]
	s_add_u32 s16, s16, 8
	s_addc_u32 s17, s17, 0
	v_or_b32_e32 v20, v6, v20
	s_cmp_lg_u32 s21, s18
	v_or_b32_e32 v21, v7, v21
	s_cbranch_scc1 .LBB3_178
	s_branch .LBB3_181
.LBB3_179:                              ;   in Loop: Header=BB3_144 Depth=1
                                        ; implicit-def: $sgpr20
	s_branch .LBB3_182
.LBB3_180:                              ;   in Loop: Header=BB3_144 Depth=1
	v_pk_mov_b32 v[20:21], 0, 0
.LBB3_181:                              ;   in Loop: Header=BB3_144 Depth=1
	s_mov_b32 s20, 0
	s_cbranch_execnz .LBB3_183
.LBB3_182:                              ;   in Loop: Header=BB3_144 Depth=1
	global_load_dwordx2 v[20:21], v33, s[4:5]
	s_add_i32 s20, s21, -8
	s_add_u32 s4, s4, 8
	s_addc_u32 s5, s5, 0
.LBB3_183:                              ;   in Loop: Header=BB3_144 Depth=1
	s_cmp_gt_u32 s20, 7
	s_cbranch_scc1 .LBB3_187
; %bb.184:                              ;   in Loop: Header=BB3_144 Depth=1
	s_cmp_eq_u32 s20, 0
	s_cbranch_scc1 .LBB3_188
; %bb.185:                              ;   in Loop: Header=BB3_144 Depth=1
	s_mov_b64 s[16:17], 0
	v_pk_mov_b32 v[22:23], 0, 0
	s_mov_b64 s[18:19], 0
.LBB3_186:                              ;   Parent Loop BB3_144 Depth=1
                                        ; =>  This Inner Loop Header: Depth=2
	s_add_u32 s22, s4, s18
	s_addc_u32 s23, s5, s19
	global_load_ubyte v1, v33, s[22:23]
	s_add_u32 s18, s18, 1
	s_addc_u32 s19, s19, 0
	s_waitcnt vmcnt(0)
	v_and_b32_e32 v32, 0xffff, v1
	v_lshlrev_b64 v[6:7], s16, v[32:33]
	s_add_u32 s16, s16, 8
	s_addc_u32 s17, s17, 0
	v_or_b32_e32 v22, v6, v22
	s_cmp_lg_u32 s20, s18
	v_or_b32_e32 v23, v7, v23
	s_cbranch_scc1 .LBB3_186
	s_branch .LBB3_189
.LBB3_187:                              ;   in Loop: Header=BB3_144 Depth=1
                                        ; implicit-def: $vgpr22_vgpr23
                                        ; implicit-def: $sgpr21
	s_branch .LBB3_190
.LBB3_188:                              ;   in Loop: Header=BB3_144 Depth=1
	v_pk_mov_b32 v[22:23], 0, 0
.LBB3_189:                              ;   in Loop: Header=BB3_144 Depth=1
	s_mov_b32 s21, 0
	s_cbranch_execnz .LBB3_191
.LBB3_190:                              ;   in Loop: Header=BB3_144 Depth=1
	global_load_dwordx2 v[22:23], v33, s[4:5]
	s_add_i32 s21, s20, -8
	s_add_u32 s4, s4, 8
	s_addc_u32 s5, s5, 0
.LBB3_191:                              ;   in Loop: Header=BB3_144 Depth=1
	s_cmp_gt_u32 s21, 7
	s_cbranch_scc1 .LBB3_195
; %bb.192:                              ;   in Loop: Header=BB3_144 Depth=1
	s_cmp_eq_u32 s21, 0
	s_cbranch_scc1 .LBB3_196
; %bb.193:                              ;   in Loop: Header=BB3_144 Depth=1
	s_mov_b64 s[16:17], 0
	v_pk_mov_b32 v[24:25], 0, 0
	s_mov_b64 s[18:19], s[4:5]
.LBB3_194:                              ;   Parent Loop BB3_144 Depth=1
                                        ; =>  This Inner Loop Header: Depth=2
	global_load_ubyte v1, v33, s[18:19]
	s_add_i32 s21, s21, -1
	s_waitcnt vmcnt(0)
	v_and_b32_e32 v32, 0xffff, v1
	v_lshlrev_b64 v[6:7], s16, v[32:33]
	s_add_u32 s16, s16, 8
	s_addc_u32 s17, s17, 0
	s_add_u32 s18, s18, 1
	s_addc_u32 s19, s19, 0
	v_or_b32_e32 v24, v6, v24
	s_cmp_lg_u32 s21, 0
	v_or_b32_e32 v25, v7, v25
	s_cbranch_scc1 .LBB3_194
	s_branch .LBB3_197
.LBB3_195:                              ;   in Loop: Header=BB3_144 Depth=1
	s_branch .LBB3_198
.LBB3_196:                              ;   in Loop: Header=BB3_144 Depth=1
	v_pk_mov_b32 v[24:25], 0, 0
.LBB3_197:                              ;   in Loop: Header=BB3_144 Depth=1
	s_cbranch_execnz .LBB3_199
.LBB3_198:                              ;   in Loop: Header=BB3_144 Depth=1
	global_load_dwordx2 v[24:25], v33, s[4:5]
.LBB3_199:                              ;   in Loop: Header=BB3_144 Depth=1
	v_readfirstlane_b32 s4, v37
	v_cmp_eq_u32_e64 s[4:5], s4, v37
	s_waitcnt vmcnt(0)
	v_pk_mov_b32 v[6:7], 0, 0
	s_and_saveexec_b64 s[16:17], s[4:5]
	s_cbranch_execz .LBB3_205
; %bb.200:                              ;   in Loop: Header=BB3_144 Depth=1
	global_load_dwordx2 v[28:29], v33, s[6:7] offset:24 glc
	s_waitcnt vmcnt(0)
	buffer_invl2
	buffer_wbinvl1_vol
	global_load_dwordx2 v[6:7], v33, s[6:7] offset:40
	global_load_dwordx2 v[10:11], v33, s[6:7]
	s_waitcnt vmcnt(1)
	v_and_b32_e32 v1, v6, v28
	v_and_b32_e32 v6, v7, v29
	v_mul_lo_u32 v6, v6, 24
	v_mul_hi_u32 v7, v1, 24
	v_mul_lo_u32 v1, v1, 24
	v_add_u32_e32 v7, v7, v6
	s_waitcnt vmcnt(0)
	v_add_co_u32_e32 v6, vcc, v10, v1
	v_addc_co_u32_e32 v7, vcc, v11, v7, vcc
	global_load_dwordx2 v[26:27], v[6:7], off glc
	s_waitcnt vmcnt(0)
	global_atomic_cmpswap_x2 v[6:7], v33, v[26:29], s[6:7] offset:24 glc
	s_waitcnt vmcnt(0)
	buffer_invl2
	buffer_wbinvl1_vol
	v_cmp_ne_u64_e32 vcc, v[6:7], v[28:29]
	s_and_saveexec_b64 s[18:19], vcc
	s_cbranch_execz .LBB3_204
; %bb.201:                              ;   in Loop: Header=BB3_144 Depth=1
	s_mov_b64 s[20:21], 0
.LBB3_202:                              ;   Parent Loop BB3_144 Depth=1
                                        ; =>  This Inner Loop Header: Depth=2
	s_sleep 1
	global_load_dwordx2 v[10:11], v33, s[6:7] offset:40
	global_load_dwordx2 v[26:27], v33, s[6:7]
	v_pk_mov_b32 v[28:29], v[6:7], v[6:7] op_sel:[0,1]
	s_waitcnt vmcnt(1)
	v_and_b32_e32 v6, v10, v28
	s_waitcnt vmcnt(0)
	v_mad_u64_u32 v[6:7], s[22:23], v6, 24, v[26:27]
	v_and_b32_e32 v1, v11, v29
	v_mov_b32_e32 v10, v7
	v_mad_u64_u32 v[10:11], s[22:23], v1, 24, v[10:11]
	v_mov_b32_e32 v7, v10
	global_load_dwordx2 v[26:27], v[6:7], off glc
	s_waitcnt vmcnt(0)
	global_atomic_cmpswap_x2 v[6:7], v33, v[26:29], s[6:7] offset:24 glc
	s_waitcnt vmcnt(0)
	buffer_invl2
	buffer_wbinvl1_vol
	v_cmp_eq_u64_e32 vcc, v[6:7], v[28:29]
	s_or_b64 s[20:21], vcc, s[20:21]
	s_andn2_b64 exec, exec, s[20:21]
	s_cbranch_execnz .LBB3_202
; %bb.203:                              ;   in Loop: Header=BB3_144 Depth=1
	s_or_b64 exec, exec, s[20:21]
.LBB3_204:                              ;   in Loop: Header=BB3_144 Depth=1
	s_or_b64 exec, exec, s[18:19]
.LBB3_205:                              ;   in Loop: Header=BB3_144 Depth=1
	s_or_b64 exec, exec, s[16:17]
	global_load_dwordx2 v[10:11], v33, s[6:7] offset:40
	global_load_dwordx4 v[26:29], v33, s[6:7]
	v_readfirstlane_b32 s16, v6
	v_readfirstlane_b32 s17, v7
	s_mov_b64 s[18:19], exec
	s_waitcnt vmcnt(1)
	v_readfirstlane_b32 s20, v10
	v_readfirstlane_b32 s21, v11
	s_and_b64 s[20:21], s[16:17], s[20:21]
	s_mul_i32 s22, s21, 24
	s_mul_hi_u32 s23, s20, 24
	s_mul_i32 s24, s20, 24
	s_add_i32 s22, s23, s22
	v_mov_b32_e32 v1, s22
	s_waitcnt vmcnt(0)
	v_add_co_u32_e32 v34, vcc, s24, v26
	v_addc_co_u32_e32 v35, vcc, v27, v1, vcc
	s_and_saveexec_b64 s[22:23], s[4:5]
	s_cbranch_execz .LBB3_207
; %bb.206:                              ;   in Loop: Header=BB3_144 Depth=1
	v_pk_mov_b32 v[6:7], s[18:19], s[18:19] op_sel:[0,1]
	global_store_dwordx4 v[34:35], v[6:9], off offset:8
.LBB3_207:                              ;   in Loop: Header=BB3_144 Depth=1
	s_or_b64 exec, exec, s[22:23]
	s_lshl_b64 s[18:19], s[20:21], 12
	v_mov_b32_e32 v1, s19
	v_add_co_u32_e32 v28, vcc, s18, v28
	v_addc_co_u32_e32 v1, vcc, v29, v1, vcc
	v_or_b32_e32 v7, v4, v30
	v_cmp_gt_u64_e64 vcc, s[10:11], 56
	s_lshl_b32 s18, s14, 2
	v_cndmask_b32_e32 v4, v7, v4, vcc
	s_add_i32 s18, s18, 28
	v_or_b32_e32 v6, 0, v5
	s_and_b32 s18, s18, 0x1e0
	v_and_b32_e32 v4, 0xffffff1f, v4
	v_cndmask_b32_e32 v11, v6, v5, vcc
	v_or_b32_e32 v10, s18, v4
	v_readfirstlane_b32 s18, v28
	v_readfirstlane_b32 s19, v1
	s_nop 4
	global_store_dwordx4 v36, v[10:13], s[18:19]
	global_store_dwordx4 v36, v[14:17], s[18:19] offset:16
	global_store_dwordx4 v36, v[18:21], s[18:19] offset:32
	;; [unrolled: 1-line block ×3, first 2 shown]
	s_and_saveexec_b64 s[18:19], s[4:5]
	s_cbranch_execz .LBB3_215
; %bb.208:                              ;   in Loop: Header=BB3_144 Depth=1
	global_load_dwordx2 v[14:15], v33, s[6:7] offset:32 glc
	global_load_dwordx2 v[4:5], v33, s[6:7] offset:40
	v_mov_b32_e32 v12, s16
	v_mov_b32_e32 v13, s17
	s_waitcnt vmcnt(0)
	v_readfirstlane_b32 s20, v4
	v_readfirstlane_b32 s21, v5
	s_and_b64 s[20:21], s[20:21], s[16:17]
	s_mul_i32 s21, s21, 24
	s_mul_hi_u32 s22, s20, 24
	s_mul_i32 s20, s20, 24
	s_add_i32 s21, s22, s21
	v_mov_b32_e32 v4, s21
	v_add_co_u32_e32 v10, vcc, s20, v26
	v_addc_co_u32_e32 v11, vcc, v27, v4, vcc
	global_store_dwordx2 v[10:11], v[14:15], off
	buffer_wbl2
	s_waitcnt vmcnt(0)
	global_atomic_cmpswap_x2 v[6:7], v33, v[12:15], s[6:7] offset:32 glc
	s_waitcnt vmcnt(0)
	v_cmp_ne_u64_e32 vcc, v[6:7], v[14:15]
	s_and_saveexec_b64 s[20:21], vcc
	s_cbranch_execz .LBB3_211
; %bb.209:                              ;   in Loop: Header=BB3_144 Depth=1
	s_mov_b64 s[22:23], 0
.LBB3_210:                              ;   Parent Loop BB3_144 Depth=1
                                        ; =>  This Inner Loop Header: Depth=2
	s_sleep 1
	global_store_dwordx2 v[10:11], v[6:7], off
	v_mov_b32_e32 v4, s16
	v_mov_b32_e32 v5, s17
	buffer_wbl2
	s_waitcnt vmcnt(0)
	global_atomic_cmpswap_x2 v[4:5], v33, v[4:7], s[6:7] offset:32 glc
	s_waitcnt vmcnt(0)
	v_cmp_eq_u64_e32 vcc, v[4:5], v[6:7]
	s_or_b64 s[22:23], vcc, s[22:23]
	v_pk_mov_b32 v[6:7], v[4:5], v[4:5] op_sel:[0,1]
	s_andn2_b64 exec, exec, s[22:23]
	s_cbranch_execnz .LBB3_210
.LBB3_211:                              ;   in Loop: Header=BB3_144 Depth=1
	s_or_b64 exec, exec, s[20:21]
	global_load_dwordx2 v[4:5], v33, s[6:7] offset:16
	s_mov_b64 s[22:23], exec
	v_mbcnt_lo_u32_b32 v6, s22, 0
	v_mbcnt_hi_u32_b32 v6, s23, v6
	v_cmp_eq_u32_e32 vcc, 0, v6
	s_and_saveexec_b64 s[20:21], vcc
	s_cbranch_execz .LBB3_213
; %bb.212:                              ;   in Loop: Header=BB3_144 Depth=1
	s_bcnt1_i32_b64 s22, s[22:23]
	v_mov_b32_e32 v32, s22
	buffer_wbl2
	s_waitcnt vmcnt(0)
	global_atomic_add_x2 v[4:5], v[32:33], off offset:8
.LBB3_213:                              ;   in Loop: Header=BB3_144 Depth=1
	s_or_b64 exec, exec, s[20:21]
	s_waitcnt vmcnt(0)
	global_load_dwordx2 v[6:7], v[4:5], off offset:16
	s_waitcnt vmcnt(0)
	v_cmp_eq_u64_e32 vcc, 0, v[6:7]
	s_cbranch_vccnz .LBB3_215
; %bb.214:                              ;   in Loop: Header=BB3_144 Depth=1
	global_load_dword v32, v[4:5], off offset:24
	s_waitcnt vmcnt(0)
	v_and_b32_e32 v4, 0xffffff, v32
	v_readfirstlane_b32 m0, v4
	buffer_wbl2
	global_store_dwordx2 v[6:7], v[32:33], off
	s_sendmsg sendmsg(MSG_INTERRUPT)
.LBB3_215:                              ;   in Loop: Header=BB3_144 Depth=1
	s_or_b64 exec, exec, s[18:19]
	v_add_co_u32_e32 v4, vcc, v28, v36
	v_addc_co_u32_e32 v5, vcc, 0, v1, vcc
	s_branch .LBB3_219
.LBB3_216:                              ;   in Loop: Header=BB3_219 Depth=2
	s_or_b64 exec, exec, s[18:19]
	v_readfirstlane_b32 s18, v1
	s_cmp_eq_u32 s18, 0
	s_cbranch_scc1 .LBB3_218
; %bb.217:                              ;   in Loop: Header=BB3_219 Depth=2
	s_sleep 1
	s_cbranch_execnz .LBB3_219
	s_branch .LBB3_221
.LBB3_218:                              ;   in Loop: Header=BB3_144 Depth=1
	s_branch .LBB3_221
.LBB3_219:                              ;   Parent Loop BB3_144 Depth=1
                                        ; =>  This Inner Loop Header: Depth=2
	v_mov_b32_e32 v1, 1
	s_and_saveexec_b64 s[18:19], s[4:5]
	s_cbranch_execz .LBB3_216
; %bb.220:                              ;   in Loop: Header=BB3_219 Depth=2
	global_load_dword v1, v[34:35], off offset:20 glc
	s_waitcnt vmcnt(0)
	buffer_invl2
	buffer_wbinvl1_vol
	v_and_b32_e32 v1, 1, v1
	s_branch .LBB3_216
.LBB3_221:                              ;   in Loop: Header=BB3_144 Depth=1
	global_load_dwordx4 v[4:7], v[4:5], off
	s_and_saveexec_b64 s[18:19], s[4:5]
	s_cbranch_execz .LBB3_143
; %bb.222:                              ;   in Loop: Header=BB3_144 Depth=1
	global_load_dwordx2 v[6:7], v33, s[6:7] offset:40
	global_load_dwordx2 v[14:15], v33, s[6:7] offset:24 glc
	global_load_dwordx2 v[16:17], v33, s[6:7]
	v_mov_b32_e32 v1, s17
	s_waitcnt vmcnt(2)
	v_add_co_u32_e32 v13, vcc, 1, v6
	v_addc_co_u32_e32 v18, vcc, 0, v7, vcc
	v_add_co_u32_e32 v10, vcc, s16, v13
	v_addc_co_u32_e32 v11, vcc, v18, v1, vcc
	v_cmp_eq_u64_e32 vcc, 0, v[10:11]
	v_cndmask_b32_e32 v11, v11, v18, vcc
	v_cndmask_b32_e32 v10, v10, v13, vcc
	v_and_b32_e32 v1, v11, v7
	v_and_b32_e32 v6, v10, v6
	v_mul_lo_u32 v1, v1, 24
	v_mul_hi_u32 v7, v6, 24
	v_mul_lo_u32 v6, v6, 24
	v_add_u32_e32 v1, v7, v1
	s_waitcnt vmcnt(0)
	v_add_co_u32_e32 v6, vcc, v16, v6
	v_addc_co_u32_e32 v7, vcc, v17, v1, vcc
	v_mov_b32_e32 v12, v14
	global_store_dwordx2 v[6:7], v[14:15], off
	v_mov_b32_e32 v13, v15
	buffer_wbl2
	s_waitcnt vmcnt(0)
	global_atomic_cmpswap_x2 v[12:13], v33, v[10:13], s[6:7] offset:24 glc
	s_waitcnt vmcnt(0)
	v_cmp_ne_u64_e32 vcc, v[12:13], v[14:15]
	s_and_b64 exec, exec, vcc
	s_cbranch_execz .LBB3_143
; %bb.223:                              ;   in Loop: Header=BB3_144 Depth=1
	s_mov_b64 s[4:5], 0
.LBB3_224:                              ;   Parent Loop BB3_144 Depth=1
                                        ; =>  This Inner Loop Header: Depth=2
	s_sleep 1
	global_store_dwordx2 v[6:7], v[12:13], off
	buffer_wbl2
	s_waitcnt vmcnt(0)
	global_atomic_cmpswap_x2 v[14:15], v33, v[10:13], s[6:7] offset:24 glc
	s_waitcnt vmcnt(0)
	v_cmp_eq_u64_e32 vcc, v[14:15], v[12:13]
	s_or_b64 s[4:5], vcc, s[4:5]
	v_pk_mov_b32 v[12:13], v[14:15], v[14:15] op_sel:[0,1]
	s_andn2_b64 exec, exec, s[4:5]
	s_cbranch_execnz .LBB3_224
	s_branch .LBB3_143
.LBB3_225:
                                        ; implicit-def: $vgpr4_vgpr5
	s_cbranch_execnz .LBB3_227
	s_branch .LBB3_253
.LBB3_226:
	s_branch .LBB3_253
.LBB3_227:
	v_readfirstlane_b32 s4, v37
	v_cmp_eq_u32_e64 s[4:5], s4, v37
	v_pk_mov_b32 v[10:11], 0, 0
	s_and_saveexec_b64 s[10:11], s[4:5]
	s_cbranch_execz .LBB3_233
; %bb.228:
	v_mov_b32_e32 v1, 0
	global_load_dwordx2 v[6:7], v1, s[6:7] offset:24 glc
	s_waitcnt vmcnt(0)
	buffer_invl2
	buffer_wbinvl1_vol
	global_load_dwordx2 v[4:5], v1, s[6:7] offset:40
	global_load_dwordx2 v[8:9], v1, s[6:7]
	s_waitcnt vmcnt(1)
	v_and_b32_e32 v4, v4, v6
	v_and_b32_e32 v5, v5, v7
	v_mul_lo_u32 v5, v5, 24
	v_mul_hi_u32 v10, v4, 24
	v_mul_lo_u32 v4, v4, 24
	v_add_u32_e32 v5, v10, v5
	s_waitcnt vmcnt(0)
	v_add_co_u32_e32 v4, vcc, v8, v4
	v_addc_co_u32_e32 v5, vcc, v9, v5, vcc
	global_load_dwordx2 v[4:5], v[4:5], off glc
	s_waitcnt vmcnt(0)
	global_atomic_cmpswap_x2 v[10:11], v1, v[4:7], s[6:7] offset:24 glc
	s_waitcnt vmcnt(0)
	buffer_invl2
	buffer_wbinvl1_vol
	v_cmp_ne_u64_e32 vcc, v[10:11], v[6:7]
	s_and_saveexec_b64 s[12:13], vcc
	s_cbranch_execz .LBB3_232
; %bb.229:
	s_mov_b64 s[14:15], 0
.LBB3_230:                              ; =>This Inner Loop Header: Depth=1
	s_sleep 1
	global_load_dwordx2 v[4:5], v1, s[6:7] offset:40
	global_load_dwordx2 v[8:9], v1, s[6:7]
	v_pk_mov_b32 v[6:7], v[10:11], v[10:11] op_sel:[0,1]
	s_waitcnt vmcnt(1)
	v_and_b32_e32 v4, v4, v6
	v_and_b32_e32 v10, v5, v7
	s_waitcnt vmcnt(0)
	v_mad_u64_u32 v[4:5], s[16:17], v4, 24, v[8:9]
	v_mov_b32_e32 v8, v5
	v_mad_u64_u32 v[8:9], s[16:17], v10, 24, v[8:9]
	v_mov_b32_e32 v5, v8
	global_load_dwordx2 v[4:5], v[4:5], off glc
	s_waitcnt vmcnt(0)
	global_atomic_cmpswap_x2 v[10:11], v1, v[4:7], s[6:7] offset:24 glc
	s_waitcnt vmcnt(0)
	buffer_invl2
	buffer_wbinvl1_vol
	v_cmp_eq_u64_e32 vcc, v[10:11], v[6:7]
	s_or_b64 s[14:15], vcc, s[14:15]
	s_andn2_b64 exec, exec, s[14:15]
	s_cbranch_execnz .LBB3_230
; %bb.231:
	s_or_b64 exec, exec, s[14:15]
.LBB3_232:
	s_or_b64 exec, exec, s[12:13]
.LBB3_233:
	s_or_b64 exec, exec, s[10:11]
	s_waitcnt vmcnt(0)
	v_mov_b32_e32 v4, 0
	global_load_dwordx2 v[12:13], v4, s[6:7] offset:40
	global_load_dwordx4 v[6:9], v4, s[6:7]
	v_readfirstlane_b32 s10, v10
	v_readfirstlane_b32 s11, v11
	s_mov_b64 s[12:13], exec
	s_waitcnt vmcnt(1)
	v_readfirstlane_b32 s14, v12
	v_readfirstlane_b32 s15, v13
	s_and_b64 s[14:15], s[10:11], s[14:15]
	s_mul_i32 s16, s15, 24
	s_mul_hi_u32 s17, s14, 24
	s_mul_i32 s18, s14, 24
	s_add_i32 s16, s17, s16
	v_mov_b32_e32 v1, s16
	s_waitcnt vmcnt(0)
	v_add_co_u32_e32 v10, vcc, s18, v6
	v_addc_co_u32_e32 v11, vcc, v7, v1, vcc
	s_and_saveexec_b64 s[16:17], s[4:5]
	s_cbranch_execz .LBB3_235
; %bb.234:
	v_pk_mov_b32 v[12:13], s[12:13], s[12:13] op_sel:[0,1]
	v_mov_b32_e32 v14, 2
	v_mov_b32_e32 v15, 1
	global_store_dwordx4 v[10:11], v[12:15], off offset:8
.LBB3_235:
	s_or_b64 exec, exec, s[16:17]
	s_lshl_b64 s[12:13], s[14:15], 12
	v_mov_b32_e32 v1, s13
	v_add_co_u32_e32 v12, vcc, s12, v8
	s_movk_i32 s12, 0xff1f
	v_addc_co_u32_e32 v1, vcc, v9, v1, vcc
	v_and_or_b32 v2, v2, s12, 32
	s_mov_b32 s12, 0
	v_mov_b32_e32 v5, v4
	v_readfirstlane_b32 s16, v12
	v_readfirstlane_b32 s17, v1
	s_mov_b32 s13, s12
	v_add_co_u32_e32 v8, vcc, v12, v36
	s_mov_b32 s14, s12
	s_mov_b32 s15, s12
	s_nop 0
	global_store_dwordx4 v36, v[2:5], s[16:17]
	v_addc_co_u32_e32 v9, vcc, 0, v1, vcc
	v_pk_mov_b32 v[2:3], s[12:13], s[12:13] op_sel:[0,1]
	v_pk_mov_b32 v[4:5], s[14:15], s[14:15] op_sel:[0,1]
	global_store_dwordx4 v36, v[2:5], s[16:17] offset:16
	global_store_dwordx4 v36, v[2:5], s[16:17] offset:32
	;; [unrolled: 1-line block ×3, first 2 shown]
	s_and_saveexec_b64 s[12:13], s[4:5]
	s_cbranch_execz .LBB3_243
; %bb.236:
	v_mov_b32_e32 v1, 0
	global_load_dwordx2 v[14:15], v1, s[6:7] offset:32 glc
	global_load_dwordx2 v[2:3], v1, s[6:7] offset:40
	v_mov_b32_e32 v12, s10
	v_mov_b32_e32 v13, s11
	s_waitcnt vmcnt(0)
	v_readfirstlane_b32 s14, v2
	v_readfirstlane_b32 s15, v3
	s_and_b64 s[14:15], s[14:15], s[10:11]
	s_mul_i32 s15, s15, 24
	s_mul_hi_u32 s16, s14, 24
	s_mul_i32 s14, s14, 24
	s_add_i32 s15, s16, s15
	v_mov_b32_e32 v2, s15
	v_add_co_u32_e32 v6, vcc, s14, v6
	v_addc_co_u32_e32 v7, vcc, v7, v2, vcc
	global_store_dwordx2 v[6:7], v[14:15], off
	buffer_wbl2
	s_waitcnt vmcnt(0)
	global_atomic_cmpswap_x2 v[4:5], v1, v[12:15], s[6:7] offset:32 glc
	s_waitcnt vmcnt(0)
	v_cmp_ne_u64_e32 vcc, v[4:5], v[14:15]
	s_and_saveexec_b64 s[14:15], vcc
	s_cbranch_execz .LBB3_239
; %bb.237:
	s_mov_b64 s[16:17], 0
.LBB3_238:                              ; =>This Inner Loop Header: Depth=1
	s_sleep 1
	global_store_dwordx2 v[6:7], v[4:5], off
	v_mov_b32_e32 v2, s10
	v_mov_b32_e32 v3, s11
	buffer_wbl2
	s_waitcnt vmcnt(0)
	global_atomic_cmpswap_x2 v[2:3], v1, v[2:5], s[6:7] offset:32 glc
	s_waitcnt vmcnt(0)
	v_cmp_eq_u64_e32 vcc, v[2:3], v[4:5]
	s_or_b64 s[16:17], vcc, s[16:17]
	v_pk_mov_b32 v[4:5], v[2:3], v[2:3] op_sel:[0,1]
	s_andn2_b64 exec, exec, s[16:17]
	s_cbranch_execnz .LBB3_238
.LBB3_239:
	s_or_b64 exec, exec, s[14:15]
	v_mov_b32_e32 v5, 0
	global_load_dwordx2 v[2:3], v5, s[6:7] offset:16
	s_mov_b64 s[14:15], exec
	v_mbcnt_lo_u32_b32 v1, s14, 0
	v_mbcnt_hi_u32_b32 v1, s15, v1
	v_cmp_eq_u32_e32 vcc, 0, v1
	s_and_saveexec_b64 s[16:17], vcc
	s_cbranch_execz .LBB3_241
; %bb.240:
	s_bcnt1_i32_b64 s14, s[14:15]
	v_mov_b32_e32 v4, s14
	buffer_wbl2
	s_waitcnt vmcnt(0)
	global_atomic_add_x2 v[2:3], v[4:5], off offset:8
.LBB3_241:
	s_or_b64 exec, exec, s[16:17]
	s_waitcnt vmcnt(0)
	global_load_dwordx2 v[4:5], v[2:3], off offset:16
	s_waitcnt vmcnt(0)
	v_cmp_eq_u64_e32 vcc, 0, v[4:5]
	s_cbranch_vccnz .LBB3_243
; %bb.242:
	global_load_dword v2, v[2:3], off offset:24
	v_mov_b32_e32 v3, 0
	s_waitcnt vmcnt(0)
	v_and_b32_e32 v1, 0xffffff, v2
	v_readfirstlane_b32 m0, v1
	buffer_wbl2
	global_store_dwordx2 v[4:5], v[2:3], off
	s_sendmsg sendmsg(MSG_INTERRUPT)
.LBB3_243:
	s_or_b64 exec, exec, s[12:13]
	s_branch .LBB3_247
.LBB3_244:                              ;   in Loop: Header=BB3_247 Depth=1
	s_or_b64 exec, exec, s[12:13]
	v_readfirstlane_b32 s12, v1
	s_cmp_eq_u32 s12, 0
	s_cbranch_scc1 .LBB3_246
; %bb.245:                              ;   in Loop: Header=BB3_247 Depth=1
	s_sleep 1
	s_cbranch_execnz .LBB3_247
	s_branch .LBB3_249
.LBB3_246:
	s_branch .LBB3_249
.LBB3_247:                              ; =>This Inner Loop Header: Depth=1
	v_mov_b32_e32 v1, 1
	s_and_saveexec_b64 s[12:13], s[4:5]
	s_cbranch_execz .LBB3_244
; %bb.248:                              ;   in Loop: Header=BB3_247 Depth=1
	global_load_dword v1, v[10:11], off offset:20 glc
	s_waitcnt vmcnt(0)
	buffer_invl2
	buffer_wbinvl1_vol
	v_and_b32_e32 v1, 1, v1
	s_branch .LBB3_244
.LBB3_249:
	global_load_dwordx2 v[4:5], v[8:9], off
	s_and_saveexec_b64 s[12:13], s[4:5]
	s_cbranch_execz .LBB3_252
; %bb.250:
	v_mov_b32_e32 v1, 0
	global_load_dwordx2 v[2:3], v1, s[6:7] offset:40
	global_load_dwordx2 v[10:11], v1, s[6:7] offset:24 glc
	global_load_dwordx2 v[12:13], v1, s[6:7]
	v_mov_b32_e32 v7, s11
	s_mov_b64 s[4:5], 0
	s_waitcnt vmcnt(2)
	v_add_co_u32_e32 v9, vcc, 1, v2
	v_addc_co_u32_e32 v14, vcc, 0, v3, vcc
	v_add_co_u32_e32 v6, vcc, s10, v9
	v_addc_co_u32_e32 v7, vcc, v14, v7, vcc
	v_cmp_eq_u64_e32 vcc, 0, v[6:7]
	v_cndmask_b32_e32 v7, v7, v14, vcc
	v_cndmask_b32_e32 v6, v6, v9, vcc
	v_and_b32_e32 v3, v7, v3
	v_and_b32_e32 v2, v6, v2
	v_mul_lo_u32 v3, v3, 24
	v_mul_hi_u32 v9, v2, 24
	v_mul_lo_u32 v2, v2, 24
	v_add_u32_e32 v3, v9, v3
	s_waitcnt vmcnt(0)
	v_add_co_u32_e32 v2, vcc, v12, v2
	v_addc_co_u32_e32 v3, vcc, v13, v3, vcc
	v_mov_b32_e32 v8, v10
	global_store_dwordx2 v[2:3], v[10:11], off
	v_mov_b32_e32 v9, v11
	buffer_wbl2
	s_waitcnt vmcnt(0)
	global_atomic_cmpswap_x2 v[8:9], v1, v[6:9], s[6:7] offset:24 glc
	s_waitcnt vmcnt(0)
	v_cmp_ne_u64_e32 vcc, v[8:9], v[10:11]
	s_and_b64 exec, exec, vcc
	s_cbranch_execz .LBB3_252
.LBB3_251:                              ; =>This Inner Loop Header: Depth=1
	s_sleep 1
	global_store_dwordx2 v[2:3], v[8:9], off
	buffer_wbl2
	s_waitcnt vmcnt(0)
	global_atomic_cmpswap_x2 v[10:11], v1, v[6:9], s[6:7] offset:24 glc
	s_waitcnt vmcnt(0)
	v_cmp_eq_u64_e32 vcc, v[10:11], v[8:9]
	s_or_b64 s[4:5], vcc, s[4:5]
	v_pk_mov_b32 v[8:9], v[10:11], v[10:11] op_sel:[0,1]
	s_andn2_b64 exec, exec, s[4:5]
	s_cbranch_execnz .LBB3_251
.LBB3_252:
	s_or_b64 exec, exec, s[12:13]
.LBB3_253:
	v_readfirstlane_b32 s4, v37
	v_cmp_eq_u32_e64 s[4:5], s4, v37
	s_waitcnt vmcnt(0)
	v_pk_mov_b32 v[2:3], 0, 0
	s_and_saveexec_b64 s[10:11], s[4:5]
	s_cbranch_execz .LBB3_259
; %bb.254:
	v_mov_b32_e32 v1, 0
	global_load_dwordx2 v[8:9], v1, s[6:7] offset:24 glc
	s_waitcnt vmcnt(0)
	buffer_invl2
	buffer_wbinvl1_vol
	global_load_dwordx2 v[2:3], v1, s[6:7] offset:40
	global_load_dwordx2 v[6:7], v1, s[6:7]
	s_waitcnt vmcnt(1)
	v_and_b32_e32 v2, v2, v8
	v_and_b32_e32 v3, v3, v9
	v_mul_lo_u32 v3, v3, 24
	v_mul_hi_u32 v10, v2, 24
	v_mul_lo_u32 v2, v2, 24
	v_add_u32_e32 v3, v10, v3
	s_waitcnt vmcnt(0)
	v_add_co_u32_e32 v2, vcc, v6, v2
	v_addc_co_u32_e32 v3, vcc, v7, v3, vcc
	global_load_dwordx2 v[6:7], v[2:3], off glc
	s_waitcnt vmcnt(0)
	global_atomic_cmpswap_x2 v[2:3], v1, v[6:9], s[6:7] offset:24 glc
	s_waitcnt vmcnt(0)
	buffer_invl2
	buffer_wbinvl1_vol
	v_cmp_ne_u64_e32 vcc, v[2:3], v[8:9]
	s_and_saveexec_b64 s[12:13], vcc
	s_cbranch_execz .LBB3_258
; %bb.255:
	s_mov_b64 s[14:15], 0
.LBB3_256:                              ; =>This Inner Loop Header: Depth=1
	s_sleep 1
	global_load_dwordx2 v[6:7], v1, s[6:7] offset:40
	global_load_dwordx2 v[10:11], v1, s[6:7]
	v_pk_mov_b32 v[8:9], v[2:3], v[2:3] op_sel:[0,1]
	s_waitcnt vmcnt(1)
	v_and_b32_e32 v2, v6, v8
	s_waitcnt vmcnt(0)
	v_mad_u64_u32 v[2:3], s[16:17], v2, 24, v[10:11]
	v_and_b32_e32 v7, v7, v9
	v_mov_b32_e32 v6, v3
	v_mad_u64_u32 v[6:7], s[16:17], v7, 24, v[6:7]
	v_mov_b32_e32 v3, v6
	global_load_dwordx2 v[6:7], v[2:3], off glc
	s_waitcnt vmcnt(0)
	global_atomic_cmpswap_x2 v[2:3], v1, v[6:9], s[6:7] offset:24 glc
	s_waitcnt vmcnt(0)
	buffer_invl2
	buffer_wbinvl1_vol
	v_cmp_eq_u64_e32 vcc, v[2:3], v[8:9]
	s_or_b64 s[14:15], vcc, s[14:15]
	s_andn2_b64 exec, exec, s[14:15]
	s_cbranch_execnz .LBB3_256
; %bb.257:
	s_or_b64 exec, exec, s[14:15]
.LBB3_258:
	s_or_b64 exec, exec, s[12:13]
.LBB3_259:
	s_or_b64 exec, exec, s[10:11]
	v_mov_b32_e32 v7, 0
	global_load_dwordx2 v[12:13], v7, s[6:7] offset:40
	global_load_dwordx4 v[8:11], v7, s[6:7]
	v_readfirstlane_b32 s10, v2
	v_readfirstlane_b32 s11, v3
	s_mov_b64 s[12:13], exec
	s_waitcnt vmcnt(1)
	v_readfirstlane_b32 s14, v12
	v_readfirstlane_b32 s15, v13
	s_and_b64 s[14:15], s[10:11], s[14:15]
	s_mul_i32 s16, s15, 24
	s_mul_hi_u32 s17, s14, 24
	s_mul_i32 s18, s14, 24
	s_add_i32 s16, s17, s16
	v_mov_b32_e32 v1, s16
	s_waitcnt vmcnt(0)
	v_add_co_u32_e32 v12, vcc, s18, v8
	v_addc_co_u32_e32 v13, vcc, v9, v1, vcc
	s_and_saveexec_b64 s[16:17], s[4:5]
	s_cbranch_execz .LBB3_261
; %bb.260:
	v_pk_mov_b32 v[14:15], s[12:13], s[12:13] op_sel:[0,1]
	v_mov_b32_e32 v16, 2
	v_mov_b32_e32 v17, 1
	global_store_dwordx4 v[12:13], v[14:17], off offset:8
.LBB3_261:
	s_or_b64 exec, exec, s[16:17]
	s_lshl_b64 s[12:13], s[14:15], 12
	v_mov_b32_e32 v1, s13
	v_add_co_u32_e32 v2, vcc, s12, v10
	v_addc_co_u32_e32 v1, vcc, v11, v1, vcc
	s_mov_b32 s12, 0
	s_movk_i32 s13, 0xff1f
	v_and_or_b32 v4, v4, s13, 32
	v_add_co_u32_e32 v10, vcc, v2, v36
	s_mov_b32 s13, s12
	v_addc_co_u32_e32 v11, vcc, 0, v1, vcc
	v_mov_b32_e32 v6, v0
	v_readfirstlane_b32 s16, v2
	v_readfirstlane_b32 s17, v1
	s_mov_b32 s14, s12
	s_mov_b32 s15, s12
	v_pk_mov_b32 v[0:1], s[12:13], s[12:13] op_sel:[0,1]
	v_pk_mov_b32 v[2:3], s[14:15], s[14:15] op_sel:[0,1]
	s_nop 0
	global_store_dwordx4 v36, v[4:7], s[16:17]
	global_store_dwordx4 v36, v[0:3], s[16:17] offset:16
	global_store_dwordx4 v36, v[0:3], s[16:17] offset:32
	global_store_dwordx4 v36, v[0:3], s[16:17] offset:48
	s_and_saveexec_b64 s[12:13], s[4:5]
	s_cbranch_execz .LBB3_269
; %bb.262:
	v_mov_b32_e32 v6, 0
	global_load_dwordx2 v[16:17], v6, s[6:7] offset:32 glc
	global_load_dwordx2 v[0:1], v6, s[6:7] offset:40
	v_mov_b32_e32 v14, s10
	v_mov_b32_e32 v15, s11
	s_waitcnt vmcnt(0)
	v_readfirstlane_b32 s14, v0
	v_readfirstlane_b32 s15, v1
	s_and_b64 s[14:15], s[14:15], s[10:11]
	s_mul_i32 s15, s15, 24
	s_mul_hi_u32 s16, s14, 24
	s_mul_i32 s14, s14, 24
	s_add_i32 s15, s16, s15
	v_mov_b32_e32 v0, s15
	v_add_co_u32_e32 v4, vcc, s14, v8
	v_addc_co_u32_e32 v5, vcc, v9, v0, vcc
	global_store_dwordx2 v[4:5], v[16:17], off
	buffer_wbl2
	s_waitcnt vmcnt(0)
	global_atomic_cmpswap_x2 v[2:3], v6, v[14:17], s[6:7] offset:32 glc
	s_waitcnt vmcnt(0)
	v_cmp_ne_u64_e32 vcc, v[2:3], v[16:17]
	s_and_saveexec_b64 s[14:15], vcc
	s_cbranch_execz .LBB3_265
; %bb.263:
	s_mov_b64 s[16:17], 0
.LBB3_264:                              ; =>This Inner Loop Header: Depth=1
	s_sleep 1
	global_store_dwordx2 v[4:5], v[2:3], off
	v_mov_b32_e32 v0, s10
	v_mov_b32_e32 v1, s11
	buffer_wbl2
	s_waitcnt vmcnt(0)
	global_atomic_cmpswap_x2 v[0:1], v6, v[0:3], s[6:7] offset:32 glc
	s_waitcnt vmcnt(0)
	v_cmp_eq_u64_e32 vcc, v[0:1], v[2:3]
	s_or_b64 s[16:17], vcc, s[16:17]
	v_pk_mov_b32 v[2:3], v[0:1], v[0:1] op_sel:[0,1]
	s_andn2_b64 exec, exec, s[16:17]
	s_cbranch_execnz .LBB3_264
.LBB3_265:
	s_or_b64 exec, exec, s[14:15]
	v_mov_b32_e32 v3, 0
	global_load_dwordx2 v[0:1], v3, s[6:7] offset:16
	s_mov_b64 s[14:15], exec
	v_mbcnt_lo_u32_b32 v2, s14, 0
	v_mbcnt_hi_u32_b32 v2, s15, v2
	v_cmp_eq_u32_e32 vcc, 0, v2
	s_and_saveexec_b64 s[16:17], vcc
	s_cbranch_execz .LBB3_267
; %bb.266:
	s_bcnt1_i32_b64 s14, s[14:15]
	v_mov_b32_e32 v2, s14
	buffer_wbl2
	s_waitcnt vmcnt(0)
	global_atomic_add_x2 v[0:1], v[2:3], off offset:8
.LBB3_267:
	s_or_b64 exec, exec, s[16:17]
	s_waitcnt vmcnt(0)
	global_load_dwordx2 v[2:3], v[0:1], off offset:16
	s_waitcnt vmcnt(0)
	v_cmp_eq_u64_e32 vcc, 0, v[2:3]
	s_cbranch_vccnz .LBB3_269
; %bb.268:
	global_load_dword v0, v[0:1], off offset:24
	v_mov_b32_e32 v1, 0
	buffer_wbl2
	s_waitcnt vmcnt(0)
	global_store_dwordx2 v[2:3], v[0:1], off
	v_and_b32_e32 v0, 0xffffff, v0
	v_readfirstlane_b32 m0, v0
	s_sendmsg sendmsg(MSG_INTERRUPT)
.LBB3_269:
	s_or_b64 exec, exec, s[12:13]
	s_branch .LBB3_273
.LBB3_270:                              ;   in Loop: Header=BB3_273 Depth=1
	s_or_b64 exec, exec, s[12:13]
	v_readfirstlane_b32 s12, v0
	s_cmp_eq_u32 s12, 0
	s_cbranch_scc1 .LBB3_272
; %bb.271:                              ;   in Loop: Header=BB3_273 Depth=1
	s_sleep 1
	s_cbranch_execnz .LBB3_273
	s_branch .LBB3_275
.LBB3_272:
	s_branch .LBB3_275
.LBB3_273:                              ; =>This Inner Loop Header: Depth=1
	v_mov_b32_e32 v0, 1
	s_and_saveexec_b64 s[12:13], s[4:5]
	s_cbranch_execz .LBB3_270
; %bb.274:                              ;   in Loop: Header=BB3_273 Depth=1
	global_load_dword v0, v[12:13], off offset:20 glc
	s_waitcnt vmcnt(0)
	buffer_invl2
	buffer_wbinvl1_vol
	v_and_b32_e32 v0, 1, v0
	s_branch .LBB3_270
.LBB3_275:
	global_load_dwordx2 v[0:1], v[10:11], off
	s_and_saveexec_b64 s[12:13], s[4:5]
	s_cbranch_execz .LBB3_278
; %bb.276:
	v_mov_b32_e32 v8, 0
	global_load_dwordx2 v[6:7], v8, s[6:7] offset:40
	global_load_dwordx2 v[10:11], v8, s[6:7] offset:24 glc
	global_load_dwordx2 v[12:13], v8, s[6:7]
	v_mov_b32_e32 v3, s11
	s_mov_b64 s[4:5], 0
	s_waitcnt vmcnt(2)
	v_add_co_u32_e32 v5, vcc, 1, v6
	v_addc_co_u32_e32 v9, vcc, 0, v7, vcc
	v_add_co_u32_e32 v2, vcc, s10, v5
	v_addc_co_u32_e32 v3, vcc, v9, v3, vcc
	v_cmp_eq_u64_e32 vcc, 0, v[2:3]
	v_cndmask_b32_e32 v3, v3, v9, vcc
	v_cndmask_b32_e32 v2, v2, v5, vcc
	v_and_b32_e32 v5, v3, v7
	v_and_b32_e32 v6, v2, v6
	v_mul_lo_u32 v5, v5, 24
	v_mul_hi_u32 v7, v6, 24
	v_mul_lo_u32 v6, v6, 24
	v_add_u32_e32 v5, v7, v5
	s_waitcnt vmcnt(0)
	v_add_co_u32_e32 v6, vcc, v12, v6
	v_addc_co_u32_e32 v7, vcc, v13, v5, vcc
	v_mov_b32_e32 v4, v10
	global_store_dwordx2 v[6:7], v[10:11], off
	v_mov_b32_e32 v5, v11
	buffer_wbl2
	s_waitcnt vmcnt(0)
	global_atomic_cmpswap_x2 v[4:5], v8, v[2:5], s[6:7] offset:24 glc
	s_waitcnt vmcnt(0)
	v_cmp_ne_u64_e32 vcc, v[4:5], v[10:11]
	s_and_b64 exec, exec, vcc
	s_cbranch_execz .LBB3_278
.LBB3_277:                              ; =>This Inner Loop Header: Depth=1
	s_sleep 1
	global_store_dwordx2 v[6:7], v[4:5], off
	buffer_wbl2
	s_waitcnt vmcnt(0)
	global_atomic_cmpswap_x2 v[10:11], v8, v[2:5], s[6:7] offset:24 glc
	s_waitcnt vmcnt(0)
	v_cmp_eq_u64_e32 vcc, v[10:11], v[4:5]
	s_or_b64 s[4:5], vcc, s[4:5]
	v_pk_mov_b32 v[4:5], v[10:11], v[10:11] op_sel:[0,1]
	s_andn2_b64 exec, exec, s[4:5]
	s_cbranch_execnz .LBB3_277
.LBB3_278:
	s_or_b64 exec, exec, s[12:13]
	s_getpc_b64 s[4:5]
	s_add_u32 s4, s4, __FUNCTION__._ZL18flash_attn_ext_f16ILi64ELi64ELi16ELi4ELb1ELb0EEvPKcS1_S1_S1_S1_PKiPfP15HIP_vector_typeIfLj2EEffffjfiS5_IjLj3EEiiiiiiiiiiiliiliiiiil@rel32@lo+4
	s_addc_u32 s5, s5, __FUNCTION__._ZL18flash_attn_ext_f16ILi64ELi64ELi16ELi4ELb1ELb0EEvPKcS1_S1_S1_S1_PKiPfP15HIP_vector_typeIfLj2EEffffjfiS5_IjLj3EEiiiiiiiiiiiliiliiiiil@rel32@hi+12
	s_cmp_lg_u64 s[4:5], 0
	s_cselect_b32 s10, 19, 0
	s_mov_b64 s[8:9], s[26:27]
	v_mov_b32_e32 v2, s4
	v_mov_b32_e32 v3, s5
	;; [unrolled: 1-line block ×4, first 2 shown]
	s_getpc_b64 s[6:7]
	s_add_u32 s6, s6, __ockl_printf_append_string_n@rel32@lo+4
	s_addc_u32 s7, s7, __ockl_printf_append_string_n@rel32@hi+12
	s_swappc_b64 s[30:31], s[6:7]
	s_mov_b64 s[8:9], s[26:27]
	v_mov_b32_e32 v2, 0x514
	v_mov_b32_e32 v3, 0
	;; [unrolled: 1-line block ×3, first 2 shown]
	s_getpc_b64 s[4:5]
	s_add_u32 s4, s4, __ockl_printf_append_args@rel32@lo+4
	s_addc_u32 s5, s5, __ockl_printf_append_args@rel32@hi+12
	s_swappc_b64 s[30:31], s[4:5]
	s_trap 2
.Lfunc_end3:
	.size	_ZL14no_device_codePKciS0_iS0_, .Lfunc_end3-_ZL14no_device_codePKciS0_iS0_
                                        ; -- End function
	.section	.AMDGPU.csdata,"",@progbits
; Function info:
; codeLenInByte = 9972
; NumSgprs: 38
; NumVgprs: 39
; NumAgprs: 0
; TotalNumVgprs: 39
; ScratchSize: 16
; MemoryBound: 0
	.section	.text._ZL18flash_attn_ext_f16ILi64ELi64ELi16ELi4ELb1ELb0EEvPKcS1_S1_S1_S1_PKiPfP15HIP_vector_typeIfLj2EEffffjfiS5_IjLj3EEiiiiiiiiiiiliiliiiiil,"axG",@progbits,_ZL18flash_attn_ext_f16ILi64ELi64ELi16ELi4ELb1ELb0EEvPKcS1_S1_S1_S1_PKiPfP15HIP_vector_typeIfLj2EEffffjfiS5_IjLj3EEiiiiiiiiiiiliiliiiiil,comdat
	.globl	_ZL18flash_attn_ext_f16ILi64ELi64ELi16ELi4ELb1ELb0EEvPKcS1_S1_S1_S1_PKiPfP15HIP_vector_typeIfLj2EEffffjfiS5_IjLj3EEiiiiiiiiiiiliiliiiiil ; -- Begin function _ZL18flash_attn_ext_f16ILi64ELi64ELi16ELi4ELb1ELb0EEvPKcS1_S1_S1_S1_PKiPfP15HIP_vector_typeIfLj2EEffffjfiS5_IjLj3EEiiiiiiiiiiiliiliiiiil
	.p2align	8
	.type	_ZL18flash_attn_ext_f16ILi64ELi64ELi16ELi4ELb1ELb0EEvPKcS1_S1_S1_S1_PKiPfP15HIP_vector_typeIfLj2EEffffjfiS5_IjLj3EEiiiiiiiiiiiliiliiiiil,@function
_ZL18flash_attn_ext_f16ILi64ELi64ELi16ELi4ELb1ELb0EEvPKcS1_S1_S1_S1_PKiPfP15HIP_vector_typeIfLj2EEffffjfiS5_IjLj3EEiiiiiiiiiiiliiliiiiil: ; @_ZL18flash_attn_ext_f16ILi64ELi64ELi16ELi4ELb1ELb0EEvPKcS1_S1_S1_S1_PKiPfP15HIP_vector_typeIfLj2EEffffjfiS5_IjLj3EEiiiiiiiiiiiliiliiiiil
; %bb.0:
	s_add_u32 flat_scratch_lo, s6, s9
	s_addc_u32 flat_scratch_hi, s7, 0
	s_add_u32 s0, s0, s9
	s_addc_u32 s1, s1, 0
	s_add_u32 s8, s4, 0xd0
	s_addc_u32 s9, s5, 0
	v_mov_b32_e32 v0, 0x6cc
	s_mov_b32 s32, 0
	s_getpc_b64 s[4:5]
	s_add_u32 s4, s4, _ZL14no_device_codePKciS0_iS0_@rel32@lo+4
	s_addc_u32 s5, s5, _ZL14no_device_codePKciS0_iS0_@rel32@hi+12
	s_swappc_b64 s[30:31], s[4:5]
	.section	.rodata,"a",@progbits
	.p2align	6, 0x0
	.amdhsa_kernel _ZL18flash_attn_ext_f16ILi64ELi64ELi16ELi4ELb1ELb0EEvPKcS1_S1_S1_S1_PKiPfP15HIP_vector_typeIfLj2EEffffjfiS5_IjLj3EEiiiiiiiiiiiliiliiiiil
		.amdhsa_group_segment_fixed_size 0
		.amdhsa_private_segment_fixed_size 16
		.amdhsa_kernarg_size 464
		.amdhsa_user_sgpr_count 8
		.amdhsa_user_sgpr_private_segment_buffer 1
		.amdhsa_user_sgpr_dispatch_ptr 0
		.amdhsa_user_sgpr_queue_ptr 0
		.amdhsa_user_sgpr_kernarg_segment_ptr 1
		.amdhsa_user_sgpr_dispatch_id 0
		.amdhsa_user_sgpr_flat_scratch_init 1
		.amdhsa_user_sgpr_kernarg_preload_length 0
		.amdhsa_user_sgpr_kernarg_preload_offset 0
		.amdhsa_user_sgpr_private_segment_size 0
		.amdhsa_uses_dynamic_stack 0
		.amdhsa_system_sgpr_private_segment_wavefront_offset 1
		.amdhsa_system_sgpr_workgroup_id_x 1
		.amdhsa_system_sgpr_workgroup_id_y 0
		.amdhsa_system_sgpr_workgroup_id_z 0
		.amdhsa_system_sgpr_workgroup_info 0
		.amdhsa_system_vgpr_workitem_id 0
		.amdhsa_next_free_vgpr 39
		.amdhsa_next_free_sgpr 34
		.amdhsa_accum_offset 40
		.amdhsa_reserve_vcc 1
		.amdhsa_reserve_flat_scratch 1
		.amdhsa_float_round_mode_32 0
		.amdhsa_float_round_mode_16_64 0
		.amdhsa_float_denorm_mode_32 3
		.amdhsa_float_denorm_mode_16_64 3
		.amdhsa_dx10_clamp 1
		.amdhsa_ieee_mode 1
		.amdhsa_fp16_overflow 0
		.amdhsa_tg_split 0
		.amdhsa_exception_fp_ieee_invalid_op 0
		.amdhsa_exception_fp_denorm_src 0
		.amdhsa_exception_fp_ieee_div_zero 0
		.amdhsa_exception_fp_ieee_overflow 0
		.amdhsa_exception_fp_ieee_underflow 0
		.amdhsa_exception_fp_ieee_inexact 0
		.amdhsa_exception_int_div_zero 0
	.end_amdhsa_kernel
	.section	.text._ZL18flash_attn_ext_f16ILi64ELi64ELi16ELi4ELb1ELb0EEvPKcS1_S1_S1_S1_PKiPfP15HIP_vector_typeIfLj2EEffffjfiS5_IjLj3EEiiiiiiiiiiiliiliiiiil,"axG",@progbits,_ZL18flash_attn_ext_f16ILi64ELi64ELi16ELi4ELb1ELb0EEvPKcS1_S1_S1_S1_PKiPfP15HIP_vector_typeIfLj2EEffffjfiS5_IjLj3EEiiiiiiiiiiiliiliiiiil,comdat
.Lfunc_end4:
	.size	_ZL18flash_attn_ext_f16ILi64ELi64ELi16ELi4ELb1ELb0EEvPKcS1_S1_S1_S1_PKiPfP15HIP_vector_typeIfLj2EEffffjfiS5_IjLj3EEiiiiiiiiiiiliiliiiiil, .Lfunc_end4-_ZL18flash_attn_ext_f16ILi64ELi64ELi16ELi4ELb1ELb0EEvPKcS1_S1_S1_S1_PKiPfP15HIP_vector_typeIfLj2EEffffjfiS5_IjLj3EEiiiiiiiiiiiliiliiiiil
                                        ; -- End function
	.section	.AMDGPU.csdata,"",@progbits
; Kernel info:
; codeLenInByte = 64
; NumSgprs: 40
; NumVgprs: 39
; NumAgprs: 0
; TotalNumVgprs: 39
; ScratchSize: 16
; MemoryBound: 0
; FloatMode: 240
; IeeeMode: 1
; LDSByteSize: 0 bytes/workgroup (compile time only)
; SGPRBlocks: 4
; VGPRBlocks: 4
; NumSGPRsForWavesPerEU: 40
; NumVGPRsForWavesPerEU: 39
; AccumOffset: 40
; Occupancy: 8
; WaveLimiterHint : 1
; COMPUTE_PGM_RSRC2:SCRATCH_EN: 1
; COMPUTE_PGM_RSRC2:USER_SGPR: 8
; COMPUTE_PGM_RSRC2:TRAP_HANDLER: 0
; COMPUTE_PGM_RSRC2:TGID_X_EN: 1
; COMPUTE_PGM_RSRC2:TGID_Y_EN: 0
; COMPUTE_PGM_RSRC2:TGID_Z_EN: 0
; COMPUTE_PGM_RSRC2:TIDIG_COMP_CNT: 0
; COMPUTE_PGM_RSRC3_GFX90A:ACCUM_OFFSET: 9
; COMPUTE_PGM_RSRC3_GFX90A:TG_SPLIT: 0
	.section	.text._ZL25flash_attn_mask_to_KV_maxILi16EEvPK7__half2Piiii,"axG",@progbits,_ZL25flash_attn_mask_to_KV_maxILi16EEvPK7__half2Piiii,comdat
	.globl	_ZL25flash_attn_mask_to_KV_maxILi16EEvPK7__half2Piiii ; -- Begin function _ZL25flash_attn_mask_to_KV_maxILi16EEvPK7__half2Piiii
	.p2align	8
	.type	_ZL25flash_attn_mask_to_KV_maxILi16EEvPK7__half2Piiii,@function
_ZL25flash_attn_mask_to_KV_maxILi16EEvPK7__half2Piiii: ; @_ZL25flash_attn_mask_to_KV_maxILi16EEvPK7__half2Piiii
; %bb.0:
	s_load_dwordx4 s[8:11], s[4:5], 0x0
	v_cmp_gt_u32_e32 vcc, 32, v0
	s_and_saveexec_b64 s[0:1], vcc
	s_cbranch_execz .LBB5_2
; %bb.1:
	v_lshlrev_b32_e32 v1, 2, v0
	v_mov_b32_e32 v2, 1
	ds_write_b32 v1, v2
.LBB5_2:
	s_or_b64 exec, exec, s[0:1]
	s_load_dwordx4 s[12:15], s[4:5], 0x10
	s_load_dword s33, s[4:5], 0x20
	v_and_b32_e32 v2, 31, v0
	v_lshlrev_b32_e32 v6, 2, v2
	v_lshrrev_b32_e32 v1, 3, v0
	s_waitcnt lgkmcnt(0)
	s_mul_i32 s1, s6, s13
	s_mul_i32 s0, s7, s14
	s_lshl_b32 s1, s1, 4
	s_add_i32 s0, s0, s1
	s_ashr_i32 s1, s0, 31
	s_lshl_b64 s[0:1], s[0:1], 2
	s_add_u32 s74, s8, s0
	s_addc_u32 s75, s9, s1
	v_cmp_eq_u32_e64 s[0:1], 0, v2
	v_mbcnt_lo_u32_b32 v2, -1, 0
	s_lshl_b32 s12, s12, 8
	s_mov_b64 s[4:5], 0
	v_mov_b32_e32 v3, 0
	s_movk_i32 s76, 0x204
	s_movk_i32 s77, 0x7fff
	s_movk_i32 s78, 0x7c00
	v_mbcnt_hi_u32_b32 v7, -1, v2
	s_barrier
	s_waitcnt lgkmcnt(0)
                                        ; implicit-def: $sgpr2_sgpr3
	s_branch .LBB5_5
.LBB5_3:                                ;   in Loop: Header=BB5_5 Depth=1
	s_or_b64 exec, exec, s[8:9]
	s_waitcnt lgkmcnt(0)
	s_barrier
	ds_read_b32 v10, v6
	s_waitcnt lgkmcnt(0)
	s_barrier
	ds_bpermute_b32 v2, v2, v10
	v_cmp_ne_u32_e32 vcc, 0, v10
	s_waitcnt lgkmcnt(0)
	v_cmp_ne_u32_e64 s[2:3], 0, v2
	s_and_b64 s[2:3], vcc, s[2:3]
	v_cndmask_b32_e64 v2, 0, 1, s[2:3]
	ds_bpermute_b32 v2, v4, v2
	s_waitcnt lgkmcnt(0)
	v_cmp_ne_u32_e32 vcc, 0, v2
	s_and_b64 s[2:3], vcc, s[2:3]
	v_cndmask_b32_e64 v2, 0, 1, s[2:3]
	ds_bpermute_b32 v2, v5, v2
	s_waitcnt lgkmcnt(0)
	v_cmp_ne_u32_e32 vcc, 0, v2
	;; [unrolled: 5-line block ×3, first 2 shown]
	s_and_b64 s[2:3], vcc, s[2:3]
	v_cndmask_b32_e64 v2, 0, 1, s[2:3]
	ds_bpermute_b32 v2, v9, v2
	s_xor_b64 s[2:3], s[2:3], -1
	s_waitcnt lgkmcnt(0)
	v_cmp_eq_u32_e32 vcc, 0, v2
	s_or_b64 s[2:3], vcc, s[2:3]
.LBB5_4:                                ;   in Loop: Header=BB5_5 Depth=1
	s_and_b64 s[8:9], exec, s[2:3]
	s_or_b64 s[4:5], s[8:9], s[4:5]
	v_mov_b32_e32 v2, s12
	s_mov_b32 s12, s79
	s_andn2_b64 exec, exec, s[4:5]
	s_cbranch_execz .LBB5_68
.LBB5_5:                                ; =>This Inner Loop Header: Depth=1
	s_add_i32 s79, s12, 0xffffff00
	s_or_b64 s[2:3], s[2:3], exec
	s_cmp_lt_i32 s79, 0
	s_cbranch_scc1 .LBB5_4
; %bb.6:                                ;   in Loop: Header=BB5_5 Depth=1
	s_lshr_b32 s2, s79, 1
	v_add_u32_e32 v2, s2, v0
	v_lshlrev_b64 v[4:5], 2, v[2:3]
	v_mov_b32_e32 v8, s75
	v_add_co_u32_e32 v4, vcc, s74, v4
	v_addc_co_u32_e32 v5, vcc, v8, v5, vcc
	global_load_dword v4, v[4:5], off
	s_mov_b64 s[8:9], 0
	s_waitcnt vmcnt(0)
	v_cmp_class_f16_e64 s[2:3], v4, s76
	v_and_b32_sdwa v4, s77, v4 dst_sel:DWORD dst_unused:UNUSED_PAD src0_sel:DWORD src1_sel:WORD_1
	v_cmp_eq_f16_e32 vcc, s78, v4
	s_and_b64 s[14:15], s[2:3], vcc
	s_and_saveexec_b64 s[2:3], s[14:15]
	s_cbranch_execz .LBB5_66
; %bb.7:                                ;   in Loop: Header=BB5_5 Depth=1
	v_add_u32_e32 v4, s13, v2
	v_ashrrev_i32_e32 v5, 31, v4
	v_lshlrev_b64 v[8:9], 2, v[4:5]
	v_mov_b32_e32 v2, s75
	v_add_co_u32_e32 v8, vcc, s74, v8
	v_addc_co_u32_e32 v9, vcc, v2, v9, vcc
	global_load_dword v2, v[8:9], off
	s_mov_b64 s[14:15], 0
	s_waitcnt vmcnt(0)
	v_cmp_class_f16_e64 s[16:17], v2, s76
	s_and_saveexec_b64 s[8:9], s[16:17]
	s_cbranch_execz .LBB5_65
; %bb.8:                                ;   in Loop: Header=BB5_5 Depth=1
	v_cmp_class_f16_sdwa s[18:19], v2, s76 src0_sel:WORD_1 src1_sel:DWORD
	s_mov_b64 s[16:17], 0
	s_and_saveexec_b64 s[14:15], s[18:19]
	s_cbranch_execz .LBB5_64
; %bb.9:                                ;   in Loop: Header=BB5_5 Depth=1
	v_add_u32_e32 v4, s13, v4
	v_ashrrev_i32_e32 v5, 31, v4
	v_lshlrev_b64 v[8:9], 2, v[4:5]
	v_mov_b32_e32 v2, s75
	v_add_co_u32_e32 v8, vcc, s74, v8
	v_addc_co_u32_e32 v9, vcc, v2, v9, vcc
	global_load_dword v2, v[8:9], off
	s_mov_b64 s[18:19], 0
	s_waitcnt vmcnt(0)
	v_cmp_class_f16_e64 s[20:21], v2, s76
	s_and_saveexec_b64 s[16:17], s[20:21]
	s_cbranch_execz .LBB5_63
; %bb.10:                               ;   in Loop: Header=BB5_5 Depth=1
	v_cmp_class_f16_sdwa s[22:23], v2, s76 src0_sel:WORD_1 src1_sel:DWORD
	s_mov_b64 s[20:21], 0
	s_and_saveexec_b64 s[18:19], s[22:23]
	s_cbranch_execz .LBB5_62
; %bb.11:                               ;   in Loop: Header=BB5_5 Depth=1
	v_add_u32_e32 v4, s13, v4
	v_ashrrev_i32_e32 v5, 31, v4
	v_lshlrev_b64 v[8:9], 2, v[4:5]
	v_mov_b32_e32 v2, s75
	v_add_co_u32_e32 v8, vcc, s74, v8
	v_addc_co_u32_e32 v9, vcc, v2, v9, vcc
	global_load_dword v2, v[8:9], off
	s_mov_b64 s[22:23], 0
	s_waitcnt vmcnt(0)
	v_cmp_class_f16_e64 s[24:25], v2, s76
	s_and_saveexec_b64 s[20:21], s[24:25]
	s_cbranch_execz .LBB5_61
; %bb.12:                               ;   in Loop: Header=BB5_5 Depth=1
	v_cmp_class_f16_sdwa s[26:27], v2, s76 src0_sel:WORD_1 src1_sel:DWORD
	s_mov_b64 s[24:25], 0
	s_and_saveexec_b64 s[22:23], s[26:27]
	s_cbranch_execz .LBB5_60
; %bb.13:                               ;   in Loop: Header=BB5_5 Depth=1
	;; [unrolled: 18-line block ×13, first 2 shown]
	v_add_u32_e32 v4, s13, v4
	v_ashrrev_i32_e32 v5, 31, v4
	v_lshlrev_b64 v[4:5], 2, v[4:5]
	v_mov_b32_e32 v2, s75
	v_add_co_u32_e32 v4, vcc, s74, v4
	v_addc_co_u32_e32 v5, vcc, v2, v5, vcc
	global_load_dword v2, v[4:5], off
	s_waitcnt vmcnt(0)
	v_cmp_class_f16_e64 s[80:81], v2, s76
	s_and_saveexec_b64 s[72:73], s[80:81]
; %bb.36:                               ;   in Loop: Header=BB5_5 Depth=1
	v_cmp_class_f16_sdwa s[70:71], v2, s76 src0_sel:WORD_1 src1_sel:DWORD
	s_and_b64 s[70:71], s[70:71], exec
; %bb.37:                               ;   in Loop: Header=BB5_5 Depth=1
	s_or_b64 exec, exec, s[72:73]
	s_and_b64 s[70:71], s[70:71], exec
.LBB5_38:                               ;   in Loop: Header=BB5_5 Depth=1
	s_or_b64 exec, exec, s[68:69]
	s_and_b64 s[68:69], s[70:71], exec
.LBB5_39:                               ;   in Loop: Header=BB5_5 Depth=1
	s_or_b64 exec, exec, s[66:67]
	s_and_b64 s[66:67], s[68:69], exec
.LBB5_40:                               ;   in Loop: Header=BB5_5 Depth=1
	s_or_b64 exec, exec, s[64:65]
	s_and_b64 s[64:65], s[66:67], exec
.LBB5_41:                               ;   in Loop: Header=BB5_5 Depth=1
	s_or_b64 exec, exec, s[62:63]
	s_and_b64 s[62:63], s[64:65], exec
.LBB5_42:                               ;   in Loop: Header=BB5_5 Depth=1
	s_or_b64 exec, exec, s[60:61]
	s_and_b64 s[60:61], s[62:63], exec
.LBB5_43:                               ;   in Loop: Header=BB5_5 Depth=1
	s_or_b64 exec, exec, s[58:59]
	s_and_b64 s[58:59], s[60:61], exec
.LBB5_44:                               ;   in Loop: Header=BB5_5 Depth=1
	s_or_b64 exec, exec, s[56:57]
	s_and_b64 s[56:57], s[58:59], exec
.LBB5_45:                               ;   in Loop: Header=BB5_5 Depth=1
	s_or_b64 exec, exec, s[54:55]
	s_and_b64 s[54:55], s[56:57], exec
.LBB5_46:                               ;   in Loop: Header=BB5_5 Depth=1
	s_or_b64 exec, exec, s[52:53]
	s_and_b64 s[52:53], s[54:55], exec
.LBB5_47:                               ;   in Loop: Header=BB5_5 Depth=1
	s_or_b64 exec, exec, s[50:51]
	s_and_b64 s[50:51], s[52:53], exec
.LBB5_48:                               ;   in Loop: Header=BB5_5 Depth=1
	s_or_b64 exec, exec, s[48:49]
	s_and_b64 s[48:49], s[50:51], exec
.LBB5_49:                               ;   in Loop: Header=BB5_5 Depth=1
	s_or_b64 exec, exec, s[46:47]
	s_and_b64 s[46:47], s[48:49], exec
.LBB5_50:                               ;   in Loop: Header=BB5_5 Depth=1
	s_or_b64 exec, exec, s[44:45]
	s_and_b64 s[44:45], s[46:47], exec
.LBB5_51:                               ;   in Loop: Header=BB5_5 Depth=1
	s_or_b64 exec, exec, s[42:43]
	s_and_b64 s[42:43], s[44:45], exec
.LBB5_52:                               ;   in Loop: Header=BB5_5 Depth=1
	s_or_b64 exec, exec, s[40:41]
	s_and_b64 s[40:41], s[42:43], exec
.LBB5_53:                               ;   in Loop: Header=BB5_5 Depth=1
	s_or_b64 exec, exec, s[38:39]
	s_and_b64 s[38:39], s[40:41], exec
.LBB5_54:                               ;   in Loop: Header=BB5_5 Depth=1
	s_or_b64 exec, exec, s[36:37]
	s_and_b64 s[36:37], s[38:39], exec
.LBB5_55:                               ;   in Loop: Header=BB5_5 Depth=1
	s_or_b64 exec, exec, s[34:35]
	s_and_b64 s[34:35], s[36:37], exec
.LBB5_56:                               ;   in Loop: Header=BB5_5 Depth=1
	s_or_b64 exec, exec, s[30:31]
	s_and_b64 s[30:31], s[34:35], exec
.LBB5_57:                               ;   in Loop: Header=BB5_5 Depth=1
	s_or_b64 exec, exec, s[28:29]
	s_and_b64 s[28:29], s[30:31], exec
.LBB5_58:                               ;   in Loop: Header=BB5_5 Depth=1
	s_or_b64 exec, exec, s[26:27]
	s_and_b64 s[26:27], s[28:29], exec
.LBB5_59:                               ;   in Loop: Header=BB5_5 Depth=1
	s_or_b64 exec, exec, s[24:25]
	s_and_b64 s[24:25], s[26:27], exec
.LBB5_60:                               ;   in Loop: Header=BB5_5 Depth=1
	s_or_b64 exec, exec, s[22:23]
	s_and_b64 s[22:23], s[24:25], exec
.LBB5_61:                               ;   in Loop: Header=BB5_5 Depth=1
	s_or_b64 exec, exec, s[20:21]
	s_and_b64 s[20:21], s[22:23], exec
.LBB5_62:                               ;   in Loop: Header=BB5_5 Depth=1
	s_or_b64 exec, exec, s[18:19]
	s_and_b64 s[18:19], s[20:21], exec
.LBB5_63:                               ;   in Loop: Header=BB5_5 Depth=1
	s_or_b64 exec, exec, s[16:17]
	s_and_b64 s[16:17], s[18:19], exec
.LBB5_64:                               ;   in Loop: Header=BB5_5 Depth=1
	s_or_b64 exec, exec, s[14:15]
	s_and_b64 s[14:15], s[16:17], exec
.LBB5_65:                               ;   in Loop: Header=BB5_5 Depth=1
	s_or_b64 exec, exec, s[8:9]
	s_and_b64 s[8:9], s[14:15], exec
.LBB5_66:                               ;   in Loop: Header=BB5_5 Depth=1
	s_or_b64 exec, exec, s[2:3]
	v_and_b32_e32 v2, 0x60, v7
	v_add_u32_e32 v9, 32, v2
	v_xor_b32_e32 v2, 16, v7
	v_cmp_lt_i32_e32 vcc, v2, v9
	v_cndmask_b32_e32 v2, v7, v2, vcc
	v_cndmask_b32_e64 v4, 0, 1, s[8:9]
	v_lshlrev_b32_e32 v2, 2, v2
	ds_bpermute_b32 v4, v2, v4
	v_xor_b32_e32 v11, 1, v7
	s_waitcnt lgkmcnt(0)
	v_cmp_ne_u32_e32 vcc, 0, v4
	v_xor_b32_e32 v4, 8, v7
	s_and_b64 s[2:3], s[8:9], vcc
	v_cmp_lt_i32_e32 vcc, v4, v9
	v_cndmask_b32_e32 v4, v7, v4, vcc
	v_cndmask_b32_e64 v5, 0, 1, s[2:3]
	v_lshlrev_b32_e32 v4, 2, v4
	ds_bpermute_b32 v5, v4, v5
	s_waitcnt lgkmcnt(0)
	v_cmp_ne_u32_e32 vcc, 0, v5
	v_xor_b32_e32 v5, 4, v7
	s_and_b64 s[2:3], vcc, s[2:3]
	v_cmp_lt_i32_e32 vcc, v5, v9
	v_cndmask_b32_e32 v5, v7, v5, vcc
	v_cndmask_b32_e64 v8, 0, 1, s[2:3]
	v_lshlrev_b32_e32 v5, 2, v5
	ds_bpermute_b32 v8, v5, v8
	s_waitcnt lgkmcnt(0)
	v_cmp_ne_u32_e32 vcc, 0, v8
	v_xor_b32_e32 v8, 2, v7
	s_and_b64 s[2:3], vcc, s[2:3]
	v_cmp_lt_i32_e32 vcc, v8, v9
	v_cndmask_b32_e32 v8, v7, v8, vcc
	v_cndmask_b32_e64 v10, 0, 1, s[2:3]
	v_lshlrev_b32_e32 v8, 2, v8
	ds_bpermute_b32 v10, v8, v10
	s_waitcnt lgkmcnt(0)
	v_cmp_ne_u32_e32 vcc, 0, v10
	s_and_b64 s[2:3], vcc, s[2:3]
	v_cmp_lt_i32_e32 vcc, v11, v9
	v_cndmask_b32_e32 v9, v7, v11, vcc
	v_cndmask_b32_e64 v10, 0, 1, s[2:3]
	v_lshlrev_b32_e32 v9, 2, v9
	ds_bpermute_b32 v10, v9, v10
	s_and_saveexec_b64 s[8:9], s[0:1]
	s_cbranch_execz .LBB5_3
; %bb.67:                               ;   in Loop: Header=BB5_5 Depth=1
	s_waitcnt lgkmcnt(0)
	v_cmp_ne_u32_e32 vcc, 0, v10
	s_and_b64 s[2:3], vcc, s[2:3]
	v_cndmask_b32_e64 v10, 0, 1, s[2:3]
	ds_write_b32 v1, v10
	s_branch .LBB5_3
.LBB5_68:
	s_or_b64 exec, exec, s[4:5]
	v_cmp_eq_u32_e32 vcc, 0, v0
	s_and_saveexec_b64 s[0:1], vcc
	s_cbranch_execz .LBB5_70
; %bb.69:
	s_mul_i32 s0, s33, s7
	s_add_i32 s0, s0, s6
	s_ashr_i32 s1, s0, 31
	s_lshl_b64 s[0:1], s[0:1], 2
	s_add_u32 s0, s10, s0
	s_addc_u32 s1, s11, s1
	v_mov_b32_e32 v0, 0
	global_store_dword v0, v2, s[0:1]
.LBB5_70:
	s_endpgm
	.section	.rodata,"a",@progbits
	.p2align	6, 0x0
	.amdhsa_kernel _ZL25flash_attn_mask_to_KV_maxILi16EEvPK7__half2Piiii
		.amdhsa_group_segment_fixed_size 128
		.amdhsa_private_segment_fixed_size 0
		.amdhsa_kernarg_size 288
		.amdhsa_user_sgpr_count 6
		.amdhsa_user_sgpr_private_segment_buffer 1
		.amdhsa_user_sgpr_dispatch_ptr 0
		.amdhsa_user_sgpr_queue_ptr 0
		.amdhsa_user_sgpr_kernarg_segment_ptr 1
		.amdhsa_user_sgpr_dispatch_id 0
		.amdhsa_user_sgpr_flat_scratch_init 0
		.amdhsa_user_sgpr_kernarg_preload_length 0
		.amdhsa_user_sgpr_kernarg_preload_offset 0
		.amdhsa_user_sgpr_private_segment_size 0
		.amdhsa_uses_dynamic_stack 0
		.amdhsa_system_sgpr_private_segment_wavefront_offset 0
		.amdhsa_system_sgpr_workgroup_id_x 1
		.amdhsa_system_sgpr_workgroup_id_y 1
		.amdhsa_system_sgpr_workgroup_id_z 0
		.amdhsa_system_sgpr_workgroup_info 0
		.amdhsa_system_vgpr_workitem_id 0
		.amdhsa_next_free_vgpr 12
		.amdhsa_next_free_sgpr 82
		.amdhsa_accum_offset 12
		.amdhsa_reserve_vcc 1
		.amdhsa_reserve_flat_scratch 0
		.amdhsa_float_round_mode_32 0
		.amdhsa_float_round_mode_16_64 0
		.amdhsa_float_denorm_mode_32 3
		.amdhsa_float_denorm_mode_16_64 3
		.amdhsa_dx10_clamp 1
		.amdhsa_ieee_mode 1
		.amdhsa_fp16_overflow 0
		.amdhsa_tg_split 0
		.amdhsa_exception_fp_ieee_invalid_op 0
		.amdhsa_exception_fp_denorm_src 0
		.amdhsa_exception_fp_ieee_div_zero 0
		.amdhsa_exception_fp_ieee_overflow 0
		.amdhsa_exception_fp_ieee_underflow 0
		.amdhsa_exception_fp_ieee_inexact 0
		.amdhsa_exception_int_div_zero 0
	.end_amdhsa_kernel
	.section	.text._ZL25flash_attn_mask_to_KV_maxILi16EEvPK7__half2Piiii,"axG",@progbits,_ZL25flash_attn_mask_to_KV_maxILi16EEvPK7__half2Piiii,comdat
.Lfunc_end5:
	.size	_ZL25flash_attn_mask_to_KV_maxILi16EEvPK7__half2Piiii, .Lfunc_end5-_ZL25flash_attn_mask_to_KV_maxILi16EEvPK7__half2Piiii
                                        ; -- End function
	.section	.AMDGPU.csdata,"",@progbits
; Kernel info:
; codeLenInByte = 2192
; NumSgprs: 86
; NumVgprs: 12
; NumAgprs: 0
; TotalNumVgprs: 12
; ScratchSize: 0
; MemoryBound: 0
; FloatMode: 240
; IeeeMode: 1
; LDSByteSize: 128 bytes/workgroup (compile time only)
; SGPRBlocks: 10
; VGPRBlocks: 1
; NumSGPRsForWavesPerEU: 86
; NumVGPRsForWavesPerEU: 12
; AccumOffset: 12
; Occupancy: 8
; WaveLimiterHint : 0
; COMPUTE_PGM_RSRC2:SCRATCH_EN: 0
; COMPUTE_PGM_RSRC2:USER_SGPR: 6
; COMPUTE_PGM_RSRC2:TRAP_HANDLER: 0
; COMPUTE_PGM_RSRC2:TGID_X_EN: 1
; COMPUTE_PGM_RSRC2:TGID_Y_EN: 1
; COMPUTE_PGM_RSRC2:TGID_Z_EN: 0
; COMPUTE_PGM_RSRC2:TIDIG_COMP_CNT: 0
; COMPUTE_PGM_RSRC3_GFX90A:ACCUM_OFFSET: 2
; COMPUTE_PGM_RSRC3_GFX90A:TG_SPLIT: 0
	.section	.text._ZL33flash_attn_stream_k_fixup_uniformILi64ELi16ELi4EEvPfPK15HIP_vector_typeIfLj2EEiiiiiiS1_IjLj3EES5_S5_,"axG",@progbits,_ZL33flash_attn_stream_k_fixup_uniformILi64ELi16ELi4EEvPfPK15HIP_vector_typeIfLj2EEiiiiiiS1_IjLj3EES5_S5_,comdat
	.globl	_ZL33flash_attn_stream_k_fixup_uniformILi64ELi16ELi4EEvPfPK15HIP_vector_typeIfLj2EEiiiiiiS1_IjLj3EES5_S5_ ; -- Begin function _ZL33flash_attn_stream_k_fixup_uniformILi64ELi16ELi4EEvPfPK15HIP_vector_typeIfLj2EEiiiiiiS1_IjLj3EES5_S5_
	.p2align	8
	.type	_ZL33flash_attn_stream_k_fixup_uniformILi64ELi16ELi4EEvPfPK15HIP_vector_typeIfLj2EEiiiiiiS1_IjLj3EES5_S5_,@function
_ZL33flash_attn_stream_k_fixup_uniformILi64ELi16ELi4EEvPfPK15HIP_vector_typeIfLj2EEiiiiiiS1_IjLj3EES5_S5_: ; @_ZL33flash_attn_stream_k_fixup_uniformILi64ELi16ELi4EEvPfPK15HIP_vector_typeIfLj2EEiiiiiiS1_IjLj3EES5_S5_
; %bb.0:
	s_load_dwordx8 s[12:19], s[4:5], 0x1c
	s_load_dwordx2 s[10:11], s[4:5], 0x10
	s_load_dwordx4 s[0:3], s[4:5], 0x3c
	s_waitcnt lgkmcnt(0)
	s_mul_hi_u32 s9, s15, s6
	s_add_i32 s9, s6, s9
	s_lshr_b32 s9, s9, s16
	s_mul_i32 s15, s9, s17
	s_sub_i32 s15, s6, s15
	s_mul_hi_u32 s16, s15, s18
	s_add_i32 s16, s15, s16
	s_lshr_b32 s16, s16, s19
	s_mul_i32 s0, s16, s0
	s_sub_i32 s0, s15, s0
	;; [unrolled: 5-line block ×3, first 2 shown]
	s_lshl_b32 s0, s17, 4
	s_lshl_b32 s15, s1, 2
	s_add_i32 s0, s0, s7
	s_cmp_lt_i32 s0, s10
	s_cselect_b64 s[0:1], -1, 0
	s_add_i32 s2, s15, s8
	s_cmp_lt_i32 s2, s13
	s_cselect_b64 s[2:3], -1, 0
	s_and_b64 s[0:1], s[0:1], s[2:3]
	s_andn2_b64 vcc, exec, s[0:1]
	s_cbranch_vccnz .LBB6_6
; %bb.1:
	s_load_dwordx4 s[0:3], s[4:5], 0x0
	s_mul_i32 s4, s9, s10
	s_add_i32 s4, s4, s7
	s_mul_i32 s4, s4, s11
	s_mul_i32 s16, s16, s13
	s_add_i32 s4, s4, s8
	s_add_i32 s4, s4, s16
	s_mul_i32 s5, s11, s17
	s_add_i32 s4, s4, s15
	s_lshl_b32 s5, s5, 10
	s_lshl_b32 s4, s4, 6
	s_add_i32 s5, s5, s4
	v_or_b32_e32 v2, s5, v0
	v_ashrrev_i32_e32 v3, 31, v2
	v_lshlrev_b64 v[2:3], 2, v[2:3]
	s_waitcnt lgkmcnt(0)
	v_mov_b32_e32 v1, s1
	v_add_co_u32_e32 v2, vcc, s0, v2
	v_addc_co_u32_e32 v3, vcc, v1, v3, vcc
	global_load_dword v8, v[2:3], off
	s_mul_i32 s9, s6, s14
	s_lshl_b32 s4, s7, 2
	s_add_i32 s11, s9, s14
	s_add_i32 s0, s4, s8
	s_lshl_b32 s1, s11, 6
	s_add_i32 s0, s0, s1
	s_sub_i32 s0, s0, 64
	s_ashr_i32 s1, s0, 31
	s_lshl_b64 s[0:1], s[0:1], 3
	s_add_u32 s0, s2, s0
	s_addc_u32 s1, s3, s1
	s_load_dword s5, s[0:1], 0x4
	s_add_i32 s10, s11, -2
	s_cmp_lt_i32 s10, s9
	s_cbranch_scc1 .LBB6_4
; %bb.2:
	s_lshl_b32 s16, s12, 8
	s_ashr_i32 s17, s16, 31
	s_lshl_b64 s[16:17], s[16:17], 2
	s_add_u32 s10, s2, s16
	s_addc_u32 s13, s3, s17
	s_add_i32 s6, s6, 1
	s_load_dword s0, s[0:1], 0x0
	s_mul_i32 s1, s14, s6
	s_lshl_b32 s7, s7, 8
	s_lshl_b32 s14, s8, 6
	;; [unrolled: 1-line block ×3, first 2 shown]
	s_add_i32 s7, s14, s7
	s_lshl_b32 s1, s1, 6
	s_add_i32 s7, s7, s6
	s_add_i32 s1, s8, s1
	s_lshl_b32 s6, s12, 6
	s_add_i32 s1, s1, s6
	v_or_b32_e32 v0, s7, v0
	s_add_i32 s1, s1, s4
	s_add_i32 s11, s11, -1
	v_add_u32_e32 v0, 0xffffe000, v0
	s_add_i32 s4, s1, 0xffffff80
	s_waitcnt lgkmcnt(0)
	v_mov_b32_e32 v7, s5
	v_mov_b32_e32 v6, s0
	;; [unrolled: 1-line block ×3, first 2 shown]
	s_mov_b32 s6, 0x3fb8aa3b
	s_mov_b32 s7, 0xc2ce8ed0
	;; [unrolled: 1-line block ×3, first 2 shown]
	v_mov_b32_e32 v5, 0x7f800000
	s_mov_b32 s12, 0xc1a00000
.LBB6_3:                                ; =>This Inner Loop Header: Depth=1
	v_ashrrev_i32_e32 v1, 31, v0
	v_lshlrev_b64 v[10:11], 2, v[0:1]
	v_add_co_u32_e32 v10, vcc, s10, v10
	v_addc_co_u32_e32 v11, vcc, v4, v11, vcc
	global_load_dword v1, v[10:11], off
	s_ashr_i32 s5, s4, 31
	s_lshl_b64 s[0:1], s[4:5], 3
	s_add_u32 s0, s2, s0
	s_addc_u32 s1, s3, s1
	s_load_dwordx2 s[14:15], s[0:1], 0x0
	s_waitcnt vmcnt(1)
	v_mov_b32_e32 v9, v8
	v_max_f32_e32 v8, v6, v6
	v_mov_b32_e32 v10, v7
	s_add_i32 s11, s11, -1
	s_waitcnt lgkmcnt(0)
	v_max_f32_e64 v7, s14, s14
	v_max_f32_e32 v7, v8, v7
	v_sub_f32_e32 v11, s14, v7
	v_sub_f32_e32 v8, v6, v7
	v_mul_f32_e32 v12, 0x3fb8aa3b, v11
	v_mov_b32_e32 v6, v7
	v_mul_f32_e32 v7, 0x3fb8aa3b, v8
	v_fma_f32 v15, v11, s6, -v12
	v_rndne_f32_e32 v16, v12
	v_fma_f32 v13, v8, s6, -v7
	v_rndne_f32_e32 v14, v7
	v_fmac_f32_e32 v15, 0x32a5705f, v11
	v_sub_f32_e32 v12, v12, v16
	v_fmac_f32_e32 v13, 0x32a5705f, v8
	v_sub_f32_e32 v7, v7, v14
	v_add_f32_e32 v12, v12, v15
	v_cvt_i32_f32_e32 v16, v16
	v_add_f32_e32 v7, v7, v13
	v_exp_f32_e32 v12, v12
	v_cvt_i32_f32_e32 v14, v14
	v_exp_f32_e32 v7, v7
	v_cmp_ngt_f32_e32 vcc, s7, v11
	v_ldexp_f32 v12, v12, v16
	v_cmp_ngt_f32_e64 s[0:1], s7, v8
	v_ldexp_f32 v7, v7, v14
	v_cndmask_b32_e32 v12, 0, v12, vcc
	v_cmp_nlt_f32_e32 vcc, s8, v11
	v_cndmask_b32_e64 v7, 0, v7, s[0:1]
	v_cmp_nlt_f32_e64 s[0:1], s8, v8
	v_cndmask_b32_e32 v12, v5, v12, vcc
	v_cmp_le_f32_e32 vcc, s12, v11
	v_cndmask_b32_e64 v7, v5, v7, s[0:1]
	v_cmp_le_f32_e64 s[0:1], s12, v8
	v_cndmask_b32_e32 v8, 0, v12, vcc
	s_sub_i32 s4, s4, 64
	v_cndmask_b32_e64 v11, 0, v7, s[0:1]
	v_mul_f32_e32 v7, s15, v8
	v_add_u32_e32 v0, 0xfffff000, v0
	s_cmp_le_i32 s11, s9
	v_fmac_f32_e32 v7, v10, v11
	s_waitcnt vmcnt(0)
	v_mul_f32_e32 v8, v1, v8
	v_fmac_f32_e32 v8, v9, v11
	s_cbranch_scc0 .LBB6_3
	s_branch .LBB6_5
.LBB6_4:
	s_waitcnt lgkmcnt(0)
	v_mov_b32_e32 v7, s5
.LBB6_5:
	s_waitcnt vmcnt(0)
	v_div_scale_f32 v0, s[0:1], v7, v7, v8
	v_rcp_f32_e32 v1, v0
	v_div_scale_f32 v4, vcc, v8, v7, v8
	v_fma_f32 v5, -v0, v1, 1.0
	v_fmac_f32_e32 v1, v5, v1
	v_mul_f32_e32 v5, v4, v1
	v_fma_f32 v6, -v0, v5, v4
	v_fmac_f32_e32 v5, v6, v1
	v_fma_f32 v0, -v0, v5, v4
	v_div_fmas_f32 v0, v0, v1, v5
	v_div_fixup_f32 v0, v0, v7, v8
	global_store_dword v[2:3], v0, off
.LBB6_6:
	s_endpgm
	.section	.rodata,"a",@progbits
	.p2align	6, 0x0
	.amdhsa_kernel _ZL33flash_attn_stream_k_fixup_uniformILi64ELi16ELi4EEvPfPK15HIP_vector_typeIfLj2EEiiiiiiS1_IjLj3EES5_S5_
		.amdhsa_group_segment_fixed_size 0
		.amdhsa_private_segment_fixed_size 0
		.amdhsa_kernarg_size 76
		.amdhsa_user_sgpr_count 6
		.amdhsa_user_sgpr_private_segment_buffer 1
		.amdhsa_user_sgpr_dispatch_ptr 0
		.amdhsa_user_sgpr_queue_ptr 0
		.amdhsa_user_sgpr_kernarg_segment_ptr 1
		.amdhsa_user_sgpr_dispatch_id 0
		.amdhsa_user_sgpr_flat_scratch_init 0
		.amdhsa_user_sgpr_kernarg_preload_length 0
		.amdhsa_user_sgpr_kernarg_preload_offset 0
		.amdhsa_user_sgpr_private_segment_size 0
		.amdhsa_uses_dynamic_stack 0
		.amdhsa_system_sgpr_private_segment_wavefront_offset 0
		.amdhsa_system_sgpr_workgroup_id_x 1
		.amdhsa_system_sgpr_workgroup_id_y 1
		.amdhsa_system_sgpr_workgroup_id_z 1
		.amdhsa_system_sgpr_workgroup_info 0
		.amdhsa_system_vgpr_workitem_id 0
		.amdhsa_next_free_vgpr 17
		.amdhsa_next_free_sgpr 20
		.amdhsa_accum_offset 20
		.amdhsa_reserve_vcc 1
		.amdhsa_reserve_flat_scratch 0
		.amdhsa_float_round_mode_32 0
		.amdhsa_float_round_mode_16_64 0
		.amdhsa_float_denorm_mode_32 3
		.amdhsa_float_denorm_mode_16_64 3
		.amdhsa_dx10_clamp 1
		.amdhsa_ieee_mode 1
		.amdhsa_fp16_overflow 0
		.amdhsa_tg_split 0
		.amdhsa_exception_fp_ieee_invalid_op 0
		.amdhsa_exception_fp_denorm_src 0
		.amdhsa_exception_fp_ieee_div_zero 0
		.amdhsa_exception_fp_ieee_overflow 0
		.amdhsa_exception_fp_ieee_underflow 0
		.amdhsa_exception_fp_ieee_inexact 0
		.amdhsa_exception_int_div_zero 0
	.end_amdhsa_kernel
	.section	.text._ZL33flash_attn_stream_k_fixup_uniformILi64ELi16ELi4EEvPfPK15HIP_vector_typeIfLj2EEiiiiiiS1_IjLj3EES5_S5_,"axG",@progbits,_ZL33flash_attn_stream_k_fixup_uniformILi64ELi16ELi4EEvPfPK15HIP_vector_typeIfLj2EEiiiiiiS1_IjLj3EES5_S5_,comdat
.Lfunc_end6:
	.size	_ZL33flash_attn_stream_k_fixup_uniformILi64ELi16ELi4EEvPfPK15HIP_vector_typeIfLj2EEiiiiiiS1_IjLj3EES5_S5_, .Lfunc_end6-_ZL33flash_attn_stream_k_fixup_uniformILi64ELi16ELi4EEvPfPK15HIP_vector_typeIfLj2EEiiiiiiS1_IjLj3EES5_S5_
                                        ; -- End function
	.section	.AMDGPU.csdata,"",@progbits
; Kernel info:
; codeLenInByte = 860
; NumSgprs: 24
; NumVgprs: 17
; NumAgprs: 0
; TotalNumVgprs: 17
; ScratchSize: 0
; MemoryBound: 0
; FloatMode: 240
; IeeeMode: 1
; LDSByteSize: 0 bytes/workgroup (compile time only)
; SGPRBlocks: 2
; VGPRBlocks: 2
; NumSGPRsForWavesPerEU: 24
; NumVGPRsForWavesPerEU: 17
; AccumOffset: 20
; Occupancy: 8
; WaveLimiterHint : 0
; COMPUTE_PGM_RSRC2:SCRATCH_EN: 0
; COMPUTE_PGM_RSRC2:USER_SGPR: 6
; COMPUTE_PGM_RSRC2:TRAP_HANDLER: 0
; COMPUTE_PGM_RSRC2:TGID_X_EN: 1
; COMPUTE_PGM_RSRC2:TGID_Y_EN: 1
; COMPUTE_PGM_RSRC2:TGID_Z_EN: 1
; COMPUTE_PGM_RSRC2:TIDIG_COMP_CNT: 0
; COMPUTE_PGM_RSRC3_GFX90A:ACCUM_OFFSET: 4
; COMPUTE_PGM_RSRC3_GFX90A:TG_SPLIT: 0
	.section	.text._ZL33flash_attn_stream_k_fixup_generalILi64ELi16ELi4EEvPfPK15HIP_vector_typeIfLj2EEiiiiS1_IjLj3EES5_S5_S5_,"axG",@progbits,_ZL33flash_attn_stream_k_fixup_generalILi64ELi16ELi4EEvPfPK15HIP_vector_typeIfLj2EEiiiiS1_IjLj3EES5_S5_S5_,comdat
	.globl	_ZL33flash_attn_stream_k_fixup_generalILi64ELi16ELi4EEvPfPK15HIP_vector_typeIfLj2EEiiiiS1_IjLj3EES5_S5_S5_ ; -- Begin function _ZL33flash_attn_stream_k_fixup_generalILi64ELi16ELi4EEvPfPK15HIP_vector_typeIfLj2EEiiiiS1_IjLj3EES5_S5_S5_
	.p2align	8
	.type	_ZL33flash_attn_stream_k_fixup_generalILi64ELi16ELi4EEvPfPK15HIP_vector_typeIfLj2EEiiiiS1_IjLj3EES5_S5_S5_,@function
_ZL33flash_attn_stream_k_fixup_generalILi64ELi16ELi4EEvPfPK15HIP_vector_typeIfLj2EEiiiiS1_IjLj3EES5_S5_S5_: ; @_ZL33flash_attn_stream_k_fixup_generalILi64ELi16ELi4EEvPfPK15HIP_vector_typeIfLj2EEiiiiS1_IjLj3EES5_S5_S5_
; %bb.0:
	s_load_dwordx4 s[12:15], s[4:5], 0x10
	s_load_dword s9, s[4:5], 0x50
	s_mov_b32 s2, 0
	s_waitcnt lgkmcnt(0)
	s_mul_hi_i32 s3, s15, s6
	s_cmp_lg_u64 s[2:3], 0
	s_mul_i32 s2, s15, s6
	s_cbranch_scc0 .LBB7_21
; %bb.1:
	v_cvt_f32_u32_e32 v1, s9
	v_cvt_f32_ubyte0_e32 v2, 0
	s_sub_u32 s10, 0, s9
	s_subb_u32 s11, 0, 0
	v_madmk_f32 v1, v2, 0x4f800000, v1
	v_rcp_f32_e32 v1, v1
	v_mul_f32_e32 v1, 0x5f7ffffc, v1
	v_mul_f32_e32 v2, 0x2f800000, v1
	v_trunc_f32_e32 v2, v2
	v_madmk_f32 v1, v2, 0xcf800000, v1
	v_cvt_u32_f32_e32 v2, v2
	v_cvt_u32_f32_e32 v1, v1
	v_readfirstlane_b32 s16, v2
	v_readfirstlane_b32 s17, v1
	s_mul_i32 s18, s10, s16
	s_mul_hi_u32 s20, s10, s17
	s_mul_i32 s19, s11, s17
	s_add_i32 s18, s20, s18
	s_add_i32 s18, s18, s19
	s_mul_i32 s21, s10, s17
	s_mul_hi_u32 s19, s17, s18
	s_mul_i32 s20, s17, s18
	s_mul_hi_u32 s17, s17, s21
	s_add_u32 s17, s17, s20
	s_addc_u32 s19, 0, s19
	s_mul_hi_u32 s22, s16, s21
	s_mul_i32 s21, s16, s21
	s_add_u32 s17, s17, s21
	s_mul_hi_u32 s20, s16, s18
	s_addc_u32 s17, s19, s22
	s_addc_u32 s19, s20, 0
	s_mul_i32 s18, s16, s18
	s_add_u32 s17, s17, s18
	s_addc_u32 s18, 0, s19
	v_add_co_u32_e32 v1, vcc, s17, v1
	s_cmp_lg_u64 vcc, 0
	s_addc_u32 s16, s16, s18
	v_readfirstlane_b32 s18, v1
	s_mul_i32 s17, s10, s16
	s_mul_hi_u32 s19, s10, s18
	s_add_i32 s17, s19, s17
	s_mul_i32 s11, s11, s18
	s_add_i32 s17, s17, s11
	s_mul_i32 s10, s10, s18
	s_mul_hi_u32 s19, s16, s10
	s_mul_i32 s20, s16, s10
	s_mul_i32 s22, s18, s17
	s_mul_hi_u32 s10, s18, s10
	s_mul_hi_u32 s21, s18, s17
	s_add_u32 s10, s10, s22
	s_addc_u32 s18, 0, s21
	s_add_u32 s10, s10, s20
	s_mul_hi_u32 s11, s16, s17
	s_addc_u32 s10, s18, s19
	s_addc_u32 s11, s11, 0
	s_mul_i32 s17, s16, s17
	s_add_u32 s10, s10, s17
	s_addc_u32 s11, 0, s11
	v_add_co_u32_e32 v1, vcc, s10, v1
	s_cmp_lg_u64 vcc, 0
	s_addc_u32 s18, s16, s11
	s_ashr_i32 s10, s3, 31
	s_add_u32 s16, s2, s10
	s_mov_b32 s11, s10
	s_addc_u32 s17, s3, s10
	s_xor_b64 s[16:17], s[16:17], s[10:11]
	v_readfirstlane_b32 s20, v1
	s_mul_i32 s19, s16, s18
	s_mul_hi_u32 s21, s16, s20
	s_mul_hi_u32 s3, s16, s18
	s_add_u32 s19, s21, s19
	s_addc_u32 s3, 0, s3
	s_mul_hi_u32 s22, s17, s20
	s_mul_i32 s20, s17, s20
	s_add_u32 s19, s19, s20
	s_mul_hi_u32 s21, s17, s18
	s_addc_u32 s3, s3, s22
	s_addc_u32 s19, s21, 0
	s_mul_i32 s18, s17, s18
	s_add_u32 s3, s3, s18
	s_addc_u32 s18, 0, s19
	s_add_u32 s19, s3, 1
	s_addc_u32 s20, s18, 0
	s_add_u32 s21, s3, 2
	s_mul_i32 s23, s9, s18
	s_mul_hi_u32 s24, s9, s3
	s_addc_u32 s22, s18, 0
	s_add_i32 s24, s24, s23
	s_mul_i32 s23, s9, s3
	v_mov_b32_e32 v1, s23
	v_sub_co_u32_e32 v1, vcc, s16, v1
	s_cmp_lg_u64 vcc, 0
	s_subb_u32 s16, s17, s24
	v_subrev_co_u32_e32 v2, vcc, s9, v1
	s_cmp_lg_u64 vcc, 0
	s_subb_u32 s17, s16, 0
	v_readfirstlane_b32 s23, v2
	s_cmp_ge_u32 s23, s9
	s_cselect_b32 s23, -1, 0
	s_cmp_eq_u32 s17, 0
	s_cselect_b32 s17, s23, -1
	s_cmp_lg_u32 s17, 0
	s_cselect_b32 s17, s22, s20
	v_readfirstlane_b32 s20, v1
	s_cselect_b32 s19, s21, s19
	s_cmp_ge_u32 s20, s9
	s_cselect_b32 s20, -1, 0
	s_cmp_eq_u32 s16, 0
	s_cselect_b32 s16, s20, -1
	s_cmp_lg_u32 s16, 0
	s_cselect_b32 s17, s17, s18
	s_cselect_b32 s16, s19, s3
	s_xor_b64 s[16:17], s[16:17], s[10:11]
	s_sub_u32 s20, s16, s10
	s_load_dwordx4 s[16:19], s[4:5], 0x44
	s_cbranch_execnz .LBB7_3
.LBB7_2:
	v_cvt_f32_u32_e32 v1, s9
	s_sub_i32 s0, 0, s9
	v_rcp_iflag_f32_e32 v1, v1
	v_mul_f32_e32 v1, 0x4f7ffffe, v1
	v_cvt_u32_f32_e32 v1, v1
	v_readfirstlane_b32 s1, v1
	s_mul_i32 s0, s0, s1
	s_mul_hi_u32 s0, s1, s0
	s_add_i32 s1, s1, s0
	s_mul_hi_u32 s0, s2, s1
	s_mul_i32 s3, s0, s9
	s_sub_i32 s2, s2, s3
	s_add_i32 s1, s0, 1
	s_sub_i32 s3, s2, s9
	s_cmp_ge_u32 s2, s9
	s_cselect_b32 s0, s1, s0
	s_cselect_b32 s2, s3, s2
	s_add_i32 s1, s0, 1
	s_cmp_ge_u32 s2, s9
	s_cselect_b32 s20, s1, s0
.LBB7_3:
	s_add_i32 s0, s6, 1
	s_mul_hi_i32 s3, s15, s0
	s_mov_b32 s2, 0
	s_cmp_lg_u64 s[2:3], 0
	s_mul_i32 s2, s15, s0
	s_cbranch_scc0 .LBB7_22
; %bb.4:
	v_cvt_f32_u32_e32 v1, s9
	v_cvt_f32_ubyte0_e32 v2, 0
	s_sub_u32 s10, 0, s9
	s_subb_u32 s11, 0, 0
	v_madmk_f32 v1, v2, 0x4f800000, v1
	v_rcp_f32_e32 v1, v1
	v_mul_f32_e32 v1, 0x5f7ffffc, v1
	v_mul_f32_e32 v2, 0x2f800000, v1
	v_trunc_f32_e32 v2, v2
	v_madmk_f32 v1, v2, 0xcf800000, v1
	v_cvt_u32_f32_e32 v2, v2
	v_cvt_u32_f32_e32 v1, v1
	s_waitcnt lgkmcnt(0)
	v_readfirstlane_b32 s19, v2
	v_readfirstlane_b32 s21, v1
	s_mul_i32 s22, s10, s19
	s_mul_hi_u32 s24, s10, s21
	s_mul_i32 s23, s11, s21
	s_add_i32 s22, s24, s22
	s_add_i32 s22, s22, s23
	s_mul_i32 s25, s10, s21
	s_mul_hi_u32 s23, s21, s22
	s_mul_i32 s24, s21, s22
	s_mul_hi_u32 s21, s21, s25
	s_add_u32 s21, s21, s24
	s_addc_u32 s23, 0, s23
	s_mul_hi_u32 s26, s19, s25
	s_mul_i32 s25, s19, s25
	s_add_u32 s21, s21, s25
	s_mul_hi_u32 s24, s19, s22
	s_addc_u32 s21, s23, s26
	s_addc_u32 s23, s24, 0
	s_mul_i32 s22, s19, s22
	s_add_u32 s21, s21, s22
	s_addc_u32 s22, 0, s23
	v_add_co_u32_e32 v1, vcc, s21, v1
	s_cmp_lg_u64 vcc, 0
	s_addc_u32 s19, s19, s22
	v_readfirstlane_b32 s22, v1
	s_mul_i32 s21, s10, s19
	s_mul_hi_u32 s23, s10, s22
	s_add_i32 s21, s23, s21
	s_mul_i32 s11, s11, s22
	s_add_i32 s21, s21, s11
	s_mul_i32 s10, s10, s22
	s_mul_hi_u32 s23, s19, s10
	s_mul_i32 s24, s19, s10
	s_mul_i32 s26, s22, s21
	s_mul_hi_u32 s10, s22, s10
	s_mul_hi_u32 s25, s22, s21
	s_add_u32 s10, s10, s26
	s_addc_u32 s22, 0, s25
	s_add_u32 s10, s10, s24
	s_mul_hi_u32 s11, s19, s21
	s_addc_u32 s10, s22, s23
	s_addc_u32 s11, s11, 0
	s_mul_i32 s21, s19, s21
	s_add_u32 s10, s10, s21
	s_addc_u32 s11, 0, s11
	v_add_co_u32_e32 v1, vcc, s10, v1
	s_cmp_lg_u64 vcc, 0
	s_addc_u32 s19, s19, s11
	s_ashr_i32 s10, s3, 31
	s_add_u32 s22, s2, s10
	s_mov_b32 s11, s10
	s_addc_u32 s23, s3, s10
	s_xor_b64 s[22:23], s[22:23], s[10:11]
	v_readfirstlane_b32 s21, v1
	s_mul_i32 s11, s22, s19
	s_mul_hi_u32 s24, s22, s21
	s_mul_hi_u32 s3, s22, s19
	s_add_u32 s11, s24, s11
	s_addc_u32 s3, 0, s3
	s_mul_hi_u32 s25, s23, s21
	s_mul_i32 s21, s23, s21
	s_add_u32 s11, s11, s21
	s_mul_hi_u32 s24, s23, s19
	s_addc_u32 s3, s3, s25
	s_addc_u32 s11, s24, 0
	s_mul_i32 s19, s23, s19
	s_add_u32 s3, s3, s19
	s_addc_u32 s11, 0, s11
	s_mul_i32 s11, s9, s11
	s_mul_hi_u32 s24, s9, s3
	s_add_i32 s24, s24, s11
	s_mul_i32 s11, s9, s3
	v_mov_b32_e32 v1, s11
	s_add_u32 s19, s3, 1
	s_add_u32 s21, s3, 2
	v_sub_co_u32_e32 v1, vcc, s22, v1
	s_cmp_lg_u64 vcc, 0
	s_subb_u32 s11, s23, s24
	v_subrev_co_u32_e32 v2, vcc, s9, v1
	s_cmp_lg_u64 vcc, 0
	s_subb_u32 s22, s11, 0
	v_cmp_le_u32_e32 vcc, s9, v2
	s_cmp_eq_u32 s22, 0
	v_cndmask_b32_e64 v2, 0, -1, vcc
	s_cselect_b64 vcc, -1, 0
	v_cndmask_b32_e32 v2, -1, v2, vcc
	v_mov_b32_e32 v3, s19
	v_mov_b32_e32 v4, s21
	v_cmp_ne_u32_e32 vcc, 0, v2
	v_cndmask_b32_e32 v2, v3, v4, vcc
	v_cmp_le_u32_e32 vcc, s9, v1
	s_cmp_eq_u32 s11, 0
	v_cndmask_b32_e64 v1, 0, -1, vcc
	s_cselect_b64 vcc, -1, 0
	v_cndmask_b32_e32 v1, -1, v1, vcc
	v_mov_b32_e32 v3, s3
	v_cmp_ne_u32_e32 vcc, 0, v1
	v_cndmask_b32_e32 v1, v3, v2, vcc
	v_xor_b32_e32 v1, s10, v1
	v_subrev_co_u32_e32 v2, vcc, s10, v1
	s_cbranch_execnz .LBB7_6
.LBB7_5:
	v_cvt_f32_u32_e32 v1, s9
	s_sub_i32 s0, 0, s9
	s_mov_b32 s1, 0
	v_rcp_iflag_f32_e32 v1, v1
	v_mul_f32_e32 v1, 0x4f7ffffe, v1
	v_cvt_u32_f32_e32 v1, v1
	v_readfirstlane_b32 s3, v1
	s_mul_i32 s0, s0, s3
	s_mul_hi_u32 s0, s3, s0
	s_add_i32 s3, s3, s0
	s_mul_hi_u32 s0, s2, s3
	s_mul_i32 s10, s0, s9
	s_sub_i32 s2, s2, s10
	s_add_i32 s3, s0, 1
	s_sub_i32 s10, s2, s9
	s_cmp_ge_u32 s2, s9
	s_cselect_b32 s0, s3, s0
	s_cselect_b32 s2, s10, s2
	s_add_i32 s3, s0, 1
	s_cmp_ge_u32 s2, s9
	s_cselect_b32 s0, s3, s0
	v_pk_mov_b32 v[2:3], s[0:1], s[0:1] op_sel:[0,1]
.LBB7_6:
	s_waitcnt lgkmcnt(0)
	s_mul_hi_u32 s0, s20, s16
	s_add_i32 s0, s0, s20
	v_mul_hi_u32 v1, v2, s16
	s_lshr_b32 s19, s0, s17
	v_add_u32_e32 v1, v1, v2
	s_mul_i32 s0, s19, s18
	v_lshrrev_b32_e32 v1, s17, v1
	s_cmp_eq_u32 s0, s20
	v_cmp_eq_u32_e64 s[0:1], s19, v1
	v_mul_lo_u32 v1, v1, s18
	v_cmp_eq_u32_e32 vcc, s20, v2
	s_cselect_b64 s[10:11], -1, 0
	v_cmp_ne_u32_e64 s[2:3], v1, v2
	s_and_b64 s[0:1], s[0:1], s[2:3]
	s_or_b64 s[2:3], vcc, s[10:11]
	s_or_b64 s[0:1], s[2:3], s[0:1]
	s_and_b64 vcc, exec, s[0:1]
	s_cbranch_vccnz .LBB7_24
; %bb.7:
	s_load_dwordx8 s[24:31], s[4:5], 0x20
	s_load_dword s0, s[4:5], 0x40
	s_mov_b32 s10, 0
	s_waitcnt lgkmcnt(0)
	s_mul_hi_u32 s1, s20, s24
	s_add_i32 s1, s1, s20
	s_lshr_b32 s11, s1, s25
	s_mul_i32 s1, s11, s26
	s_sub_i32 s1, s20, s1
	s_mul_hi_u32 s2, s1, s27
	s_add_i32 s2, s1, s2
	s_lshr_b32 s24, s2, s28
	s_mul_i32 s2, s24, s29
	s_sub_i32 s1, s1, s2
	;; [unrolled: 5-line block ×3, first 2 shown]
	s_mul_hi_u32 s1, s0, s16
	s_add_i32 s0, s0, s1
	s_lshr_b32 s26, s0, s17
	s_lshl_b32 s0, s26, 4
	s_lshl_b32 s25, s2, 2
	s_add_i32 s0, s0, s7
	s_cmp_lt_i32 s0, s12
	s_cselect_b64 s[0:1], -1, 0
	s_add_i32 s2, s25, s8
	s_cmp_lt_i32 s2, s14
	s_cselect_b64 s[2:3], -1, 0
	s_and_b64 s[0:1], s[0:1], s[2:3]
	s_andn2_b64 vcc, exec, s[0:1]
	s_cbranch_vccnz .LBB7_24
; %bb.8:
	s_load_dwordx4 s[0:3], s[4:5], 0x0
	s_lshl_b32 s21, s7, 2
	s_lshl_b32 s4, s9, 8
	s_mov_b32 s5, s10
	s_add_i32 s21, s21, s8
	s_lshl_b64 s[4:5], s[4:5], 2
	s_waitcnt lgkmcnt(0)
	s_add_u32 s22, s2, s4
	s_mul_i32 s4, s11, s12
	s_addc_u32 s23, s3, s5
	s_add_i32 s4, s4, s7
	s_mul_i32 s4, s4, s13
	s_mul_i32 s24, s24, s14
	s_add_i32 s4, s4, s8
	s_add_i32 s4, s4, s24
	s_mul_i32 s5, s13, s26
	s_add_i32 s4, s4, s25
	s_lshl_b32 s5, s5, 10
	s_lshl_b32 s4, s4, 6
	s_add_i32 s5, s5, s4
	v_or_b32_e32 v2, s5, v0
	v_ashrrev_i32_e32 v3, 31, v2
	v_lshlrev_b64 v[2:3], 2, v[2:3]
	v_mov_b32_e32 v1, s1
	v_add_co_u32_e32 v2, vcc, s0, v2
	v_addc_co_u32_e32 v3, vcc, v1, v3, vcc
	global_load_dword v5, v[2:3], off
	v_lshl_or_b32 v4, s21, 6, v0
	v_cvt_f32_u32_e32 v0, s9
	v_cvt_f32_ubyte0_e32 v1, 0
	s_lshl_b32 s0, s6, 6
	s_add_i32 s0, s21, s0
	v_mac_f32_e32 v0, 0x4f800000, v1
	v_rcp_f32_e32 v0, v0
	v_cvt_f32_u32_e32 v1, s9
	s_ashr_i32 s1, s0, 31
	s_lshl_b64 s[0:1], s[0:1], 3
	v_mul_f32_e32 v0, 0x5f7ffffc, v0
	v_rcp_iflag_f32_e32 v1, v1
	s_add_u32 s0, s2, s0
	v_mul_f32_e32 v9, 0x2f800000, v0
	s_addc_u32 s1, s3, s1
	v_trunc_f32_e32 v10, v9
	s_load_dwordx2 s[0:1], s[0:1], 0x0
	v_mac_f32_e32 v0, 0xcf800000, v10
	v_cvt_u32_f32_e32 v9, v0
	v_mul_f32_e32 v0, 0x4f7ffffe, v1
	v_cvt_u32_f32_e32 v10, v10
	v_cvt_u32_f32_e32 v11, v0
	s_add_i32 s8, s6, -1
	s_waitcnt lgkmcnt(0)
	v_mov_b32_e32 v6, s1
	v_mov_b32_e32 v7, s0
	;; [unrolled: 1-line block ×3, first 2 shown]
	s_mov_b32 s6, 0x3fb8aa3b
	s_mov_b32 s7, 0xc2ce8ed0
	;; [unrolled: 1-line block ×4, first 2 shown]
	v_mov_b32_e32 v12, 0x7f800000
	s_mul_hi_i32 s11, s8, s15
	s_cmp_lg_u64 s[10:11], 0
	s_mul_i32 s4, s8, s15
	s_cbranch_scc0 .LBB7_15
.LBB7_9:
	s_sub_u32 s0, 0, s9
	v_readfirstlane_b32 s5, v9
	v_readfirstlane_b32 s24, v10
	s_subb_u32 s1, 0, 0
	s_mul_hi_u32 s20, s0, s5
	s_mul_i32 s25, s0, s24
	s_mul_i32 s14, s1, s5
	s_add_i32 s20, s20, s25
	s_add_i32 s20, s20, s14
	s_mul_i32 s26, s0, s5
	s_mul_hi_u32 s14, s5, s20
	s_mul_i32 s25, s5, s20
	s_mul_hi_u32 s5, s5, s26
	s_add_u32 s5, s5, s25
	s_addc_u32 s14, 0, s14
	s_mul_hi_u32 s27, s24, s26
	s_mul_i32 s26, s24, s26
	s_add_u32 s5, s5, s26
	s_mul_hi_u32 s25, s24, s20
	s_addc_u32 s5, s14, s27
	s_addc_u32 s14, s25, 0
	s_mul_i32 s20, s24, s20
	s_add_u32 s5, s5, s20
	s_addc_u32 s14, 0, s14
	v_add_co_u32_e32 v0, vcc, s5, v9
	s_cmp_lg_u64 vcc, 0
	s_addc_u32 s5, s24, s14
	v_readfirstlane_b32 s20, v0
	s_mul_i32 s14, s0, s5
	s_mul_hi_u32 s24, s0, s20
	s_add_i32 s14, s24, s14
	s_mul_i32 s1, s1, s20
	s_add_i32 s14, s14, s1
	s_mul_i32 s0, s0, s20
	s_mul_hi_u32 s24, s5, s0
	s_mul_i32 s25, s5, s0
	s_mul_i32 s27, s20, s14
	s_mul_hi_u32 s0, s20, s0
	s_mul_hi_u32 s26, s20, s14
	s_add_u32 s0, s0, s27
	s_addc_u32 s20, 0, s26
	s_add_u32 s0, s0, s25
	s_mul_hi_u32 s1, s5, s14
	s_addc_u32 s0, s20, s24
	s_addc_u32 s1, s1, 0
	s_mul_i32 s14, s5, s14
	s_add_u32 s0, s0, s14
	s_addc_u32 s1, 0, s1
	v_add_co_u32_e32 v0, vcc, s0, v0
	s_cmp_lg_u64 vcc, 0
	s_addc_u32 s5, s5, s1
	s_ashr_i32 s0, s11, 31
	s_add_u32 s24, s4, s0
	s_mov_b32 s1, s0
	s_addc_u32 s25, s11, s0
	s_xor_b64 s[24:25], s[24:25], s[0:1]
	v_readfirstlane_b32 s14, v0
	s_mul_i32 s11, s24, s5
	s_mul_hi_u32 s20, s24, s14
	s_mul_hi_u32 s1, s24, s5
	s_add_u32 s11, s20, s11
	s_addc_u32 s1, 0, s1
	s_mul_hi_u32 s26, s25, s14
	s_mul_i32 s14, s25, s14
	s_add_u32 s11, s11, s14
	s_mul_hi_u32 s20, s25, s5
	s_addc_u32 s1, s1, s26
	s_addc_u32 s11, s20, 0
	s_mul_i32 s5, s25, s5
	s_add_u32 s1, s1, s5
	s_addc_u32 s5, 0, s11
	s_mul_i32 s5, s9, s5
	s_mul_hi_u32 s20, s9, s1
	s_add_i32 s20, s20, s5
	s_mul_i32 s5, s9, s1
	v_mov_b32_e32 v0, s5
	s_add_u32 s11, s1, 1
	s_add_u32 s14, s1, 2
	v_sub_co_u32_e32 v0, vcc, s24, v0
	s_cmp_lg_u64 vcc, 0
	s_subb_u32 s5, s25, s20
	v_subrev_co_u32_e32 v1, vcc, s9, v0
	s_cmp_lg_u64 vcc, 0
	s_subb_u32 s20, s5, 0
	v_cmp_le_u32_e32 vcc, s9, v1
	s_cmp_eq_u32 s20, 0
	v_cndmask_b32_e64 v1, 0, -1, vcc
	s_cselect_b64 vcc, -1, 0
	v_cndmask_b32_e32 v1, -1, v1, vcc
	v_mov_b32_e32 v13, s11
	v_mov_b32_e32 v14, s14
	v_cmp_ne_u32_e32 vcc, 0, v1
	v_cndmask_b32_e32 v1, v13, v14, vcc
	v_cmp_le_u32_e32 vcc, s9, v0
	s_cmp_eq_u32 s5, 0
	v_cndmask_b32_e64 v0, 0, -1, vcc
	s_cselect_b64 vcc, -1, 0
	v_cndmask_b32_e32 v0, -1, v0, vcc
	v_mov_b32_e32 v13, s1
	v_cmp_ne_u32_e32 vcc, 0, v0
	v_cndmask_b32_e32 v0, v13, v1, vcc
	v_xor_b32_e32 v0, s0, v0
	v_subrev_co_u32_e32 v0, vcc, s0, v0
	s_cbranch_execnz .LBB7_11
.LBB7_10:
	s_sub_i32 s0, 0, s9
	v_mul_lo_u32 v0, s0, v11
	v_mul_hi_u32 v0, v11, v0
	v_add_u32_e32 v0, v11, v0
	v_mul_hi_u32 v0, s4, v0
	v_mul_lo_u32 v13, v0, s9
	v_sub_u32_e32 v13, s4, v13
	v_add_u32_e32 v1, 1, v0
	v_subrev_u32_e32 v14, s9, v13
	v_cmp_le_u32_e32 vcc, s9, v13
	v_cndmask_b32_e32 v13, v13, v14, vcc
	v_cndmask_b32_e32 v0, v0, v1, vcc
	v_add_u32_e32 v1, 1, v0
	v_cmp_le_u32_e32 vcc, s9, v13
	v_cndmask_b32_e32 v0, v0, v1, vcc
.LBB7_11:
	v_cmp_ne_u32_e32 vcc, v8, v0
	s_cbranch_vccz .LBB7_14
; %bb.12:
	s_add_i32 s0, s8, s9
	s_lshl_b32 s0, s0, 6
	v_mul_hi_u32 v1, v0, s16
	s_add_i32 s0, s0, s21
	s_mov_b32 s1, s10
	v_add_u32_e32 v1, v1, v0
	s_lshl_b64 s[0:1], s[0:1], 3
	v_lshrrev_b32_e32 v1, s17, v1
	s_add_u32 s4, s2, s0
	v_mul_lo_u32 v13, v1, s18
	s_addc_u32 s5, s3, s1
	v_cmp_eq_u32_e32 vcc, v13, v0
	v_cmp_gt_u32_e64 s[0:1], s19, v1
	s_or_b64 s[0:1], s[0:1], vcc
	s_and_b64 vcc, exec, s[0:1]
	s_cbranch_vccnz .LBB7_16
; %bb.13:
	s_add_i32 s11, s8, -1
	s_mov_b64 s[0:1], 0
	s_branch .LBB7_17
.LBB7_14:
                                        ; implicit-def: $sgpr0_sgpr1
                                        ; implicit-def: $vgpr14
                                        ; implicit-def: $vgpr1
                                        ; implicit-def: $vgpr13
                                        ; implicit-def: $sgpr11
                                        ; implicit-def: $vgpr0
	s_branch .LBB7_18
.LBB7_15:
                                        ; implicit-def: $vgpr0_vgpr1
	s_branch .LBB7_10
.LBB7_16:
	s_mov_b64 s[0:1], -1
	s_mov_b32 s11, s8
	v_mov_b32_e32 v0, v8
.LBB7_17:
	v_lshl_add_u32 v14, s8, 12, v4
	v_ashrrev_i32_e32 v15, 31, v14
	v_lshlrev_b64 v[14:15], 2, v[14:15]
	v_mov_b32_e32 v1, s23
	v_add_co_u32_e32 v14, vcc, s22, v14
	v_addc_co_u32_e32 v15, vcc, v1, v15, vcc
	global_load_dword v14, v[14:15], off
	s_load_dwordx2 s[4:5], s[4:5], 0x0
	v_max_f32_e32 v1, v7, v7
	s_waitcnt lgkmcnt(0)
	v_max_f32_e64 v13, s4, s4
	v_max_f32_e32 v1, v1, v13
	v_sub_f32_e32 v13, v7, v1
	v_sub_f32_e32 v15, s4, v1
	v_mul_f32_e32 v16, 0x3fb8aa3b, v13
	v_mul_f32_e32 v17, 0x3fb8aa3b, v15
	v_fma_f32 v18, v13, s6, -v16
	v_rndne_f32_e32 v19, v16
	v_fma_f32 v20, v15, s6, -v17
	v_rndne_f32_e32 v21, v17
	v_fmac_f32_e32 v18, 0x32a5705f, v13
	v_sub_f32_e32 v16, v16, v19
	v_fmac_f32_e32 v20, 0x32a5705f, v15
	v_sub_f32_e32 v17, v17, v21
	v_add_f32_e32 v16, v16, v18
	v_cvt_i32_f32_e32 v19, v19
	v_add_f32_e32 v17, v17, v20
	v_exp_f32_e32 v16, v16
	v_cvt_i32_f32_e32 v21, v21
	v_exp_f32_e32 v17, v17
	v_cmp_ngt_f32_e32 vcc, s7, v13
	v_ldexp_f32 v16, v16, v19
	v_cndmask_b32_e32 v16, 0, v16, vcc
	v_ldexp_f32 v17, v17, v21
	v_cmp_ngt_f32_e32 vcc, s7, v15
	v_cndmask_b32_e32 v17, 0, v17, vcc
	v_cmp_nlt_f32_e32 vcc, s12, v13
	v_cndmask_b32_e32 v16, v12, v16, vcc
	v_cmp_nlt_f32_e32 vcc, s12, v15
	v_cndmask_b32_e32 v17, v12, v17, vcc
	v_cmp_le_f32_e32 vcc, s13, v13
	v_cndmask_b32_e32 v16, 0, v16, vcc
	v_cmp_le_f32_e32 vcc, s13, v15
	v_cndmask_b32_e32 v15, 0, v17, vcc
	v_mul_f32_e32 v13, s5, v15
	v_fmac_f32_e32 v13, v6, v16
	s_waitcnt vmcnt(0)
	v_mul_f32_e32 v14, v14, v15
	v_fmac_f32_e32 v14, v5, v16
	s_cbranch_execnz .LBB7_19
.LBB7_18:
	s_add_i32 s11, s8, -1
	s_mov_b64 s[0:1], 0
	v_mov_b32_e32 v0, v8
	v_mov_b32_e32 v13, v6
	;; [unrolled: 1-line block ×3, first 2 shown]
	s_waitcnt vmcnt(0)
	v_mov_b32_e32 v14, v5
.LBB7_19:
	s_andn2_b64 vcc, exec, s[0:1]
	s_cbranch_vccz .LBB7_23
; %bb.20:
	v_mov_b32_e32 v8, v0
	s_mov_b32 s8, s11
	v_mov_b32_e32 v6, v13
	v_mov_b32_e32 v7, v1
	s_waitcnt vmcnt(0)
	v_mov_b32_e32 v5, v14
	s_mul_hi_i32 s11, s8, s15
	s_cmp_lg_u64 s[10:11], 0
	s_mul_i32 s4, s8, s15
	s_cbranch_scc1 .LBB7_9
	s_branch .LBB7_15
.LBB7_21:
                                        ; implicit-def: $sgpr20_sgpr21
	s_load_dwordx4 s[16:19], s[4:5], 0x44
	s_branch .LBB7_2
.LBB7_22:
                                        ; implicit-def: $vgpr2_vgpr3
	s_branch .LBB7_5
.LBB7_23:
	v_div_scale_f32 v0, s[0:1], v13, v13, v14
	v_rcp_f32_e32 v1, v0
	v_div_scale_f32 v4, vcc, v14, v13, v14
	s_waitcnt vmcnt(0)
	v_fma_f32 v5, -v0, v1, 1.0
	v_fmac_f32_e32 v1, v5, v1
	v_mul_f32_e32 v5, v4, v1
	v_fma_f32 v6, -v0, v5, v4
	v_fmac_f32_e32 v5, v6, v1
	v_fma_f32 v0, -v0, v5, v4
	v_div_fmas_f32 v0, v0, v1, v5
	v_div_fixup_f32 v0, v0, v13, v14
	global_store_dword v[2:3], v0, off
.LBB7_24:
	s_endpgm
	.section	.rodata,"a",@progbits
	.p2align	6, 0x0
	.amdhsa_kernel _ZL33flash_attn_stream_k_fixup_generalILi64ELi16ELi4EEvPfPK15HIP_vector_typeIfLj2EEiiiiS1_IjLj3EES5_S5_S5_
		.amdhsa_group_segment_fixed_size 0
		.amdhsa_private_segment_fixed_size 0
		.amdhsa_kernarg_size 336
		.amdhsa_user_sgpr_count 6
		.amdhsa_user_sgpr_private_segment_buffer 1
		.amdhsa_user_sgpr_dispatch_ptr 0
		.amdhsa_user_sgpr_queue_ptr 0
		.amdhsa_user_sgpr_kernarg_segment_ptr 1
		.amdhsa_user_sgpr_dispatch_id 0
		.amdhsa_user_sgpr_flat_scratch_init 0
		.amdhsa_user_sgpr_kernarg_preload_length 0
		.amdhsa_user_sgpr_kernarg_preload_offset 0
		.amdhsa_user_sgpr_private_segment_size 0
		.amdhsa_uses_dynamic_stack 0
		.amdhsa_system_sgpr_private_segment_wavefront_offset 0
		.amdhsa_system_sgpr_workgroup_id_x 1
		.amdhsa_system_sgpr_workgroup_id_y 1
		.amdhsa_system_sgpr_workgroup_id_z 1
		.amdhsa_system_sgpr_workgroup_info 0
		.amdhsa_system_vgpr_workitem_id 0
		.amdhsa_next_free_vgpr 22
		.amdhsa_next_free_sgpr 32
		.amdhsa_accum_offset 24
		.amdhsa_reserve_vcc 1
		.amdhsa_reserve_flat_scratch 0
		.amdhsa_float_round_mode_32 0
		.amdhsa_float_round_mode_16_64 0
		.amdhsa_float_denorm_mode_32 3
		.amdhsa_float_denorm_mode_16_64 3
		.amdhsa_dx10_clamp 1
		.amdhsa_ieee_mode 1
		.amdhsa_fp16_overflow 0
		.amdhsa_tg_split 0
		.amdhsa_exception_fp_ieee_invalid_op 0
		.amdhsa_exception_fp_denorm_src 0
		.amdhsa_exception_fp_ieee_div_zero 0
		.amdhsa_exception_fp_ieee_overflow 0
		.amdhsa_exception_fp_ieee_underflow 0
		.amdhsa_exception_fp_ieee_inexact 0
		.amdhsa_exception_int_div_zero 0
	.end_amdhsa_kernel
	.section	.text._ZL33flash_attn_stream_k_fixup_generalILi64ELi16ELi4EEvPfPK15HIP_vector_typeIfLj2EEiiiiS1_IjLj3EES5_S5_S5_,"axG",@progbits,_ZL33flash_attn_stream_k_fixup_generalILi64ELi16ELi4EEvPfPK15HIP_vector_typeIfLj2EEiiiiS1_IjLj3EES5_S5_S5_,comdat
.Lfunc_end7:
	.size	_ZL33flash_attn_stream_k_fixup_generalILi64ELi16ELi4EEvPfPK15HIP_vector_typeIfLj2EEiiiiS1_IjLj3EES5_S5_S5_, .Lfunc_end7-_ZL33flash_attn_stream_k_fixup_generalILi64ELi16ELi4EEvPfPK15HIP_vector_typeIfLj2EEiiiiS1_IjLj3EES5_S5_S5_
                                        ; -- End function
	.section	.AMDGPU.csdata,"",@progbits
; Kernel info:
; codeLenInByte = 2824
; NumSgprs: 36
; NumVgprs: 22
; NumAgprs: 0
; TotalNumVgprs: 22
; ScratchSize: 0
; MemoryBound: 0
; FloatMode: 240
; IeeeMode: 1
; LDSByteSize: 0 bytes/workgroup (compile time only)
; SGPRBlocks: 4
; VGPRBlocks: 2
; NumSGPRsForWavesPerEU: 36
; NumVGPRsForWavesPerEU: 22
; AccumOffset: 24
; Occupancy: 8
; WaveLimiterHint : 0
; COMPUTE_PGM_RSRC2:SCRATCH_EN: 0
; COMPUTE_PGM_RSRC2:USER_SGPR: 6
; COMPUTE_PGM_RSRC2:TRAP_HANDLER: 0
; COMPUTE_PGM_RSRC2:TGID_X_EN: 1
; COMPUTE_PGM_RSRC2:TGID_Y_EN: 1
; COMPUTE_PGM_RSRC2:TGID_Z_EN: 1
; COMPUTE_PGM_RSRC2:TIDIG_COMP_CNT: 0
; COMPUTE_PGM_RSRC3_GFX90A:ACCUM_OFFSET: 5
; COMPUTE_PGM_RSRC3_GFX90A:TG_SPLIT: 0
	.section	.text._ZL26flash_attn_combine_resultsILi64EEvPKfPK15HIP_vector_typeIfLj2EEPfi,"axG",@progbits,_ZL26flash_attn_combine_resultsILi64EEvPKfPK15HIP_vector_typeIfLj2EEPfi,comdat
	.globl	_ZL26flash_attn_combine_resultsILi64EEvPKfPK15HIP_vector_typeIfLj2EEPfi ; -- Begin function _ZL26flash_attn_combine_resultsILi64EEvPKfPK15HIP_vector_typeIfLj2EEPfi
	.p2align	8
	.type	_ZL26flash_attn_combine_resultsILi64EEvPKfPK15HIP_vector_typeIfLj2EEPfi,@function
_ZL26flash_attn_combine_resultsILi64EEvPKfPK15HIP_vector_typeIfLj2EEPfi: ; @_ZL26flash_attn_combine_resultsILi64EEvPKfPK15HIP_vector_typeIfLj2EEPfi
; %bb.0:
	s_load_dwordx2 s[10:11], s[4:5], 0x20
	s_load_dword s17, s[4:5], 0x18
	s_load_dwordx4 s[0:3], s[4:5], 0x0
	s_load_dwordx2 s[14:15], s[4:5], 0x10
	s_waitcnt lgkmcnt(0)
	s_mul_i32 s4, s10, s8
	s_add_i32 s4, s4, s6
	s_mul_i32 s16, s4, s11
	s_add_i32 s16, s16, s7
	s_lshl_b32 s18, s17, 1
	s_mul_i32 s4, s16, s17
	v_cmp_gt_i32_e32 vcc, s18, v0
	s_and_saveexec_b64 s[6:7], vcc
	s_cbranch_execz .LBB8_13
; %bb.1:
	v_xad_u32 v1, v0, -1, s18
	s_ashr_i32 s5, s4, 31
	v_cmp_lt_u32_e32 vcc, 63, v1
	s_mov_b64 s[10:11], -1
	v_mov_b32_e32 v2, v0
	s_and_saveexec_b64 s[8:9], vcc
	s_cbranch_execz .LBB8_10
; %bb.2:
	v_lshrrev_b32_e32 v6, 6, v1
	s_lshl_b64 s[10:11], s[4:5], 3
	v_add_u32_e32 v2, -1, v6
	s_add_u32 s19, s2, s10
	v_or_b32_e32 v1, 64, v0
	v_lshrrev_b32_e32 v3, 1, v2
	s_addc_u32 s20, s3, s11
	v_add_u32_e32 v7, 1, v3
	v_cmp_lt_u32_e32 vcc, 13, v2
	v_mov_b32_e32 v4, 0
	v_pk_mov_b32 v[2:3], v[0:1], v[0:1] op_sel:[0,1]
	s_and_saveexec_b64 s[10:11], vcc
	s_cbranch_execz .LBB8_6
; %bb.3:
	v_and_b32_e32 v8, -8, v7
	s_mov_b32 s21, 0
	v_lshl_add_u32 v9, v0, 2, 0
	s_mov_b64 s[12:13], 0
	v_mov_b32_e32 v10, s20
	v_mov_b32_e32 v5, 0
	v_pk_mov_b32 v[2:3], v[0:1], v[0:1] op_sel:[0,1]
.LBB8_4:                                ; =>This Inner Loop Header: Depth=1
	v_mov_b32_e32 v4, v2
	v_lshlrev_b64 v[26:27], 2, v[4:5]
	v_add_u32_e32 v12, 0x80, v3
	v_mov_b32_e32 v13, v5
	v_add_co_u32_e32 v26, vcc, s19, v26
	v_lshlrev_b64 v[12:13], 2, v[12:13]
	v_addc_co_u32_e32 v27, vcc, v10, v27, vcc
	v_add_u32_e32 v14, 0x100, v3
	v_mov_b32_e32 v15, v5
	v_add_co_u32_e32 v12, vcc, s19, v12
	v_lshlrev_b64 v[14:15], 2, v[14:15]
	v_addc_co_u32_e32 v13, vcc, v10, v13, vcc
	;; [unrolled: 5-line block ×7, first 2 shown]
	v_mov_b32_e32 v4, v3
	v_add_co_u32_e32 v24, vcc, s19, v24
	v_lshlrev_b64 v[28:29], 2, v[4:5]
	v_addc_co_u32_e32 v25, vcc, v10, v25, vcc
	v_add_u32_e32 v4, 0x80, v2
	v_add_co_u32_e32 v28, vcc, s19, v28
	v_addc_co_u32_e32 v29, vcc, v10, v29, vcc
	global_load_dword v1, v[26:27], off
	v_lshlrev_b64 v[26:27], 2, v[4:5]
	v_add_u32_e32 v4, 0x100, v2
	v_add_co_u32_e32 v26, vcc, s19, v26
	v_addc_co_u32_e32 v27, vcc, v10, v27, vcc
	v_lshlrev_b64 v[30:31], 2, v[4:5]
	v_add_u32_e32 v4, 0x180, v2
	global_load_dword v11, v[28:29], off
	global_load_dword v32, v[26:27], off
	;; [unrolled: 1-line block ×3, first 2 shown]
	v_add_co_u32_e32 v12, vcc, s19, v30
	v_addc_co_u32_e32 v13, vcc, v10, v31, vcc
	v_lshlrev_b64 v[26:27], 2, v[4:5]
	v_add_u32_e32 v4, 0x200, v2
	v_add_co_u32_e32 v26, vcc, s19, v26
	v_addc_co_u32_e32 v27, vcc, v10, v27, vcc
	v_lshlrev_b64 v[28:29], 2, v[4:5]
	v_add_u32_e32 v4, 0x280, v2
	global_load_dword v30, v[12:13], off
	global_load_dword v31, v[14:15], off
	;; [unrolled: 1-line block ×4, first 2 shown]
	v_add_co_u32_e32 v12, vcc, s19, v28
	v_addc_co_u32_e32 v13, vcc, v10, v29, vcc
	v_lshlrev_b64 v[14:15], 2, v[4:5]
	v_add_u32_e32 v4, 0x300, v2
	v_add_co_u32_e32 v14, vcc, s19, v14
	v_addc_co_u32_e32 v15, vcc, v10, v15, vcc
	v_lshlrev_b64 v[16:17], 2, v[4:5]
	v_add_u32_e32 v4, 0x380, v2
	global_load_dword v26, v[12:13], off
	global_load_dword v27, v[18:19], off
	;; [unrolled: 1-line block ×4, first 2 shown]
	v_add_co_u32_e32 v12, vcc, s19, v16
	v_addc_co_u32_e32 v13, vcc, v10, v17, vcc
	v_lshlrev_b64 v[14:15], 2, v[4:5]
	v_add_co_u32_e32 v14, vcc, s19, v14
	v_addc_co_u32_e32 v15, vcc, v10, v15, vcc
	global_load_dword v16, v[12:13], off
	global_load_dword v17, v[22:23], off
	;; [unrolled: 1-line block ×4, first 2 shown]
	v_add_u32_e32 v8, -8, v8
	s_add_i32 s21, s21, 16
	v_cmp_eq_u32_e32 vcc, 0, v8
	v_add_u32_e32 v3, 0x400, v3
	v_mov_b32_e32 v4, s21
	s_or_b64 s[12:13], vcc, s[12:13]
	v_add_u32_e32 v2, 0x400, v2
	s_waitcnt vmcnt(14)
	ds_write2st64_b32 v9, v1, v11 offset1:1
	s_waitcnt vmcnt(12)
	ds_write2st64_b32 v9, v32, v33 offset0:2 offset1:3
	s_waitcnt vmcnt(10)
	ds_write2st64_b32 v9, v30, v31 offset0:4 offset1:5
	;; [unrolled: 2-line block ×7, first 2 shown]
	v_add_u32_e32 v9, 0x1000, v9
	s_andn2_b64 exec, exec, s[12:13]
	s_cbranch_execnz .LBB8_4
; %bb.5:
	s_or_b64 exec, exec, s[12:13]
.LBB8_6:
	s_or_b64 exec, exec, s[10:11]
	v_and_b32_e32 v1, 7, v7
	v_cmp_ne_u32_e32 vcc, 0, v1
	s_and_saveexec_b64 s[10:11], vcc
	s_cbranch_execz .LBB8_9
; %bb.7:
	v_lshlrev_b32_e32 v5, 2, v0
	v_lshl_or_b32 v4, v4, 8, v5
	v_add_u32_e32 v7, 0, v4
	s_mov_b64 s[12:13], 0
	v_mov_b32_e32 v8, s20
	v_mov_b32_e32 v5, 0
.LBB8_8:                                ; =>This Inner Loop Header: Depth=1
	v_mov_b32_e32 v4, v2
	v_lshlrev_b64 v[10:11], 2, v[4:5]
	v_mov_b32_e32 v4, v3
	v_add_co_u32_e32 v10, vcc, s19, v10
	v_addc_co_u32_e32 v11, vcc, v8, v11, vcc
	v_lshlrev_b64 v[12:13], 2, v[4:5]
	v_add_co_u32_e32 v12, vcc, s19, v12
	v_addc_co_u32_e32 v13, vcc, v8, v13, vcc
	global_load_dword v4, v[10:11], off
	global_load_dword v9, v[12:13], off
	v_add_u32_e32 v1, -1, v1
	v_cmp_eq_u32_e32 vcc, 0, v1
	v_add_u32_e32 v2, 0x80, v2
	v_add_u32_e32 v3, 0x80, v3
	s_or_b64 s[12:13], vcc, s[12:13]
	s_waitcnt vmcnt(0)
	ds_write2st64_b32 v7, v4, v9 offset1:1
	v_add_u32_e32 v7, 0x200, v7
	s_andn2_b64 exec, exec, s[12:13]
	s_cbranch_execnz .LBB8_8
.LBB8_9:
	s_or_b64 exec, exec, s[10:11]
	v_add_u32_e32 v1, 1, v6
	v_and_b32_e32 v3, 0x7fffffe, v1
	v_cmp_ne_u32_e32 vcc, v1, v3
	v_lshl_or_b32 v2, v3, 6, v0
	s_orn2_b64 s[10:11], vcc, exec
.LBB8_10:
	s_or_b64 exec, exec, s[8:9]
	s_and_b64 exec, exec, s[10:11]
	s_cbranch_execz .LBB8_13
; %bb.11:
	s_lshl_b64 s[8:9], s[4:5], 3
	v_mov_b32_e32 v3, 0
	s_add_u32 s2, s2, s8
	v_lshlrev_b64 v[4:5], 2, v[2:3]
	s_addc_u32 s3, s3, s9
	v_mov_b32_e32 v1, s3
	v_add_co_u32_e32 v4, vcc, s2, v4
	v_addc_co_u32_e32 v5, vcc, v1, v5, vcc
	v_lshl_add_u32 v1, v2, 2, 0
	s_mov_b64 s[2:3], 0
.LBB8_12:                               ; =>This Inner Loop Header: Depth=1
	global_load_dword v3, v[4:5], off
	v_add_co_u32_e32 v4, vcc, 0x100, v4
	v_add_u32_e32 v2, 64, v2
	v_addc_co_u32_e32 v5, vcc, 0, v5, vcc
	v_cmp_le_i32_e32 vcc, s18, v2
	s_or_b64 s[2:3], vcc, s[2:3]
	s_waitcnt vmcnt(0)
	ds_write_b32 v1, v3
	v_add_u32_e32 v1, 0x100, v1
	s_andn2_b64 exec, exec, s[2:3]
	s_cbranch_execnz .LBB8_12
.LBB8_13:
	s_or_b64 exec, exec, s[6:7]
	v_mov_b32_e32 v1, 0
	s_waitcnt lgkmcnt(0)
	; wave barrier
	s_waitcnt lgkmcnt(0)
	ds_read_b32 v1, v1
	s_cmp_lt_i32 s17, 2
	s_cbranch_scc1 .LBB8_21
; %bb.14:
	s_add_i32 s2, s17, -1
	s_add_i32 s3, s17, -2
	s_cmp_lt_u32 s3, 7
	s_cbranch_scc1 .LBB8_18
; %bb.15:
	s_mov_b32 s6, 0
	s_add_i32 s3, 0, 8
	s_and_b32 s5, s2, -8
.LBB8_16:                               ; =>This Inner Loop Header: Depth=1
	v_mov_b32_e32 v8, s3
	ds_read2_b32 v[2:3], v8 offset1:2
	ds_read2_b32 v[4:5], v8 offset0:4 offset1:6
	ds_read2_b32 v[6:7], v8 offset0:8 offset1:10
	;; [unrolled: 1-line block ×3, first 2 shown]
	s_mov_b32 s7, s6
	s_waitcnt lgkmcnt(3)
	v_max3_f32 v1, v1, v2, v3
	s_waitcnt lgkmcnt(2)
	v_max3_f32 v1, v1, v4, v5
	s_add_i32 s3, s3, 64
	s_add_i32 s6, s6, 8
	s_waitcnt lgkmcnt(1)
	v_max3_f32 v1, v1, v6, v7
	s_cmp_eq_u32 s5, s6
	s_waitcnt lgkmcnt(0)
	v_max3_f32 v1, v1, v8, v9
	s_cbranch_scc0 .LBB8_16
; %bb.17:
	s_add_i32 s3, s7, 9
	s_and_b32 s2, s2, 7
	s_cmp_eq_u32 s2, 0
	s_cbranch_scc0 .LBB8_19
	s_branch .LBB8_21
.LBB8_18:
	s_mov_b32 s3, 1
	s_and_b32 s2, s2, 7
	s_cmp_eq_u32 s2, 0
	s_cbranch_scc1 .LBB8_21
.LBB8_19:
	s_lshl_b32 s3, s3, 3
	s_add_i32 s3, s3, 0
.LBB8_20:                               ; =>This Inner Loop Header: Depth=1
	v_mov_b32_e32 v2, s3
	ds_read_b32 v2, v2
	s_waitcnt lgkmcnt(1)
	v_max_f32_e32 v1, v1, v1
	s_add_i32 s3, s3, 8
	s_add_i32 s2, s2, -1
	s_cmp_lg_u32 s2, 0
	s_waitcnt lgkmcnt(0)
	v_max_f32_e32 v2, v2, v2
	v_max_f32_e32 v1, v1, v2
	s_cbranch_scc1 .LBB8_20
.LBB8_21:
	s_cmp_lt_i32 s17, 1
	s_cbranch_scc1 .LBB8_26
; %bb.22:
	s_lshl_b32 s2, s4, 6
	s_ashr_i32 s3, s2, 31
	s_lshl_b64 s[2:3], s[2:3], 2
	s_add_u32 s18, s0, s2
	s_addc_u32 s19, s1, s3
	s_cmp_lt_u32 s17, 8
	v_mov_b32_e32 v6, 0
	s_cbranch_scc1 .LBB8_27
; %bb.23:
	s_and_b32 s20, s17, 0x7ffffff8
	v_or_b32_e32 v2, 0x1c0, v0
	s_mov_b32 s21, 0
	v_mov_b32_e32 v5, 0
	s_mov_b32 s22, 0x3fb8aa3b
	s_mov_b32 s23, 0xc2ce8ed0
	;; [unrolled: 1-line block ×3, first 2 shown]
	v_mov_b32_e32 v8, 0x7f800000
	v_mov_b32_e32 v9, s19
	s_mov_b32 s25, 0
	v_mov_b32_e32 v7, 0
	v_mov_b32_e32 v6, 0
.LBB8_24:                               ; =>This Inner Loop Header: Depth=1
	v_add_u32_e32 v4, 0xfffffe40, v2
	v_lshlrev_b64 v[26:27], 2, v[4:5]
	v_mov_b32_e32 v3, v5
	v_add_co_u32_e32 v26, vcc, s18, v26
	v_lshlrev_b64 v[28:29], 2, v[2:3]
	v_addc_co_u32_e32 v27, vcc, v9, v27, vcc
	v_add_u32_e32 v4, 0xfffffe80, v2
	v_add_co_u32_e32 v28, vcc, s18, v28
	v_mov_b32_e32 v22, s21
	v_lshlrev_b64 v[30:31], 2, v[4:5]
	v_addc_co_u32_e32 v29, vcc, v9, v29, vcc
	ds_read2_b64 v[10:13], v22 offset1:1
	ds_read2_b64 v[14:17], v22 offset0:2 offset1:3
	ds_read2_b64 v[18:21], v22 offset0:4 offset1:5
	;; [unrolled: 1-line block ×3, first 2 shown]
	v_add_u32_e32 v4, 0xfffffec0, v2
	global_load_dword v3, v[26:27], off
	v_add_co_u32_e32 v26, vcc, s18, v30
	v_addc_co_u32_e32 v27, vcc, v9, v31, vcc
	v_lshlrev_b64 v[30:31], 2, v[4:5]
	v_add_u32_e32 v4, 0xffffff00, v2
	v_add_co_u32_e32 v30, vcc, s18, v30
	v_addc_co_u32_e32 v31, vcc, v9, v31, vcc
	v_lshlrev_b64 v[32:33], 2, v[4:5]
	v_add_u32_e32 v4, 0xffffff40, v2
	global_load_dword v34, v[26:27], off
	global_load_dword v35, v[30:31], off
	v_add_co_u32_e32 v26, vcc, s18, v32
	v_addc_co_u32_e32 v27, vcc, v9, v33, vcc
	v_lshlrev_b64 v[30:31], 2, v[4:5]
	v_add_u32_e32 v4, 0xffffff80, v2
	v_add_co_u32_e32 v30, vcc, s18, v30
	v_addc_co_u32_e32 v31, vcc, v9, v31, vcc
	v_lshlrev_b64 v[32:33], 2, v[4:5]
	global_load_dword v36, v[26:27], off
	v_subrev_u32_e32 v4, 64, v2
	global_load_dword v28, v[28:29], off
	v_add_co_u32_e32 v26, vcc, s18, v32
	v_addc_co_u32_e32 v27, vcc, v9, v33, vcc
	global_load_dword v42, v[30:31], off
	s_waitcnt lgkmcnt(3)
	v_sub_f32_e32 v12, v12, v1
	global_load_dword v26, v[26:27], off
	v_lshlrev_b64 v[30:31], 2, v[4:5]
	v_add_co_u32_e32 v30, vcc, s18, v30
	v_addc_co_u32_e32 v31, vcc, v9, v31, vcc
	global_load_dword v30, v[30:31], off
	s_waitcnt lgkmcnt(2)
	v_sub_f32_e32 v14, v14, v1
	v_sub_f32_e32 v10, v10, v1
	v_mul_f32_e32 v38, 0x3fb8aa3b, v12
	v_mul_f32_e32 v39, 0x3fb8aa3b, v14
	s_waitcnt lgkmcnt(1)
	v_sub_f32_e32 v18, v18, v1
	s_waitcnt lgkmcnt(0)
	v_sub_f32_e32 v22, v22, v1
	v_mul_f32_e32 v37, 0x3fb8aa3b, v10
	v_fma_f32 v45, v12, s22, -v38
	v_rndne_f32_e32 v46, v38
	v_fma_f32 v47, v14, s22, -v39
	v_rndne_f32_e32 v48, v39
	v_sub_f32_e32 v16, v16, v1
	v_sub_f32_e32 v20, v20, v1
	v_mul_f32_e32 v41, 0x3fb8aa3b, v18
	v_mul_f32_e32 v32, 0x3fb8aa3b, v22
	v_fma_f32 v33, v10, s22, -v37
	v_rndne_f32_e32 v44, v37
	v_fmac_f32_e32 v45, 0x32a5705f, v12
	v_sub_f32_e32 v38, v38, v46
	v_fmac_f32_e32 v47, 0x32a5705f, v14
	v_sub_f32_e32 v39, v39, v48
	v_mul_f32_e32 v40, 0x3fb8aa3b, v16
	v_mul_f32_e32 v43, 0x3fb8aa3b, v20
	v_fma_f32 v27, v18, s22, -v41
	v_rndne_f32_e32 v31, v41
	v_fmac_f32_e32 v33, 0x32a5705f, v10
	v_sub_f32_e32 v37, v37, v44
	v_add_f32_e32 v38, v38, v45
	v_fma_f32 v45, v22, s22, -v32
	v_add_f32_e32 v39, v39, v47
	v_rndne_f32_e32 v47, v32
	v_fma_f32 v49, v16, s22, -v40
	v_rndne_f32_e32 v50, v40
	v_fma_f32 v29, v20, s22, -v43
	v_add_f32_e32 v33, v37, v33
	v_rndne_f32_e32 v37, v43
	v_fmac_f32_e32 v27, 0x32a5705f, v18
	v_sub_f32_e32 v41, v41, v31
	v_fmac_f32_e32 v45, 0x32a5705f, v22
	v_sub_f32_e32 v32, v32, v47
	v_fmac_f32_e32 v49, 0x32a5705f, v16
	v_sub_f32_e32 v40, v40, v50
	v_add_f32_e32 v27, v41, v27
	v_cvt_i32_f32_e32 v44, v44
	v_fmac_f32_e32 v29, 0x32a5705f, v20
	v_sub_f32_e32 v43, v43, v37
	v_add_f32_e32 v32, v32, v45
	v_exp_f32_e32 v33, v33
	v_add_f32_e32 v40, v40, v49
	v_cvt_i32_f32_e32 v46, v46
	v_cvt_i32_f32_e32 v31, v31
	;; [unrolled: 1-line block ×3, first 2 shown]
	v_add_f32_e32 v29, v43, v29
	v_exp_f32_e32 v38, v38
	v_exp_f32_e32 v27, v27
	;; [unrolled: 1-line block ×3, first 2 shown]
	v_sub_f32_e32 v24, v24, v1
	v_cvt_i32_f32_e32 v48, v48
	v_cvt_i32_f32_e32 v50, v50
	;; [unrolled: 1-line block ×3, first 2 shown]
	v_exp_f32_e32 v39, v39
	v_exp_f32_e32 v40, v40
	;; [unrolled: 1-line block ×3, first 2 shown]
	v_mul_f32_e32 v4, 0x3fb8aa3b, v24
	v_fma_f32 v49, v24, s22, -v4
	v_rndne_f32_e32 v41, v4
	v_ldexp_f32 v33, v33, v44
	v_cmp_ngt_f32_e64 s[12:13], s23, v10
	v_fmac_f32_e32 v49, 0x32a5705f, v24
	v_sub_f32_e32 v4, v4, v41
	v_ldexp_f32 v38, v38, v46
	v_cmp_ngt_f32_e32 vcc, s23, v12
	v_ldexp_f32 v27, v27, v31
	v_ldexp_f32 v31, v32, v47
	v_cndmask_b32_e64 v32, 0, v33, s[12:13]
	v_cmp_nlt_f32_e64 s[12:13], s24, v10
	v_add_f32_e32 v4, v4, v49
	v_ldexp_f32 v39, v39, v48
	v_cmp_ngt_f32_e64 s[0:1], s23, v14
	v_ldexp_f32 v40, v40, v50
	v_cmp_ngt_f32_e64 s[2:3], s23, v16
	v_cmp_ngt_f32_e64 s[4:5], s23, v18
	v_ldexp_f32 v29, v29, v37
	v_cmp_ngt_f32_e64 s[6:7], s23, v20
	v_cmp_ngt_f32_e64 s[8:9], s23, v22
	v_cndmask_b32_e32 v33, 0, v38, vcc
	v_cmp_nlt_f32_e32 vcc, s24, v12
	v_cndmask_b32_e64 v10, v8, v32, s[12:13]
	v_cvt_i32_f32_e32 v41, v41
	v_exp_f32_e32 v4, v4
	v_cndmask_b32_e64 v12, 0, v39, s[0:1]
	v_cmp_nlt_f32_e64 s[0:1], s24, v14
	v_cndmask_b32_e64 v14, 0, v40, s[2:3]
	v_cmp_nlt_f32_e64 s[2:3], s24, v16
	v_cndmask_b32_e64 v16, 0, v27, s[4:5]
	v_cmp_nlt_f32_e64 s[4:5], s24, v18
	v_cndmask_b32_e64 v18, 0, v29, s[6:7]
	v_cmp_nlt_f32_e64 s[6:7], s24, v20
	v_cndmask_b32_e64 v20, 0, v31, s[8:9]
	v_cmp_nlt_f32_e64 s[8:9], s24, v22
	v_cndmask_b32_e32 v22, v8, v33, vcc
	v_fmac_f32_e32 v7, v10, v11
	s_waitcnt vmcnt(7)
	v_fmac_f32_e32 v6, v3, v10
	v_cndmask_b32_e64 v12, v8, v12, s[0:1]
	v_fmac_f32_e32 v7, v22, v13
	s_waitcnt vmcnt(6)
	v_fmac_f32_e32 v6, v34, v22
	v_cndmask_b32_e64 v14, v8, v14, s[2:3]
	;; [unrolled: 4-line block ×3, first 2 shown]
	v_fmac_f32_e32 v7, v14, v17
	s_waitcnt vmcnt(4)
	v_fmac_f32_e32 v6, v36, v14
	v_ldexp_f32 v4, v4, v41
	v_cmp_ngt_f32_e64 s[10:11], s23, v24
	v_cndmask_b32_e64 v18, v8, v18, s[6:7]
	v_fmac_f32_e32 v7, v16, v19
	s_waitcnt vmcnt(2)
	v_fmac_f32_e32 v6, v42, v16
	v_cndmask_b32_e64 v4, 0, v4, s[10:11]
	v_cmp_nlt_f32_e64 s[10:11], s24, v24
	v_cndmask_b32_e64 v20, v8, v20, s[8:9]
	v_fmac_f32_e32 v7, v18, v21
	s_waitcnt vmcnt(1)
	v_fmac_f32_e32 v6, v26, v18
	s_add_i32 s25, s25, 8
	s_add_i32 s21, s21, 64
	v_cndmask_b32_e64 v4, v8, v4, s[10:11]
	v_fmac_f32_e32 v7, v20, v23
	s_waitcnt vmcnt(0)
	v_fmac_f32_e32 v6, v30, v20
	s_cmp_eq_u32 s20, s25
	v_add_u32_e32 v2, 0x200, v2
	v_fmac_f32_e32 v7, v4, v25
	v_fmac_f32_e32 v6, v28, v4
	s_cbranch_scc0 .LBB8_24
; %bb.25:
	s_and_b32 s0, s17, 7
	s_cmp_eq_u32 s0, 0
	s_cbranch_scc0 .LBB8_28
	s_branch .LBB8_30
.LBB8_26:
	s_waitcnt lgkmcnt(0)
	v_mov_b32_e32 v1, 0x7fc00000
	s_branch .LBB8_31
.LBB8_27:
	s_mov_b32 s20, 0
	v_mov_b32_e32 v7, 0
	s_and_b32 s0, s17, 7
	s_cmp_eq_u32 s0, 0
	s_cbranch_scc1 .LBB8_30
.LBB8_28:
	s_lshl_b32 s1, s20, 3
	v_lshl_or_b32 v2, s20, 6, v0
	s_add_i32 s1, s1, 0
	s_mov_b32 s2, 0x3fb8aa3b
	s_mov_b32 s3, 0xc2ce8ed0
	;; [unrolled: 1-line block ×3, first 2 shown]
	v_mov_b32_e32 v4, 0x7f800000
	v_mov_b32_e32 v3, 0
	;; [unrolled: 1-line block ×3, first 2 shown]
.LBB8_29:                               ; =>This Inner Loop Header: Depth=1
	v_lshlrev_b64 v[8:9], 2, v[2:3]
	v_add_co_u32_e32 v8, vcc, s18, v8
	v_addc_co_u32_e32 v9, vcc, v5, v9, vcc
	global_load_dword v10, v[8:9], off
	v_mov_b32_e32 v8, s1
	ds_read_b64 v[8:9], v8
	s_add_i32 s1, s1, 8
	s_add_i32 s0, s0, -1
	v_add_u32_e32 v2, 64, v2
	s_cmp_lg_u32 s0, 0
	s_waitcnt lgkmcnt(0)
	v_sub_f32_e32 v8, v8, v1
	v_mul_f32_e32 v11, 0x3fb8aa3b, v8
	v_fma_f32 v12, v8, s2, -v11
	v_rndne_f32_e32 v13, v11
	v_fmac_f32_e32 v12, 0x32a5705f, v8
	v_sub_f32_e32 v11, v11, v13
	v_add_f32_e32 v11, v11, v12
	v_cvt_i32_f32_e32 v13, v13
	v_exp_f32_e32 v11, v11
	v_cmp_ngt_f32_e32 vcc, s3, v8
	v_ldexp_f32 v11, v11, v13
	v_cndmask_b32_e32 v11, 0, v11, vcc
	v_cmp_nlt_f32_e32 vcc, s4, v8
	v_cndmask_b32_e32 v8, v4, v11, vcc
	v_fmac_f32_e32 v7, v8, v9
	s_waitcnt vmcnt(0)
	v_fmac_f32_e32 v6, v10, v8
	s_cbranch_scc1 .LBB8_29
.LBB8_30:
	s_waitcnt lgkmcnt(0)
	v_div_scale_f32 v1, s[0:1], v7, v7, v6
	v_rcp_f32_e32 v2, v1
	v_div_scale_f32 v3, vcc, v6, v7, v6
	v_fma_f32 v4, -v1, v2, 1.0
	v_fmac_f32_e32 v2, v4, v2
	v_mul_f32_e32 v4, v3, v2
	v_fma_f32 v5, -v1, v4, v3
	v_fmac_f32_e32 v4, v5, v2
	v_fma_f32 v1, -v1, v4, v3
	v_div_fmas_f32 v1, v1, v2, v4
	v_div_fixup_f32 v1, v1, v7, v6
.LBB8_31:
	s_lshl_b32 s0, s16, 6
	s_ashr_i32 s1, s0, 31
	s_lshl_b64 s[0:1], s[0:1], 2
	s_add_u32 s0, s14, s0
	s_addc_u32 s1, s15, s1
	v_lshlrev_b32_e32 v0, 2, v0
	global_store_dword v0, v1, s[0:1]
	s_endpgm
	.section	.rodata,"a",@progbits
	.p2align	6, 0x0
	.amdhsa_kernel _ZL26flash_attn_combine_resultsILi64EEvPKfPK15HIP_vector_typeIfLj2EEPfi
		.amdhsa_group_segment_fixed_size 0
		.amdhsa_private_segment_fixed_size 0
		.amdhsa_kernarg_size 288
		.amdhsa_user_sgpr_count 6
		.amdhsa_user_sgpr_private_segment_buffer 1
		.amdhsa_user_sgpr_dispatch_ptr 0
		.amdhsa_user_sgpr_queue_ptr 0
		.amdhsa_user_sgpr_kernarg_segment_ptr 1
		.amdhsa_user_sgpr_dispatch_id 0
		.amdhsa_user_sgpr_flat_scratch_init 0
		.amdhsa_user_sgpr_kernarg_preload_length 0
		.amdhsa_user_sgpr_kernarg_preload_offset 0
		.amdhsa_user_sgpr_private_segment_size 0
		.amdhsa_uses_dynamic_stack 0
		.amdhsa_system_sgpr_private_segment_wavefront_offset 0
		.amdhsa_system_sgpr_workgroup_id_x 1
		.amdhsa_system_sgpr_workgroup_id_y 1
		.amdhsa_system_sgpr_workgroup_id_z 1
		.amdhsa_system_sgpr_workgroup_info 0
		.amdhsa_system_vgpr_workitem_id 0
		.amdhsa_next_free_vgpr 51
		.amdhsa_next_free_sgpr 26
		.amdhsa_accum_offset 52
		.amdhsa_reserve_vcc 1
		.amdhsa_reserve_flat_scratch 0
		.amdhsa_float_round_mode_32 0
		.amdhsa_float_round_mode_16_64 0
		.amdhsa_float_denorm_mode_32 3
		.amdhsa_float_denorm_mode_16_64 3
		.amdhsa_dx10_clamp 1
		.amdhsa_ieee_mode 1
		.amdhsa_fp16_overflow 0
		.amdhsa_tg_split 0
		.amdhsa_exception_fp_ieee_invalid_op 0
		.amdhsa_exception_fp_denorm_src 0
		.amdhsa_exception_fp_ieee_div_zero 0
		.amdhsa_exception_fp_ieee_overflow 0
		.amdhsa_exception_fp_ieee_underflow 0
		.amdhsa_exception_fp_ieee_inexact 0
		.amdhsa_exception_int_div_zero 0
	.end_amdhsa_kernel
	.section	.text._ZL26flash_attn_combine_resultsILi64EEvPKfPK15HIP_vector_typeIfLj2EEPfi,"axG",@progbits,_ZL26flash_attn_combine_resultsILi64EEvPKfPK15HIP_vector_typeIfLj2EEPfi,comdat
.Lfunc_end8:
	.size	_ZL26flash_attn_combine_resultsILi64EEvPKfPK15HIP_vector_typeIfLj2EEPfi, .Lfunc_end8-_ZL26flash_attn_combine_resultsILi64EEvPKfPK15HIP_vector_typeIfLj2EEPfi
                                        ; -- End function
	.section	.AMDGPU.csdata,"",@progbits
; Kernel info:
; codeLenInByte = 3028
; NumSgprs: 30
; NumVgprs: 51
; NumAgprs: 0
; TotalNumVgprs: 51
; ScratchSize: 0
; MemoryBound: 0
; FloatMode: 240
; IeeeMode: 1
; LDSByteSize: 0 bytes/workgroup (compile time only)
; SGPRBlocks: 3
; VGPRBlocks: 6
; NumSGPRsForWavesPerEU: 30
; NumVGPRsForWavesPerEU: 51
; AccumOffset: 52
; Occupancy: 8
; WaveLimiterHint : 0
; COMPUTE_PGM_RSRC2:SCRATCH_EN: 0
; COMPUTE_PGM_RSRC2:USER_SGPR: 6
; COMPUTE_PGM_RSRC2:TRAP_HANDLER: 0
; COMPUTE_PGM_RSRC2:TGID_X_EN: 1
; COMPUTE_PGM_RSRC2:TGID_Y_EN: 1
; COMPUTE_PGM_RSRC2:TGID_Z_EN: 1
; COMPUTE_PGM_RSRC2:TIDIG_COMP_CNT: 0
; COMPUTE_PGM_RSRC3_GFX90A:ACCUM_OFFSET: 12
; COMPUTE_PGM_RSRC3_GFX90A:TG_SPLIT: 0
	.section	.text._ZL18flash_attn_ext_f16ILi80ELi80ELi16ELi4ELb0ELb0EEvPKcS1_S1_S1_S1_PKiPfP15HIP_vector_typeIfLj2EEffffjfiS5_IjLj3EEiiiiiiiiiiiliiliiiiil,"axG",@progbits,_ZL18flash_attn_ext_f16ILi80ELi80ELi16ELi4ELb0ELb0EEvPKcS1_S1_S1_S1_PKiPfP15HIP_vector_typeIfLj2EEffffjfiS5_IjLj3EEiiiiiiiiiiiliiliiiiil,comdat
	.globl	_ZL18flash_attn_ext_f16ILi80ELi80ELi16ELi4ELb0ELb0EEvPKcS1_S1_S1_S1_PKiPfP15HIP_vector_typeIfLj2EEffffjfiS5_IjLj3EEiiiiiiiiiiiliiliiiiil ; -- Begin function _ZL18flash_attn_ext_f16ILi80ELi80ELi16ELi4ELb0ELb0EEvPKcS1_S1_S1_S1_PKiPfP15HIP_vector_typeIfLj2EEffffjfiS5_IjLj3EEiiiiiiiiiiiliiliiiiil
	.p2align	8
	.type	_ZL18flash_attn_ext_f16ILi80ELi80ELi16ELi4ELb0ELb0EEvPKcS1_S1_S1_S1_PKiPfP15HIP_vector_typeIfLj2EEffffjfiS5_IjLj3EEiiiiiiiiiiiliiliiiiil,@function
_ZL18flash_attn_ext_f16ILi80ELi80ELi16ELi4ELb0ELb0EEvPKcS1_S1_S1_S1_PKiPfP15HIP_vector_typeIfLj2EEffffjfiS5_IjLj3EEiiiiiiiiiiiliiliiiiil: ; @_ZL18flash_attn_ext_f16ILi80ELi80ELi16ELi4ELb0ELb0EEvPKcS1_S1_S1_S1_PKiPfP15HIP_vector_typeIfLj2EEffffjfiS5_IjLj3EEiiiiiiiiiiiliiliiiiil
; %bb.0:
	s_load_dwordx2 s[2:3], s[4:5], 0x80
	s_load_dwordx4 s[28:31], s[4:5], 0x64
	s_mov_b32 s19, s6
                                        ; implicit-def: $vgpr192 : SGPR spill to VGPR lane
	s_load_dword s20, s[4:5], 0xd0
	s_mov_b32 s0, 0
	s_waitcnt lgkmcnt(0)
	s_abs_i32 s1, s3
	v_cvt_f32_u32_e32 v1, s1
	s_sub_i32 s8, 0, s1
	s_abs_i32 s7, s29
	s_xor_b32 s6, s29, s3
	v_rcp_iflag_f32_e32 v1, v1
	s_ashr_i32 s6, s6, 31
	v_cvt_f32_ubyte0_e32 v3, 0
	v_mul_f32_e32 v1, 0x4f7ffffe, v1
	v_cvt_u32_f32_e32 v1, v1
	v_readfirstlane_b32 s9, v1
	s_mul_i32 s8, s8, s9
	s_mul_hi_u32 s8, s9, s8
	s_add_i32 s9, s9, s8
	s_mul_hi_u32 s8, s7, s9
	s_mul_i32 s9, s8, s1
	s_sub_i32 s7, s7, s9
	s_add_i32 s10, s8, 1
	s_sub_i32 s9, s7, s1
	s_cmp_ge_u32 s7, s1
	s_cselect_b32 s8, s10, s8
	s_cselect_b32 s7, s9, s7
	s_add_i32 s9, s8, 1
	s_cmp_ge_u32 s7, s1
	s_cselect_b32 s1, s9, s8
	s_add_i32 s2, s2, 63
	s_xor_b32 s1, s1, s6
	s_ashr_i32 s7, s2, 31
	s_sub_i32 s33, s1, s6
	s_lshr_b32 s1, s7, 26
	s_add_i32 s2, s2, s1
	s_add_i32 s1, s28, 15
	s_lshr_b32 s6, s1, 4
	s_add_i32 s1, s33, 3
	s_ashr_i32 s34, s2, 6
	s_ashr_i32 s2, s1, 31
	s_lshr_b32 s2, s2, 30
	s_add_i32 s1, s1, s2
	s_ashr_i32 s1, s1, 2
	v_writelane_b32 v192, s6, 0
	s_mul_i32 s2, s6, s34
	v_writelane_b32 v192, s2, 1
	s_mul_i32 s1, s2, s1
	;; [unrolled: 2-line block ×3, first 2 shown]
	s_mul_i32 s6, s1, s30
	s_ashr_i32 s7, s6, 31
	v_writelane_b32 v192, s1, 3
	s_mul_i32 s1, s7, s19
	s_mul_hi_u32 s2, s6, s19
	s_add_i32 s1, s2, s1
	v_cvt_f32_u32_e32 v1, s20
	s_add_u32 s2, s4, 0xd0
	s_addc_u32 s3, s5, 0
	s_mul_i32 s8, s6, s19
	v_writelane_b32 v192, s2, 4
	s_cmp_lg_u64 s[0:1], 0
	v_writelane_b32 v192, s3, 5
	s_cbranch_scc0 .LBB9_2
; %bb.1:
	v_madmk_f32 v2, v3, 0x4f800000, v1
	v_rcp_f32_e32 v2, v2
	s_sub_u32 s0, 0, s20
	s_subb_u32 s9, 0, 0
	s_mov_b64 s[2:3], 0
	v_mul_f32_e32 v2, 0x5f7ffffc, v2
	v_mul_f32_e32 v4, 0x2f800000, v2
	v_trunc_f32_e32 v4, v4
	v_madmk_f32 v2, v4, 0xcf800000, v2
	v_cvt_u32_f32_e32 v4, v4
	v_cvt_u32_f32_e32 v2, v2
	v_readfirstlane_b32 s10, v4
	v_readfirstlane_b32 s11, v2
	s_mul_hi_u32 s13, s0, s11
	s_mul_i32 s14, s0, s10
	s_mul_i32 s12, s9, s11
	s_add_i32 s13, s13, s14
	s_add_i32 s13, s13, s12
	s_mul_i32 s15, s0, s11
	s_mul_hi_u32 s12, s11, s13
	s_mul_i32 s14, s11, s13
	s_mul_hi_u32 s11, s11, s15
	s_add_u32 s11, s11, s14
	s_addc_u32 s12, 0, s12
	s_mul_hi_u32 s16, s10, s15
	s_mul_i32 s15, s10, s15
	s_add_u32 s11, s11, s15
	s_mul_hi_u32 s14, s10, s13
	s_addc_u32 s11, s12, s16
	s_addc_u32 s12, s14, 0
	s_mul_i32 s13, s10, s13
	s_add_u32 s11, s11, s13
	s_addc_u32 s12, 0, s12
	v_add_co_u32_e32 v2, vcc, s11, v2
	s_cmp_lg_u64 vcc, 0
	s_addc_u32 s10, s10, s12
	v_readfirstlane_b32 s12, v2
	s_mul_i32 s11, s0, s10
	s_mul_hi_u32 s13, s0, s12
	s_add_i32 s11, s13, s11
	s_mul_i32 s9, s9, s12
	s_add_i32 s11, s11, s9
	s_mul_i32 s0, s0, s12
	s_mul_hi_u32 s13, s10, s0
	s_mul_i32 s14, s10, s0
	s_mul_i32 s16, s12, s11
	s_mul_hi_u32 s0, s12, s0
	s_mul_hi_u32 s15, s12, s11
	s_add_u32 s0, s0, s16
	s_addc_u32 s12, 0, s15
	s_add_u32 s0, s0, s14
	s_mul_hi_u32 s9, s10, s11
	s_addc_u32 s0, s12, s13
	s_addc_u32 s9, s9, 0
	s_mul_i32 s11, s10, s11
	s_add_u32 s0, s0, s11
	s_addc_u32 s9, 0, s9
	v_add_co_u32_e32 v2, vcc, s0, v2
	s_cmp_lg_u64 vcc, 0
	s_addc_u32 s9, s10, s9
	s_ashr_i32 s10, s1, 31
	s_add_u32 s0, s8, s10
	s_mov_b32 s11, s10
	s_addc_u32 s1, s1, s10
	s_xor_b64 s[0:1], s[0:1], s[10:11]
	v_readfirstlane_b32 s14, v2
	s_mul_i32 s13, s0, s9
	s_mul_hi_u32 s15, s0, s14
	s_mul_hi_u32 s12, s0, s9
	s_add_u32 s13, s15, s13
	s_addc_u32 s12, 0, s12
	s_mul_hi_u32 s16, s1, s14
	s_mul_i32 s14, s1, s14
	s_add_u32 s13, s13, s14
	s_mul_hi_u32 s15, s1, s9
	s_addc_u32 s12, s12, s16
	s_addc_u32 s13, s15, 0
	s_mul_i32 s9, s1, s9
	s_add_u32 s9, s12, s9
	s_addc_u32 s12, 0, s13
	s_add_u32 s13, s9, 1
	s_addc_u32 s14, s12, 0
	s_add_u32 s15, s9, 2
	s_mul_i32 s17, s20, s12
	s_mul_hi_u32 s18, s20, s9
	s_addc_u32 s16, s12, 0
	s_add_i32 s18, s18, s17
	s_mul_i32 s17, s20, s9
	v_mov_b32_e32 v2, s17
	v_sub_co_u32_e32 v2, vcc, s0, v2
	s_cmp_lg_u64 vcc, 0
	s_subb_u32 s0, s1, s18
	v_subrev_co_u32_e32 v4, vcc, s20, v2
	s_cmp_lg_u64 vcc, 0
	s_subb_u32 s1, s0, 0
	v_readfirstlane_b32 s17, v4
	s_cmp_ge_u32 s17, s20
	s_cselect_b32 s17, -1, 0
	s_cmp_eq_u32 s1, 0
	s_cselect_b32 s1, s17, -1
	s_cmp_lg_u32 s1, 0
	s_cselect_b32 s1, s16, s14
	v_readfirstlane_b32 s14, v2
	s_cselect_b32 s13, s15, s13
	s_cmp_ge_u32 s14, s20
	s_cselect_b32 s14, -1, 0
	s_cmp_eq_u32 s0, 0
	s_cselect_b32 s0, s14, -1
	s_cmp_lg_u32 s0, 0
	s_cselect_b32 s1, s1, s12
	s_cselect_b32 s0, s13, s9
	s_xor_b64 s[0:1], s[0:1], s[10:11]
	s_sub_u32 s54, s0, s10
	s_branch .LBB9_3
.LBB9_2:
	s_mov_b64 s[2:3], -1
                                        ; implicit-def: $sgpr54_sgpr55
.LBB9_3:
	s_load_dwordx2 s[0:1], s[4:5], 0x74
	v_cvt_f32_u32_e32 v2, s20
	s_andn2_b64 vcc, exec, s[2:3]
	s_waitcnt lgkmcnt(0)
	v_writelane_b32 v192, s0, 6
	v_writelane_b32 v192, s1, 7
	s_cbranch_vccnz .LBB9_5
; %bb.4:
	v_rcp_iflag_f32_e32 v4, v2
	s_sub_i32 s0, 0, s20
	v_mul_f32_e32 v4, 0x4f7ffffe, v4
	v_cvt_u32_f32_e32 v4, v4
	v_readfirstlane_b32 s1, v4
	s_mul_i32 s0, s0, s1
	s_mul_hi_u32 s0, s1, s0
	s_add_i32 s1, s1, s0
	s_mul_hi_u32 s0, s8, s1
	s_mul_i32 s2, s0, s20
	s_sub_i32 s2, s8, s2
	s_add_i32 s1, s0, 1
	s_sub_i32 s3, s2, s20
	s_cmp_ge_u32 s2, s20
	s_cselect_b32 s0, s1, s0
	s_cselect_b32 s2, s3, s2
	s_add_i32 s1, s0, 1
	s_cmp_ge_u32 s2, s20
	s_cselect_b32 s54, s1, s0
.LBB9_5:
	s_add_i32 s0, s19, 1
	s_mul_i32 s1, s7, s0
	s_mul_hi_u32 s2, s6, s0
	s_add_i32 s3, s2, s1
	s_mov_b32 s2, 0
	s_cmp_lg_u64 s[2:3], 0
	s_mul_i32 s2, s6, s0
	s_cbranch_scc0 .LBB9_7
; %bb.6:
	v_madmk_f32 v1, v3, 0x4f800000, v1
	v_rcp_f32_e32 v1, v1
	s_sub_u32 s6, 0, s20
	s_subb_u32 s7, 0, 0
	s_mov_b64 s[0:1], 0
	v_mul_f32_e32 v1, 0x5f7ffffc, v1
	v_mul_f32_e32 v3, 0x2f800000, v1
	v_trunc_f32_e32 v3, v3
	v_madmk_f32 v1, v3, 0xcf800000, v1
	v_cvt_u32_f32_e32 v3, v3
	v_cvt_u32_f32_e32 v1, v1
	v_readfirstlane_b32 s8, v3
	v_readfirstlane_b32 s9, v1
	s_mul_hi_u32 s11, s6, s9
	s_mul_i32 s12, s6, s8
	s_mul_i32 s10, s7, s9
	s_add_i32 s11, s11, s12
	s_add_i32 s11, s11, s10
	s_mul_i32 s13, s6, s9
	s_mul_hi_u32 s10, s9, s11
	s_mul_i32 s12, s9, s11
	s_mul_hi_u32 s9, s9, s13
	s_add_u32 s9, s9, s12
	s_addc_u32 s10, 0, s10
	s_mul_hi_u32 s14, s8, s13
	s_mul_i32 s13, s8, s13
	s_add_u32 s9, s9, s13
	s_mul_hi_u32 s12, s8, s11
	s_addc_u32 s9, s10, s14
	s_addc_u32 s10, s12, 0
	s_mul_i32 s11, s8, s11
	s_add_u32 s9, s9, s11
	s_addc_u32 s10, 0, s10
	v_add_co_u32_e32 v1, vcc, s9, v1
	s_cmp_lg_u64 vcc, 0
	s_addc_u32 s8, s8, s10
	v_readfirstlane_b32 s10, v1
	s_mul_i32 s9, s6, s8
	s_mul_hi_u32 s11, s6, s10
	s_add_i32 s9, s11, s9
	s_mul_i32 s7, s7, s10
	s_add_i32 s9, s9, s7
	s_mul_i32 s6, s6, s10
	s_mul_hi_u32 s11, s8, s6
	s_mul_i32 s12, s8, s6
	s_mul_i32 s14, s10, s9
	s_mul_hi_u32 s6, s10, s6
	s_mul_hi_u32 s13, s10, s9
	s_add_u32 s6, s6, s14
	s_addc_u32 s10, 0, s13
	s_add_u32 s6, s6, s12
	s_mul_hi_u32 s7, s8, s9
	s_addc_u32 s6, s10, s11
	s_addc_u32 s7, s7, 0
	s_mul_i32 s9, s8, s9
	s_add_u32 s6, s6, s9
	s_addc_u32 s7, 0, s7
	v_add_co_u32_e32 v1, vcc, s6, v1
	s_cmp_lg_u64 vcc, 0
	s_addc_u32 s10, s8, s7
	s_ashr_i32 s6, s3, 31
	s_add_u32 s8, s2, s6
	s_mov_b32 s7, s6
	s_addc_u32 s9, s3, s6
	s_xor_b64 s[8:9], s[8:9], s[6:7]
	v_readfirstlane_b32 s12, v1
	s_mul_i32 s11, s8, s10
	s_mul_hi_u32 s13, s8, s12
	s_mul_hi_u32 s3, s8, s10
	s_add_u32 s11, s13, s11
	s_addc_u32 s3, 0, s3
	s_mul_hi_u32 s14, s9, s12
	s_mul_i32 s12, s9, s12
	s_add_u32 s11, s11, s12
	s_mul_hi_u32 s13, s9, s10
	s_addc_u32 s3, s3, s14
	s_addc_u32 s11, s13, 0
	s_mul_i32 s10, s9, s10
	s_add_u32 s3, s3, s10
	s_addc_u32 s10, 0, s11
	s_add_u32 s11, s3, 1
	s_addc_u32 s12, s10, 0
	s_add_u32 s13, s3, 2
	s_mul_i32 s15, s20, s10
	s_mul_hi_u32 s16, s20, s3
	s_addc_u32 s14, s10, 0
	s_add_i32 s16, s16, s15
	s_mul_i32 s15, s20, s3
	v_mov_b32_e32 v1, s15
	v_sub_co_u32_e32 v1, vcc, s8, v1
	s_cmp_lg_u64 vcc, 0
	s_subb_u32 s8, s9, s16
	v_subrev_co_u32_e32 v3, vcc, s20, v1
	s_cmp_lg_u64 vcc, 0
	s_subb_u32 s9, s8, 0
	v_readfirstlane_b32 s15, v3
	s_cmp_ge_u32 s15, s20
	s_cselect_b32 s15, -1, 0
	s_cmp_eq_u32 s9, 0
	s_cselect_b32 s9, s15, -1
	s_cmp_lg_u32 s9, 0
	s_cselect_b32 s9, s14, s12
	v_readfirstlane_b32 s12, v1
	s_cselect_b32 s11, s13, s11
	s_cmp_ge_u32 s12, s20
	s_cselect_b32 s12, -1, 0
	s_cmp_eq_u32 s8, 0
	s_cselect_b32 s8, s12, -1
	s_cmp_lg_u32 s8, 0
	s_cselect_b32 s9, s9, s10
	s_cselect_b32 s8, s11, s3
	s_xor_b64 s[8:9], s[8:9], s[6:7]
	s_sub_u32 s58, s8, s6
	s_branch .LBB9_8
.LBB9_7:
	s_mov_b64 s[0:1], -1
                                        ; implicit-def: $sgpr58_sgpr59
.LBB9_8:
	s_load_dwordx2 s[42:43], s[4:5], 0x5c
	s_andn2_b64 vcc, exec, s[0:1]
	v_writelane_b32 v192, s19, 8
	s_cbranch_vccnz .LBB9_10
; %bb.9:
	v_rcp_iflag_f32_e32 v1, v2
	s_sub_i32 s0, 0, s20
	v_mul_f32_e32 v1, 0x4f7ffffe, v1
	v_cvt_u32_f32_e32 v1, v1
	v_readfirstlane_b32 s1, v1
	s_mul_i32 s0, s0, s1
	s_mul_hi_u32 s0, s1, s0
	s_add_i32 s1, s1, s0
	s_mul_hi_u32 s0, s2, s1
	s_mul_i32 s3, s0, s20
	s_sub_i32 s2, s2, s3
	s_add_i32 s1, s0, 1
	s_sub_i32 s3, s2, s20
	s_cmp_ge_u32 s2, s20
	s_cselect_b32 s0, s1, s0
	s_cselect_b32 s2, s3, s2
	s_add_i32 s1, s0, 1
	s_cmp_ge_u32 s2, s20
	s_cselect_b32 s58, s1, s0
.LBB9_10:
	v_writelane_b32 v192, s20, 9
	s_load_dwordx16 s[12:27], s[4:5], 0x0
	s_load_dword s6, s[4:5], 0x40
	s_load_dwordx2 s[2:3], s[4:5], 0x8c
	s_load_dwordx4 s[36:39], s[4:5], 0x98
	s_load_dwordx2 s[0:1], s[4:5], 0xa8
	s_abs_i32 s35, s34
	v_cvt_f32_u32_e32 v1, s35
	s_waitcnt lgkmcnt(0)
	s_ashr_i32 s40, s2, 2
	s_sub_i32 s2, 0, s35
	v_writelane_b32 v192, s0, 10
	v_writelane_b32 v192, s1, 11
	s_load_dwordx2 s[10:11], s[4:5], 0xb8
	s_load_dwordx2 s[0:1], s[4:5], 0xc8
	v_rcp_iflag_f32_e32 v1, v1
	s_ashr_i32 s55, s31, 3
	s_ashr_i32 s30, s38, 2
	s_waitcnt lgkmcnt(0)
	s_ashr_i32 s44, s11, 1
	v_mul_f32_e32 v1, 0x4f7ffffe, v1
	v_writelane_b32 v192, s0, 12
	v_cvt_u32_f32_e32 v1, v1
	v_writelane_b32 v192, s1, 13
	v_readlane_b32 s0, v192, 6
	v_readlane_b32 s1, v192, 7
	s_mov_b32 s1, s3
	v_readfirstlane_b32 s3, v1
	s_ashr_i32 s48, s0, 3
	v_writelane_b32 v192, s0, 14
	s_mul_i32 s2, s2, s3
	v_writelane_b32 v192, s1, 15
	s_ashr_i32 s1, s34, 31
	s_mul_hi_u32 s2, s3, s2
	v_writelane_b32 v192, s1, 16
	s_abs_i32 s1, s54
	s_add_i32 s52, s3, s2
	s_mul_hi_u32 s2, s1, s52
	s_mul_i32 s2, s2, s35
	s_sub_i32 s1, s1, s2
	s_ashr_i32 s0, s54, 31
	s_sub_i32 s2, s1, s35
	s_cmp_ge_u32 s1, s35
	s_cselect_b32 s1, s2, s1
	s_sub_i32 s2, s1, s35
	s_cmp_ge_u32 s1, s35
	s_cselect_b32 s1, s2, s1
	s_xor_b32 s1, s1, s0
	s_sub_i32 s74, s1, s0
	s_sub_i32 s0, s58, s54
	s_add_i32 s2, s0, s74
	s_min_i32 s53, s34, s2
	s_cmp_gt_i32 s58, s54
	s_cselect_b64 s[4:5], -1, 0
	s_cmp_le_i32 s58, s54
	v_cvt_f16_f32_e32 v1, s6
	s_cselect_b64 s[0:1], -1, 0
	s_cmp_gt_i32 s34, s2
	s_cselect_b64 s[2:3], -1, 0
	s_or_b64 s[0:1], s[2:3], s[0:1]
	v_bfe_u32 v39, v0, 10, 10
	s_mov_b32 s61, 0
	s_and_b64 vcc, exec, s[0:1]
	v_pack_b32_f16 v49, v1, v1
	v_lshlrev_b32_e32 v55, 4, v39
	v_mbcnt_lo_u32_b32 v57, -1, 0
	v_writelane_b32 v192, s48, 17
	s_cbranch_vccz .LBB9_13
; %bb.11:
	s_andn2_b64 vcc, exec, s[4:5]
	s_cbranch_vccz .LBB9_236
.LBB9_12:
	s_endpgm
.LBB9_13:
	v_and_b32_e32 v1, 0x3ff, v0
	v_lshrrev_b32_e32 v2, 5, v1
	v_lshl_add_u32 v51, v39, 1, v2
	v_lshrrev_b32_e32 v2, 3, v1
	v_and_or_b32 v12, v1, 12, v55
	v_lshlrev_b32_e32 v6, 2, v2
	s_movk_i32 s4, 0x90
	v_lshrrev_b32_e32 v12, 2, v12
	v_lshl_add_u32 v14, v39, 3, v2
	v_and_b32_e32 v15, 15, v1
	v_and_b32_e32 v2, 0x78, v6
	v_lshrrev_b32_e32 v8, 2, v1
	v_mad_u32_u24 v12, v12, s4, 0
	v_or_b32_e32 v6, 4, v6
	s_cmp_eq_u64 s[20:21], 0
	v_mul_u32_u24_e32 v3, 0xb0, v15
	v_and_b32_e32 v9, 60, v8
	v_add_u32_e32 v79, v12, v6
	v_or_b32_e32 v6, 3, v8
	s_cselect_b64 s[0:1], -1, 0
	v_add3_u32 v53, 0, v3, v2
	v_lshrrev_b32_e32 v2, 1, v1
	v_mul_u32_u24_e32 v22, 0xb0, v6
	v_mul_u32_u24_e32 v6, 0x58, v9
	v_writelane_b32 v192, s0, 18
	s_cmp_lg_u64 s[22:23], 0
	s_movk_i32 s3, 0xb0
	v_lshl_add_u32 v7, v39, 5, v2
	v_or_b32_e32 v24, v6, v15
	v_writelane_b32 v192, s1, 19
	s_cselect_b64 s[0:1], -1, 0
	v_mad_u32_u24 v2, v7, s3, 0
	v_mad_u32_u24 v19, v14, s3, 0
	v_lshlrev_b32_e32 v24, 1, v24
	s_add_i32 s3, 0, 0xb00
	v_add_u32_e32 v90, s3, v24
	s_add_i32 s3, 0, 0x1600
	v_add_u32_e32 v91, s3, v24
	;; [unrolled: 2-line block ×6, first 2 shown]
	s_add_i32 s3, 0, 0xb40
	v_writelane_b32 v192, s0, 20
	v_add_u32_e32 v98, s3, v24
	s_add_i32 s3, 0, 0x1640
	v_writelane_b32 v192, s1, 21
	v_add_u32_e32 v99, s3, v24
	s_add_i32 s3, 0, 0x2140
	v_add_u32_e32 v100, s3, v24
	s_add_i32 s3, 0, 0x60
	v_readlane_b32 s4, v192, 8
	v_add_u32_e32 v101, s3, v24
	s_add_i32 s3, 0, 0xb60
	s_lshl_b32 s60, s4, 6
	s_ashr_i32 s45, s44, 31
	s_ashr_i32 s41, s40, 31
	v_lshlrev_b32_e32 v17, 2, v1
	s_ashr_i32 s31, s30, 31
	v_add_u32_e32 v102, s3, v24
	s_add_i32 s3, 0, 0x1660
	s_add_i32 s8, 0, 0x2160
	s_add_i32 s9, 0, 0x80
	s_mov_b32 s46, s10
	s_add_i32 s10, 0, 0xb80
	s_add_i32 s11, 0, 0x1680
	;; [unrolled: 1-line block ×3, first 2 shown]
	s_lshl_b64 s[4:5], s[60:61], 3
	v_and_b32_e32 v28, 4, v17
	v_and_b32_e32 v30, 28, v17
	s_add_u32 s4, s26, s4
	v_or_b32_e32 v17, v55, v1
	v_readlane_b32 s51, v192, 3
	s_addc_u32 s5, s27, s5
	v_lshlrev_b32_e32 v17, 3, v17
	s_abs_i32 s6, s51
	v_add_co_u32_e32 v32, vcc, s4, v17
	v_cvt_f32_u32_e32 v17, s6
	v_mul_u32_u24_e32 v23, 0xb0, v9
	v_lshlrev_b32_e32 v15, 1, v15
	v_lshlrev_b32_e32 v18, 2, v28
	s_movk_i32 s7, 0x80
	v_add_u32_e32 v21, 0x1600, v19
	v_add3_u32 v85, 0, v23, v15
	v_add3_u32 v87, 0, v22, v15
	v_lshlrev_b32_e32 v15, 2, v30
	v_and_b32_e32 v26, 7, v1
	v_add3_u32 v61, v2, v18, s7
	v_add_u32_e32 v103, v19, v15
	v_add_u32_e32 v104, v21, v15
	;; [unrolled: 1-line block ×3, first 2 shown]
	v_mov_b32_e32 v18, s5
	v_readlane_b32 s50, v192, 2
	v_addc_co_u32_e32 v33, vcc, 0, v18, vcc
	v_lshlrev_b32_e32 v18, 2, v26
	v_rcp_iflag_f32_e32 v17, v17
	s_abs_i32 s59, s50
	v_add_u32_e32 v105, v19, v18
	v_add_u32_e32 v106, v21, v18
	v_cvt_f32_u32_e32 v18, s59
	v_mul_u32_u24_e32 v16, 0xb0, v7
	v_readlane_b32 s49, v192, 1
	v_add3_u32 v107, v15, v16, s7
	v_mul_f32_e32 v15, 0x4f7ffffe, v17
	s_abs_i32 s66, s49
	s_abs_i32 s67, s46
	v_cvt_u32_f32_e32 v15, v15
	v_rcp_iflag_f32_e32 v16, v18
	v_cvt_f32_u32_e32 v17, s66
	v_cvt_f32_u32_e32 v18, s67
	s_mov_b32 s4, s46
	v_writelane_b32 v192, s4, 22
	v_writelane_b32 v192, s5, 23
	v_readfirstlane_b32 s4, v15
	v_rcp_iflag_f32_e32 v15, v17
	v_rcp_iflag_f32_e32 v17, v18
	s_sub_i32 s47, 0, s67
	v_lshl_add_u32 v63, v9, 1, v12
	v_mul_f32_e32 v15, 0x4f7ffffe, v15
	v_mul_f32_e32 v17, 0x4f7ffffe, v17
	v_cvt_u32_f32_e32 v15, v15
	v_cvt_u32_f32_e32 v17, v17
	v_mul_lo_u32 v12, s30, v7
	v_mul_f32_e32 v16, 0x4f7ffffe, v16
	v_readfirstlane_b32 s46, v15
	v_mul_lo_u32 v15, s47, v17
	v_mul_hi_u32 v15, v17, v15
	v_ashrrev_i32_e32 v13, 31, v12
	v_cvt_u32_f32_e32 v16, v16
	v_add_u32_e32 v108, v17, v15
	v_and_b32_e32 v15, 1, v1
	v_lshlrev_b32_e32 v15, 4, v15
	v_lshlrev_b64 v[34:35], 2, v[12:13]
	v_add_co_u32_e32 v12, vcc, v15, v34
	v_add_u32_e32 v17, 24, v51
	v_mul_lo_u32 v10, s40, v7
	v_addc_co_u32_e32 v13, vcc, 0, v35, vcc
	v_add_u32_e32 v110, s8, v24
	v_add_u32_e32 v111, s9, v24
	v_cmp_gt_u32_e64 s[8:9], 16, v1
	v_lshrrev_b32_e32 v115, 2, v17
	v_add_u32_e32 v17, 40, v51
	v_ashrrev_i32_e32 v11, 31, v10
	v_readfirstlane_b32 s5, v16
	v_mov_b32_e32 v16, s17
	v_add_co_u32_e32 v12, vcc, s16, v12
	v_add_u32_e32 v109, s3, v24
	v_writelane_b32 v192, s8, 24
	v_lshrrev_b32_e32 v116, 2, v17
	s_movk_i32 s3, 0x7f0
	v_add_u32_e32 v17, 16, v51
	v_and_b32_e32 v18, 15, v51
	v_add_u32_e32 v19, 32, v51
	v_add_u32_e32 v21, 48, v51
	v_addc_co_u32_e32 v13, vcc, v13, v16, vcc
	v_lshlrev_b64 v[36:37], 2, v[10:11]
	v_writelane_b32 v192, s9, 25
	v_lshrrev_b32_e32 v117, 2, v17
	v_and_or_b32 v17, v17, s3, v18
	v_lshrrev_b32_e32 v118, 2, v19
	v_and_or_b32 v19, v19, s3, v18
	v_and_or_b32 v18, v21, s3, v18
	s_ashr_i32 s3, s51, 31
	v_add_co_u32_e32 v10, vcc, v15, v36
	v_writelane_b32 v192, s3, 26
	s_sub_i32 s3, 0, s6
	v_addc_co_u32_e32 v11, vcc, 0, v37, vcc
	s_mul_i32 s3, s3, s4
	v_mov_b32_e32 v15, s15
	v_add_co_u32_e32 v10, vcc, s14, v10
	s_mul_hi_u32 s3, s4, s3
	v_mul_lo_u32 v8, s30, v14
	v_addc_co_u32_e32 v11, vcc, v11, v15, vcc
	s_add_i32 s3, s4, s3
	v_add_u32_e32 v20, 32, v14
	v_ashrrev_i32_e32 v9, 31, v8
	v_writelane_b32 v192, s3, 27
	s_ashr_i32 s3, s50, 31
	v_add_co_u32_e32 v133, vcc, s7, v12
	v_mul_lo_u32 v6, s30, v20
	v_writelane_b32 v192, s3, 28
	s_sub_i32 s3, 0, s59
	v_addc_co_u32_e32 v134, vcc, 0, v13, vcc
	v_lshlrev_b64 v[40:41], 2, v[8:9]
	v_cmp_gt_u32_e64 s[0:1], 64, v7
	v_ashrrev_i32_e32 v7, 31, v6
	s_mul_i32 s3, s3, s5
	v_mov_b32_e32 v8, s17
	v_add_co_u32_e32 v135, vcc, s16, v40
	s_mul_hi_u32 s3, s5, s3
	v_addc_co_u32_e32 v136, vcc, v8, v41, vcc
	v_lshlrev_b64 v[42:43], 2, v[6:7]
	s_add_i32 s3, s5, s3
	v_mov_b32_e32 v6, s17
	v_add_co_u32_e32 v137, vcc, s16, v42
	v_mul_lo_u32 v2, s40, v14
	v_writelane_b32 v192, s3, 29
	s_ashr_i32 s3, s49, 31
	v_addc_co_u32_e32 v138, vcc, v6, v43, vcc
	v_ashrrev_i32_e32 v3, 31, v2
	v_writelane_b32 v192, s3, 30
	s_sub_i32 s3, 0, s66
	v_add_co_u32_e32 v139, vcc, s7, v10
	v_lshl_add_u32 v4, s40, 5, v2
	s_mul_i32 s3, s3, s46
	v_addc_co_u32_e32 v140, vcc, 0, v11, vcc
	v_lshlrev_b64 v[44:45], 2, v[2:3]
	v_ashrrev_i32_e32 v5, 31, v4
	s_mul_hi_u32 s3, s46, s3
	v_mov_b32_e32 v2, s15
	v_add_co_u32_e32 v141, vcc, s14, v44
	v_lshrrev_b32_e32 v122, 2, v20
	v_lshlrev_b32_e32 v20, 1, v1
	s_add_i32 s3, s46, s3
	v_addc_co_u32_e32 v142, vcc, v2, v45, vcc
	v_lshlrev_b64 v[46:47], 2, v[4:5]
	v_add_u32_e32 v15, v55, v1
	v_mul_u32_u24_e32 v16, 44, v51
	v_mul_u32_u24_e32 v17, 44, v17
	;; [unrolled: 1-line block ×4, first 2 shown]
	v_and_b32_e32 v38, 62, v20
	v_writelane_b32 v192, s3, 31
	s_lshl_b64 s[4:5], s[44:45], 1
	v_add_co_u32_e32 v143, vcc, s14, v46
	v_bfe_u32 v48, v1, 3, 2
	s_movk_i32 s2, 0xb00
	v_mul_u32_u24_e32 v15, 0xb0, v15
	v_lshlrev_b32_e32 v16, 2, v16
	v_lshrrev_b32_e32 v119, 2, v21
	v_add_u32_e32 v21, 56, v51
	v_lshrrev_b32_e32 v121, 2, v14
	v_mul_u32_u24_e32 v14, 44, v14
	v_lshlrev_b32_e32 v17, 2, v17
	v_lshlrev_b32_e32 v19, 2, v19
	;; [unrolled: 1-line block ×3, first 2 shown]
	v_lshl_add_u32 v123, v38, 1, 0
	v_writelane_b32 v192, s4, 32
	v_addc_co_u32_e32 v144, vcc, v2, v47, vcc
	v_mul_lo_u32 v2, s48, v48
	v_add_u32_e32 v149, 8, v51
	v_and_b32_e32 v52, 31, v1
	v_and_b32_e32 v56, 3, v51
	v_add_u32_e32 v81, 0, v24
	v_add3_u32 v93, 0, 32, v24
	v_add3_u32 v97, 0, 64, v24
	v_add_u32_e32 v112, s10, v24
	v_add_u32_e32 v113, s11, v24
	v_add_u32_e32 v114, s38, v24
	v_lshrrev_b32_e32 v120, 2, v21
	v_add_u32_e32 v124, v123, v16
	v_add_u32_e32 v125, 0, v16
	;; [unrolled: 1-line block ×8, first 2 shown]
	v_lshl_add_u32 v132, v14, 2, 0
	v_writelane_b32 v192, s5, 33
	s_lshl_b64 s[68:69], s[30:31], 8
	s_lshl_b64 s[70:71], s[40:41], 8
	s_mov_b32 s45, 0x3fb8aa3b
	s_mov_b32 s63, 0xc2ce8ed0
	;; [unrolled: 1-line block ×5, first 2 shown]
	v_add_u32_e32 v145, 0, v15
	v_add3_u32 v50, v2, v26, 32
	v_mad_u32_u24 v146, v39, s2, v53
	v_mov_b32_e32 v147, 0
	v_mul_u32_u24_e32 v148, 0x90, v51
	v_add_u32_e32 v150, 32, v63
	v_add_u32_e32 v151, 64, v63
	;; [unrolled: 1-line block ×3, first 2 shown]
	v_and_b32_e32 v54, 3, v1
	v_lshrrev_b32_e32 v153, 2, v51
	v_lshrrev_b32_e32 v154, 2, v149
	v_mbcnt_hi_u32_b32 v155, -1, v57
	v_mov_b32_e32 v156, 0x7f800000
	v_mad_u64_u32 v[58:59], s[2:3], v56, s48, v[52:53]
	v_lshlrev_b32_e32 v60, 2, v52
	v_lshlrev_b32_e32 v62, 4, v26
	v_writelane_b32 v192, s52, 34
	s_branch .LBB9_15
.LBB9_14:                               ;   in Loop: Header=BB9_15 Depth=1
	s_or_b64 exec, exec, s[4:5]
	s_add_i32 s2, s54, s34
	s_abs_i32 s4, s2
	s_mul_hi_u32 s5, s4, s52
	s_mul_i32 s5, s5, s35
	s_sub_i32 s4, s4, s5
	s_ashr_i32 s3, s2, 31
	s_sub_i32 s5, s4, s35
	s_cmp_ge_u32 s4, s35
	s_cselect_b32 s4, s5, s4
	s_sub_i32 s5, s4, s35
	s_cmp_ge_u32 s4, s35
	s_cselect_b32 s4, s5, s4
	s_xor_b32 s4, s4, s3
	s_sub_i32 s3, s3, s4
	s_add_i32 s54, s2, s3
	s_sub_i32 s2, s58, s54
	s_min_i32 s53, s34, s2
	s_cmp_gt_i32 s58, s54
	s_cselect_b64 s[4:5], -1, 0
	s_cmp_le_i32 s34, s2
	s_cselect_b64 s[2:3], -1, 0
	s_and_b64 s[2:3], s[2:3], s[4:5]
	s_mov_b32 s74, 0
	s_and_b64 vcc, exec, s[2:3]
	s_cbranch_vccz .LBB9_235
.LBB9_15:                               ; =>This Loop Header: Depth=1
                                        ;     Child Loop BB9_65 Depth 2
                                        ;     Child Loop BB9_171 Depth 2
	s_ashr_i32 s2, s54, 31
	v_readlane_b32 s3, v192, 26
	s_xor_b32 s2, s2, s3
	s_abs_i32 s3, s54
	v_readlane_b32 s4, v192, 27
	s_mul_hi_u32 s4, s3, s4
	s_mul_i32 s5, s4, s6
	s_sub_i32 s3, s3, s5
	s_add_i32 s5, s4, 1
	s_sub_i32 s8, s3, s6
	s_cmp_ge_u32 s3, s6
	s_cselect_b32 s4, s5, s4
	s_cselect_b32 s3, s8, s3
	s_add_i32 s5, s4, 1
	s_cmp_ge_u32 s3, s6
	s_cselect_b32 s3, s5, s4
	s_xor_b32 s3, s3, s2
	s_sub_i32 s8, s3, s2
	v_readlane_b32 s2, v192, 3
	s_mul_i32 s2, s8, s2
	s_sub_i32 s2, s54, s2
	s_ashr_i32 s3, s2, 31
	v_readlane_b32 s4, v192, 28
	s_xor_b32 s3, s3, s4
	s_abs_i32 s4, s2
	v_readlane_b32 s5, v192, 29
	s_mul_hi_u32 s5, s4, s5
	s_mul_i32 s9, s5, s59
	s_sub_i32 s4, s4, s9
	s_add_i32 s9, s5, 1
	s_sub_i32 s10, s4, s59
	s_cmp_ge_u32 s4, s59
	s_cselect_b32 s5, s9, s5
	s_cselect_b32 s4, s10, s4
	s_add_i32 s9, s5, 1
	s_cmp_ge_u32 s4, s59
	s_cselect_b32 s4, s9, s5
	s_xor_b32 s4, s4, s3
	s_sub_i32 s9, s4, s3
	v_readlane_b32 s3, v192, 2
	s_mul_i32 s3, s9, s3
	s_sub_i32 s3, s2, s3
	;; [unrolled: 21-line block ×3, first 2 shown]
	s_ashr_i32 s4, s3, 31
	v_readlane_b32 s5, v192, 16
	s_abs_i32 s3, s3
	s_xor_b32 s4, s4, s5
	s_mul_hi_u32 s5, s3, s52
	s_mul_i32 s10, s5, s35
	s_sub_i32 s3, s3, s10
	s_add_i32 s10, s5, 1
	s_sub_i32 s11, s3, s35
	s_cmp_ge_u32 s3, s35
	s_cselect_b32 s5, s10, s5
	s_cselect_b32 s3, s11, s3
	s_add_i32 s10, s5, 1
	s_cmp_ge_u32 s3, s35
	s_cselect_b32 s3, s10, s5
	v_readlane_b32 s10, v192, 20
	s_xor_b32 s3, s3, s4
	v_readlane_b32 s11, v192, 21
	s_andn2_b64 vcc, exec, s[10:11]
	s_sub_i32 s82, s3, s4
	s_cbranch_vccnz .LBB9_17
; %bb.16:                               ;   in Loop: Header=BB9_15 Depth=1
	v_readlane_b32 s3, v192, 0
	s_mul_i32 s3, s8, s3
	s_add_i32 s4, s82, s3
	s_ashr_i32 s5, s4, 31
	s_lshl_b64 s[4:5], s[4:5], 2
	s_add_u32 s4, s22, s4
	s_addc_u32 s5, s23, s5
	global_load_dword v1, v147, s[4:5]
	s_waitcnt vmcnt(0)
	v_readfirstlane_b32 s3, v1
	s_ashr_i32 s4, s3, 31
	s_lshr_b32 s4, s4, 26
	s_add_i32 s3, s3, s4
	s_ashr_i32 s3, s3, 6
	s_min_i32 s53, s53, s3
.LBB9_17:                               ;   in Loop: Header=BB9_15 Depth=1
	v_readlane_b32 s4, v192, 6
	v_readlane_b32 s5, v192, 7
	s_mul_i32 s3, s9, s33
	s_lshl_b32 s81, s2, 2
	s_mul_i32 s2, s8, s5
	s_add_i32 s10, s81, s3
	s_ashr_i32 s3, s2, 31
	s_add_u32 s2, s12, s2
	s_mul_i32 s4, s10, s4
	s_addc_u32 s3, s13, s3
	s_ashr_i32 s5, s4, 31
	s_add_u32 s50, s2, s4
	s_addc_u32 s80, s3, s5
	s_ashr_i32 s11, s8, 31
	s_mul_i32 s2, s8, s37
	s_mul_hi_u32 s3, s8, s36
	s_add_i32 s2, s3, s2
	s_mul_i32 s3, s11, s36
	v_readlane_b32 s46, v192, 14
	s_add_i32 s38, s2, s3
	s_mul_i32 s2, s8, s36
	v_readlane_b32 s47, v192, 15
	s_add_u32 s4, s14, s2
	s_mul_i32 s3, s9, s47
	s_addc_u32 s5, s15, s38
	s_ashr_i32 s46, s3, 31
	s_add_u32 s52, s4, s3
	s_addc_u32 s62, s5, s46
	s_abs_i32 s4, s8
	v_mul_hi_u32 v1, s4, v108
	v_mul_lo_u32 v1, v1, s67
	v_sub_u32_e32 v1, s4, v1
	s_mul_i32 s47, s28, s29
	v_subrev_u32_e32 v2, s67, v1
	v_cmp_le_u32_e32 vcc, s67, v1
	s_mul_i32 s47, s47, s8
	v_cndmask_b32_e32 v1, v1, v2, vcc
	s_add_i32 s47, s10, s47
	v_subrev_u32_e32 v2, s67, v1
	v_cmp_le_u32_e32 vcc, s67, v1
	s_mul_i32 s60, s47, 40
	v_readlane_b32 s72, v192, 10
	v_cndmask_b32_e32 v1, v1, v2, vcc
	s_lshl_b64 s[48:49], s[60:61], 3
	v_readlane_b32 s73, v192, 11
	v_xor_b32_e32 v1, s11, v1
	s_add_u32 s95, s24, s48
	s_mul_i32 s47, s8, s73
	s_mul_hi_u32 s48, s8, s72
	v_subrev_u32_e32 v2, s11, v1
	s_addc_u32 s56, s25, s49
	s_add_i32 s47, s48, s47
	s_mul_i32 s11, s11, s72
	s_add_i32 s47, s47, s11
	s_mul_i32 s60, s8, s72
	s_add_u32 s8, s16, s60
	s_mul_i32 s48, s9, s39
	s_addc_u32 s11, s17, s47
	s_ashr_i32 s49, s48, 31
	s_add_u32 s57, s8, s48
	v_readlane_b32 s4, v192, 12
	s_addc_u32 s94, s11, s49
	s_ashr_i32 s11, s10, 31
	v_readlane_b32 s5, v192, 13
	s_lshl_b64 s[8:9], s[10:11], 2
	v_ashrrev_i32_e32 v1, 31, v2
	v_mul_lo_u32 v3, v2, s5
	v_mul_hi_u32 v4, v2, s4
	s_add_u32 s10, s20, s8
	v_add_u32_e32 v3, v4, v3
	v_mul_lo_u32 v1, v1, s4
	v_mul_lo_u32 v2, v2, s4
	s_addc_u32 s11, s21, s9
	v_readlane_b32 s8, v192, 18
	v_add_u32_e32 v1, v3, v1
	v_mov_b32_e32 v3, s19
	v_add_co_u32_e64 v64, s[4:5], s18, v2
	v_readlane_b32 s9, v192, 19
	v_addc_co_u32_e64 v157, vcc, v3, v1, s[4:5]
	s_and_b64 s[8:9], s[8:9], exec
	v_or_b32_e32 v27, s81, v56
	s_cselect_b32 s73, 0, s11
	s_cselect_b32 s72, 0, s10
	s_cmp_lg_u32 s74, 0
	v_cmp_gt_i32_e32 vcc, s33, v27
	s_cbranch_scc0 .LBB9_60
; %bb.18:                               ;   in Loop: Header=BB9_15 Depth=1
	s_lshl_b32 s76, s82, 4
	v_add_u32_e32 v82, s76, v153
	v_cmp_le_i32_e64 s[8:9], s28, v82
	s_xor_b64 s[10:11], vcc, -1
	s_or_b64 s[8:9], s[8:9], s[10:11]
	s_and_saveexec_b64 s[78:79], s[8:9]
	s_xor_b64 s[8:9], exec, s[78:79]
	s_cbranch_execz .LBB9_20
; %bb.19:                               ;   in Loop: Header=BB9_15 Depth=1
	ds_write_b32 v124, v147
.LBB9_20:                               ;   in Loop: Header=BB9_15 Depth=1
	s_andn2_saveexec_b64 s[8:9], s[8:9]
	s_cbranch_execz .LBB9_22
; %bb.21:                               ;   in Loop: Header=BB9_15 Depth=1
	v_mad_u64_u32 v[2:3], s[78:79], v82, s55, v[58:59]
	v_ashrrev_i32_e32 v3, 31, v2
	v_lshlrev_b64 v[2:3], 3, v[2:3]
	v_mov_b32_e32 v4, s80
	v_add_co_u32_e32 v2, vcc, s50, v2
	v_addc_co_u32_e32 v3, vcc, v4, v3, vcc
	global_load_dwordx2 v[2:3], v[2:3], off
	s_waitcnt vmcnt(0)
	v_cvt_f16_f32_e32 v2, v2
	v_cvt_f16_f32_e32 v3, v3
	v_pack_b32_f16 v2, v2, v3
	v_pk_mul_f16 v2, v49, v2
	ds_write_b32 v124, v2
.LBB9_22:                               ;   in Loop: Header=BB9_15 Depth=1
	s_or_b64 exec, exec, s[8:9]
	v_add_u32_e32 v80, s76, v154
	v_cmp_le_i32_e32 vcc, s28, v80
	s_or_b64 s[8:9], vcc, s[10:11]
	s_and_saveexec_b64 s[78:79], s[8:9]
	s_xor_b64 s[8:9], exec, s[78:79]
	s_cbranch_execz .LBB9_24
; %bb.23:                               ;   in Loop: Header=BB9_15 Depth=1
	ds_write_b32 v124, v147 offset:1408
.LBB9_24:                               ;   in Loop: Header=BB9_15 Depth=1
	s_andn2_saveexec_b64 s[8:9], s[8:9]
	s_cbranch_execz .LBB9_26
; %bb.25:                               ;   in Loop: Header=BB9_15 Depth=1
	v_mad_u64_u32 v[2:3], s[78:79], v80, s55, v[58:59]
	v_ashrrev_i32_e32 v3, 31, v2
	v_lshlrev_b64 v[2:3], 3, v[2:3]
	v_mov_b32_e32 v4, s80
	v_add_co_u32_e32 v2, vcc, s50, v2
	v_addc_co_u32_e32 v3, vcc, v4, v3, vcc
	global_load_dwordx2 v[2:3], v[2:3], off
	s_waitcnt vmcnt(0)
	v_cvt_f16_f32_e32 v2, v2
	v_cvt_f16_f32_e32 v3, v3
	v_pack_b32_f16 v2, v2, v3
	v_pk_mul_f16 v2, v49, v2
	ds_write_b32 v124, v2 offset:1408
.LBB9_26:                               ;   in Loop: Header=BB9_15 Depth=1
	s_or_b64 exec, exec, s[8:9]
	v_add_u32_e32 v78, s76, v117
	v_cmp_le_i32_e32 vcc, s28, v78
	s_or_b64 s[8:9], vcc, s[10:11]
	s_and_saveexec_b64 s[78:79], s[8:9]
	s_xor_b64 s[8:9], exec, s[78:79]
	s_cbranch_execz .LBB9_28
; %bb.27:                               ;   in Loop: Header=BB9_15 Depth=1
	ds_write_b32 v124, v147 offset:2816
.LBB9_28:                               ;   in Loop: Header=BB9_15 Depth=1
	s_andn2_saveexec_b64 s[8:9], s[8:9]
	s_cbranch_execz .LBB9_30
; %bb.29:                               ;   in Loop: Header=BB9_15 Depth=1
	v_mad_u64_u32 v[2:3], s[78:79], v78, s55, v[58:59]
	v_ashrrev_i32_e32 v3, 31, v2
	v_lshlrev_b64 v[2:3], 3, v[2:3]
	v_mov_b32_e32 v4, s80
	v_add_co_u32_e32 v2, vcc, s50, v2
	v_addc_co_u32_e32 v3, vcc, v4, v3, vcc
	global_load_dwordx2 v[2:3], v[2:3], off
	s_waitcnt vmcnt(0)
	v_cvt_f16_f32_e32 v2, v2
	v_cvt_f16_f32_e32 v3, v3
	v_pack_b32_f16 v2, v2, v3
	v_pk_mul_f16 v2, v49, v2
	ds_write_b32 v124, v2 offset:2816
.LBB9_30:                               ;   in Loop: Header=BB9_15 Depth=1
	;; [unrolled: 27-line block ×7, first 2 shown]
	s_or_b64 exec, exec, s[8:9]
	v_or_b32_e32 v65, s81, v48
	v_cmp_gt_i32_e32 vcc, s33, v65
	v_add_u32_e32 v31, s76, v121
	s_xor_b64 s[8:9], vcc, -1
	v_cmp_le_i32_e32 vcc, s28, v31
	s_or_b64 s[10:11], vcc, s[8:9]
	s_and_saveexec_b64 s[78:79], s[10:11]
	s_xor_b64 s[10:11], exec, s[78:79]
	s_cbranch_execz .LBB9_52
; %bb.51:                               ;   in Loop: Header=BB9_15 Depth=1
	ds_write_b32 v105, v147 offset:128
.LBB9_52:                               ;   in Loop: Header=BB9_15 Depth=1
	s_andn2_saveexec_b64 s[10:11], s[10:11]
	s_cbranch_execz .LBB9_54
; %bb.53:                               ;   in Loop: Header=BB9_15 Depth=1
	v_mad_u64_u32 v[2:3], s[78:79], v31, s55, v[50:51]
	v_ashrrev_i32_e32 v3, 31, v2
	v_lshlrev_b64 v[2:3], 3, v[2:3]
	v_mov_b32_e32 v4, s80
	v_add_co_u32_e32 v2, vcc, s50, v2
	v_addc_co_u32_e32 v3, vcc, v4, v3, vcc
	global_load_dwordx2 v[2:3], v[2:3], off
	s_waitcnt vmcnt(0)
	v_cvt_f16_f32_e32 v2, v2
	v_cvt_f16_f32_e32 v3, v3
	v_pack_b32_f16 v2, v2, v3
	v_pk_mul_f16 v2, v49, v2
	ds_write_b32 v105, v2 offset:128
.LBB9_54:                               ;   in Loop: Header=BB9_15 Depth=1
	s_or_b64 exec, exec, s[10:11]
	v_add_u32_e32 v59, s76, v122
	v_cmp_le_i32_e32 vcc, s28, v59
	s_or_b64 s[8:9], vcc, s[8:9]
	s_and_saveexec_b64 s[10:11], s[8:9]
	s_xor_b64 s[8:9], exec, s[10:11]
	s_cbranch_execz .LBB9_56
; %bb.55:                               ;   in Loop: Header=BB9_15 Depth=1
	ds_write_b32 v106, v147 offset:128
.LBB9_56:                               ;   in Loop: Header=BB9_15 Depth=1
	s_andn2_saveexec_b64 s[8:9], s[8:9]
	s_cbranch_execz .LBB9_58
; %bb.57:                               ;   in Loop: Header=BB9_15 Depth=1
	v_mad_u64_u32 v[2:3], s[10:11], v59, s55, v[50:51]
	v_ashrrev_i32_e32 v3, 31, v2
	v_lshlrev_b64 v[2:3], 3, v[2:3]
	v_mov_b32_e32 v4, s80
	v_add_co_u32_e32 v2, vcc, s50, v2
	v_addc_co_u32_e32 v3, vcc, v4, v3, vcc
	global_load_dwordx2 v[2:3], v[2:3], off
	s_waitcnt vmcnt(0)
	v_cvt_f16_f32_e32 v2, v2
	v_cvt_f16_f32_e32 v3, v3
	v_pack_b32_f16 v2, v2, v3
	v_pk_mul_f16 v2, v49, v2
	ds_write_b32 v106, v2 offset:128
.LBB9_58:                               ;   in Loop: Header=BB9_15 Depth=1
	s_or_b64 exec, exec, s[8:9]
	s_waitcnt lgkmcnt(0)
	s_barrier
	ds_read2_b64 v[6:9], v146 offset1:4
	ds_read2_b64 v[2:5], v146 offset0:8 offset1:12
	ds_read_b64 v[66:67], v146 offset:128
	s_add_i32 s75, s53, -1
	v_add_u32_e32 v12, s76, v51
	v_add_u32_e32 v10, s76, v149
	s_cmp_gt_i32 s75, s74
	v_mul_hi_u32 v13, s42, v12
	v_mul_hi_u32 v11, s42, v10
	s_waitcnt lgkmcnt(0)
	s_barrier
	s_cbranch_scc1 .LBB9_62
; %bb.59:                               ;   in Loop: Header=BB9_15 Depth=1
	v_add_u32_e32 v14, v12, v13
	v_lshrrev_b32_e32 v14, s43, v14
	v_mul_lo_u32 v14, v14, s28
	v_sub_u32_e32 v14, v12, v14
	v_mad_i64_i32 v[68:69], s[8:9], v14, s44, 0
	v_add_u32_e32 v14, v10, v11
	v_lshrrev_b32_e32 v14, s43, v14
	v_mul_lo_u32 v14, v14, s28
	v_sub_u32_e32 v14, v10, v14
	v_mad_i64_i32 v[70:71], s[8:9], v14, s44, 0
	s_mov_b64 s[8:9], 0
	s_mov_b32 s10, 0xfeffffff
	s_mov_b32 s76, 0
	;; [unrolled: 1-line block ×3, first 2 shown]
	s_branch .LBB9_63
.LBB9_60:                               ;   in Loop: Header=BB9_15 Depth=1
	s_mov_b64 s[10:11], 0
                                        ; implicit-def: $vgpr2_vgpr3
                                        ; implicit-def: $vgpr59
	s_cbranch_execnz .LBB9_126
.LBB9_61:                               ;   in Loop: Header=BB9_15 Depth=1
	v_readlane_b32 s52, v192, 34
	s_and_saveexec_b64 s[4:5], s[10:11]
	s_cbranch_execz .LBB9_14
	s_branch .LBB9_232
.LBB9_62:                               ;   in Loop: Header=BB9_15 Depth=1
	s_mov_b64 s[8:9], -1
                                        ; implicit-def: $sgpr11
                                        ; implicit-def: $sgpr76
                                        ; implicit-def: $sgpr10
                                        ; implicit-def: $vgpr68_vgpr69
                                        ; implicit-def: $vgpr70_vgpr71
.LBB9_63:                               ;   in Loop: Header=BB9_15 Depth=1
	s_andn2_b64 vcc, exec, s[8:9]
	v_mov_b32_e32 v165, s11
	v_mov_b32_e32 v23, s76
	;; [unrolled: 1-line block ×12, first 2 shown]
	s_cbranch_vccnz .LBB9_71
; %bb.64:                               ;   in Loop: Header=BB9_15 Depth=1
	v_add_u32_e32 v11, v10, v11
	v_lshrrev_b32_e32 v11, s43, v11
	v_mul_lo_u32 v11, v11, s28
	v_lshlrev_b32_e32 v14, 1, v38
	v_sub_u32_e32 v10, v10, v11
	v_add_co_u32_e32 v89, vcc, v64, v14
	v_mad_i64_i32 v[70:71], s[8:9], v10, s44, 0
	v_and_b32_e32 v10, 64, v155
	v_addc_co_u32_e32 v158, vcc, 0, v157, vcc
	v_add_u32_e32 v10, 64, v10
	v_xor_b32_e32 v11, 32, v155
	v_add_u32_e32 v13, v12, v13
	v_cmp_lt_i32_e32 vcc, v11, v10
	v_lshrrev_b32_e32 v13, s43, v13
	v_cndmask_b32_e32 v11, v155, v11, vcc
	v_mul_lo_u32 v13, v13, s28
	v_lshlrev_b32_e32 v159, 2, v11
	v_xor_b32_e32 v11, 16, v155
	v_sub_u32_e32 v12, v12, v13
	v_cmp_lt_i32_e32 vcc, v11, v10
	v_mad_i64_i32 v[68:69], s[8:9], v12, s44, 0
	v_cndmask_b32_e32 v10, v155, v11, vcc
	v_mov_b32_e32 v86, 0
	v_lshlrev_b32_e32 v160, 2, v10
	s_lshl_b32 s8, s74, 6
	v_mov_b32_e32 v168, 0
	v_mov_b32_e32 v169, 0xfeffffff
	;; [unrolled: 1-line block ×11, first 2 shown]
.LBB9_65:                               ;   Parent Loop BB9_15 Depth=1
                                        ; =>  This Inner Loop Header: Depth=2
	s_ashr_i32 s9, s8, 31
	s_lshl_b64 s[10:11], s[8:9], 1
	v_add_co_u32_e32 v12, vcc, s10, v89
	v_mov_b32_e32 v10, s11
	v_addc_co_u32_e32 v13, vcc, v158, v10, vcc
	v_lshlrev_b64 v[10:11], 1, v[68:69]
	v_add_co_u32_e32 v10, vcc, v12, v10
	v_addc_co_u32_e32 v11, vcc, v13, v11, vcc
	global_load_dword v10, v[10:11], off
	v_add_u32_e32 v14, v123, v148
	s_mul_hi_i32 s11, s8, s40
	s_mul_i32 s10, s8, s40
	s_lshl_b64 s[10:11], s[10:11], 2
	s_add_u32 s76, s52, s10
	s_addc_u32 s9, s62, s11
	s_waitcnt vmcnt(0)
	ds_write_b32 v14, v10 offset:11264
	v_lshlrev_b64 v[10:11], 1, v[70:71]
	v_add_co_u32_e32 v10, vcc, v12, v10
	v_addc_co_u32_e32 v11, vcc, v13, v11, vcc
	global_load_dword v10, v[10:11], off
	s_waitcnt vmcnt(0)
	ds_write_b32 v14, v10 offset:12416
	s_and_saveexec_b64 s[10:11], s[0:1]
	s_cbranch_execz .LBB9_67
; %bb.66:                               ;   in Loop: Header=BB9_65 Depth=2
	v_mov_b32_e32 v10, s9
	v_add_co_u32_e32 v11, vcc, s76, v36
	v_addc_co_u32_e32 v12, vcc, v10, v37, vcc
	v_lshlrev_b32_e32 v10, 2, v28
	v_add_co_u32_e32 v10, vcc, v11, v10
	v_addc_co_u32_e32 v11, vcc, 0, v12, vcc
	global_load_dwordx4 v[10:13], v[10:11], off offset:128
	s_waitcnt vmcnt(0)
	ds_write_b128 v61, v[10:13]
.LBB9_67:                               ;   in Loop: Header=BB9_65 Depth=2
	s_or_b64 exec, exec, s[10:11]
	v_add_co_u32_e32 v10, vcc, s76, v44
	v_mov_b32_e32 v11, s9
	v_addc_co_u32_e32 v11, vcc, v11, v45, vcc
	v_lshlrev_b32_e32 v167, 2, v30
	v_add_co_u32_e32 v10, vcc, v10, v167
	v_addc_co_u32_e32 v11, vcc, 0, v11, vcc
	global_load_dwordx4 v[10:13], v[10:11], off
	v_add_u32_e32 v18, 0x800, v53
	v_add_u32_e32 v72, 0x1000, v53
	s_mul_hi_i32 s11, s8, s30
	s_mul_i32 s10, s8, s30
	s_lshl_b64 s[10:11], s[10:11], 2
	s_waitcnt vmcnt(0)
	ds_write_b128 v103, v[10:13]
	v_add_co_u32_e32 v10, vcc, s76, v46
	v_mov_b32_e32 v11, s9
	v_addc_co_u32_e32 v11, vcc, v11, v47, vcc
	v_add_co_u32_e32 v10, vcc, v10, v167
	v_addc_co_u32_e32 v11, vcc, 0, v11, vcc
	global_load_dwordx4 v[10:13], v[10:11], off
	s_add_u32 s76, s57, s10
	s_addc_u32 s9, s94, s11
	s_waitcnt vmcnt(0)
	ds_write_b128 v104, v[10:13]
	s_waitcnt lgkmcnt(0)
	s_barrier
	ds_read2_b64 v[10:13], v53 offset1:4
	s_waitcnt lgkmcnt(0)
	v_mfma_f32_16x16x16f16 v[14:17], v[10:11], v[6:7], 0
	v_mfma_f32_16x16x16f16 v[10:13], v[12:13], v[8:9], v[14:17]
	s_nop 7
	s_nop 1
	ds_read2_b64 v[14:17], v53 offset0:8 offset1:12
	s_waitcnt lgkmcnt(0)
	v_mfma_f32_16x16x16f16 v[10:13], v[14:15], v[2:3], v[10:13]
	ds_read_b64 v[14:15], v53 offset:128
	v_mfma_f32_16x16x16f16 v[10:13], v[16:17], v[4:5], v[10:13]
	s_waitcnt lgkmcnt(0)
	v_mfma_f32_16x16x16f16 v[22:25], v[14:15], v[66:67], v[10:13]
	s_nop 7
	s_nop 0
	ds_read2_b64 v[10:13], v18 offset0:96 offset1:100
	s_waitcnt lgkmcnt(0)
	v_mfma_f32_16x16x16f16 v[14:17], v[10:11], v[6:7], 0
	v_mfma_f32_16x16x16f16 v[10:13], v[12:13], v[8:9], v[14:17]
	s_nop 7
	s_nop 1
	ds_read2_b64 v[14:17], v18 offset0:104 offset1:108
	s_waitcnt lgkmcnt(0)
	v_mfma_f32_16x16x16f16 v[10:13], v[14:15], v[2:3], v[10:13]
	ds_read_b64 v[14:15], v53 offset:2944
	v_mfma_f32_16x16x16f16 v[10:13], v[16:17], v[4:5], v[10:13]
	s_waitcnt lgkmcnt(0)
	v_mfma_f32_16x16x16f16 v[18:21], v[14:15], v[66:67], v[10:13]
	s_nop 7
	s_nop 0
	ds_read2_b64 v[10:13], v72 offset0:192 offset1:196
	s_waitcnt lgkmcnt(0)
	v_mfma_f32_16x16x16f16 v[14:17], v[10:11], v[6:7], 0
	v_mfma_f32_16x16x16f16 v[10:13], v[12:13], v[8:9], v[14:17]
	s_nop 7
	s_nop 1
	ds_read2_b64 v[14:17], v72 offset0:200 offset1:204
	s_waitcnt lgkmcnt(0)
	v_mfma_f32_16x16x16f16 v[10:13], v[14:15], v[2:3], v[10:13]
	ds_read_b64 v[14:15], v53 offset:5760
	v_add_u32_e32 v72, 0x2000, v53
	v_mfma_f32_16x16x16f16 v[10:13], v[16:17], v[4:5], v[10:13]
	s_waitcnt lgkmcnt(0)
	v_mfma_f32_16x16x16f16 v[14:17], v[14:15], v[66:67], v[10:13]
	s_nop 7
	s_nop 0
	ds_read2_b64 v[10:13], v72 offset0:32 offset1:36
	s_waitcnt lgkmcnt(0)
	v_mfma_f32_16x16x16f16 v[170:173], v[10:11], v[6:7], 0
	v_mfma_f32_16x16x16f16 v[10:13], v[12:13], v[8:9], v[170:173]
	s_nop 7
	s_nop 1
	ds_read2_b64 v[170:173], v72 offset0:40 offset1:44
	s_waitcnt lgkmcnt(0)
	v_mfma_f32_16x16x16f16 v[10:13], v[170:171], v[2:3], v[10:13]
	ds_read_b64 v[72:73], v53 offset:8576
	s_waitcnt lgkmcnt(0)
	s_barrier
	v_mfma_f32_16x16x16f16 v[10:13], v[172:173], v[4:5], v[10:13]
	v_mfma_f32_16x16x16f16 v[10:13], v[72:73], v[66:67], v[10:13]
	ds_read_b32 v176, v63 offset:11264
	ds_read_b32 v72, v79 offset:11264
	v_add_u32_e32 v73, 0x2c00, v150
	ds_read2_b32 v[170:171], v73 offset1:1
	v_add_u32_e32 v73, 0x2c00, v151
	ds_read2_b32 v[172:173], v73 offset1:1
	;; [unrolled: 2-line block ×3, first 2 shown]
	s_waitcnt lgkmcnt(3)
	v_cvt_f32_f16_sdwa v73, v72 dst_sel:DWORD dst_unused:UNUSED_PAD src0_sel:WORD_1
	v_cvt_f32_f16_e32 v72, v72
	v_pk_add_f32 v[24:25], v[24:25], v[72:73]
	v_cvt_f32_f16_sdwa v73, v176 dst_sel:DWORD dst_unused:UNUSED_PAD src0_sel:WORD_1
	v_cvt_f32_f16_e32 v72, v176
	v_add_f32_e32 v177, 0x40051340, v24
	v_add_f32_e32 v178, 0x40051340, v25
	v_pk_add_f32 v[72:73], v[22:23], v[72:73]
	v_add_f32_e32 v22, 0x40051340, v72
	v_add_f32_e32 v23, 0x40051340, v73
	v_max3_f32 v22, v169, v22, v23
	v_max3_f32 v176, v22, v177, v178
	s_waitcnt lgkmcnt(2)
	v_cvt_f32_f16_e32 v22, v171
	v_cvt_f32_f16_sdwa v23, v171 dst_sel:DWORD dst_unused:UNUSED_PAD src0_sel:WORD_1
	v_pk_add_f32 v[20:21], v[20:21], v[22:23]
	v_cvt_f32_f16_e32 v22, v170
	v_cvt_f32_f16_sdwa v23, v170 dst_sel:DWORD dst_unused:UNUSED_PAD src0_sel:WORD_1
	v_add_f32_e32 v171, 0x40051340, v20
	v_add_f32_e32 v177, 0x40051340, v21
	v_pk_add_f32 v[18:19], v[18:19], v[22:23]
	v_add_f32_e32 v22, 0x40051340, v18
	v_add_f32_e32 v23, 0x40051340, v19
	v_max3_f32 v22, v176, v22, v23
	v_max3_f32 v170, v22, v171, v177
	s_waitcnt lgkmcnt(1)
	v_cvt_f32_f16_e32 v22, v173
	v_cvt_f32_f16_sdwa v23, v173 dst_sel:DWORD dst_unused:UNUSED_PAD src0_sel:WORD_1
	v_pk_add_f32 v[16:17], v[16:17], v[22:23]
	v_cvt_f32_f16_e32 v22, v172
	v_cvt_f32_f16_sdwa v23, v172 dst_sel:DWORD dst_unused:UNUSED_PAD src0_sel:WORD_1
	;; [unrolled: 13-line block ×3, first 2 shown]
	v_add_f32_e32 v171, 0x40051340, v12
	v_add_f32_e32 v172, 0x40051340, v13
	v_pk_add_f32 v[10:11], v[10:11], v[22:23]
	v_add_f32_e32 v22, 0x40051340, v10
	v_add_f32_e32 v23, 0x40051340, v11
	v_max3_f32 v22, v170, v22, v23
	v_max3_f32 v22, v22, v171, v172
	ds_bpermute_b32 v23, v159, v22
	s_waitcnt lgkmcnt(0)
	v_max_f32_e32 v23, v23, v23
	v_max_f32_e32 v22, v22, v23
	ds_bpermute_b32 v23, v160, v22
	s_and_saveexec_b64 s[10:11], s[0:1]
	s_cbranch_execz .LBB9_69
; %bb.68:                               ;   in Loop: Header=BB9_65 Depth=2
	v_mov_b32_e32 v170, s9
	v_add_co_u32_e32 v171, vcc, s76, v34
	v_addc_co_u32_e32 v172, vcc, v170, v35, vcc
	v_lshlrev_b32_e32 v170, 2, v28
	v_add_co_u32_e32 v170, vcc, v171, v170
	v_addc_co_u32_e32 v171, vcc, 0, v172, vcc
	global_load_dwordx4 v[170:173], v[170:171], off offset:128
	s_waitcnt vmcnt(0)
	ds_write_b128 v61, v[170:173]
.LBB9_69:                               ;   in Loop: Header=BB9_65 Depth=2
	s_or_b64 exec, exec, s[10:11]
	s_waitcnt lgkmcnt(0)
	v_max_f32_e32 v23, v23, v23
	v_max_f32_e32 v22, v22, v22
	v_max_f32_e32 v22, v22, v23
	v_pk_add_f32 v[72:73], v[72:73], v[22:23] op_sel_hi:[1,0] neg_lo:[0,1] neg_hi:[0,1]
	v_mul_f32_e32 v23, 0x3fb8aa3b, v73
	v_fma_f32 v170, v73, s45, -v23
	v_rndne_f32_e32 v171, v23
	v_fmac_f32_e32 v170, 0x32a5705f, v73
	v_sub_f32_e32 v23, v23, v171
	v_add_f32_e32 v23, v23, v170
	v_exp_f32_e32 v23, v23
	v_cvt_i32_f32_e32 v170, v171
	v_cmp_ngt_f32_e32 vcc, s63, v73
	s_add_i32 s74, s74, 1
	s_add_i32 s8, s8, 64
	v_ldexp_f32 v23, v23, v170
	v_cndmask_b32_e32 v23, 0, v23, vcc
	v_cmp_nlt_f32_e32 vcc, s64, v73
	v_cndmask_b32_e32 v170, v156, v23, vcc
	v_mul_f32_e32 v23, 0x3fb8aa3b, v72
	v_fma_f32 v73, v72, s45, -v23
	v_rndne_f32_e32 v171, v23
	v_fmac_f32_e32 v73, 0x32a5705f, v72
	v_sub_f32_e32 v23, v23, v171
	v_add_f32_e32 v23, v23, v73
	v_exp_f32_e32 v23, v23
	v_cvt_i32_f32_e32 v73, v171
	v_cmp_ngt_f32_e32 vcc, s63, v72
	s_cmp_lt_i32 s74, s75
	v_ldexp_f32 v23, v23, v73
	v_cndmask_b32_e32 v23, 0, v23, vcc
	v_cmp_nlt_f32_e32 vcc, s64, v72
	v_pk_add_f32 v[24:25], v[24:25], v[22:23] op_sel_hi:[1,0] neg_lo:[0,1] neg_hi:[0,1]
	v_cndmask_b32_e32 v171, v156, v23, vcc
	v_mul_f32_e32 v23, 0x3fb8aa3b, v25
	v_fma_f32 v72, v25, s45, -v23
	v_rndne_f32_e32 v73, v23
	v_fmac_f32_e32 v72, 0x32a5705f, v25
	v_sub_f32_e32 v23, v23, v73
	v_add_f32_e32 v23, v23, v72
	v_exp_f32_e32 v23, v23
	v_cvt_i32_f32_e32 v72, v73
	v_cmp_ngt_f32_e32 vcc, s63, v25
	v_ldexp_f32 v23, v23, v72
	v_cndmask_b32_e32 v23, 0, v23, vcc
	v_cmp_nlt_f32_e32 vcc, s64, v25
	v_cndmask_b32_e32 v172, v156, v23, vcc
	v_mul_f32_e32 v23, 0x3fb8aa3b, v24
	v_fma_f32 v25, v24, s45, -v23
	v_rndne_f32_e32 v72, v23
	v_fmac_f32_e32 v25, 0x32a5705f, v24
	v_sub_f32_e32 v23, v23, v72
	v_add_f32_e32 v23, v23, v25
	v_exp_f32_e32 v23, v23
	v_cvt_i32_f32_e32 v25, v72
	v_cmp_ngt_f32_e32 vcc, s63, v24
	v_ldexp_f32 v23, v23, v25
	v_cndmask_b32_e32 v23, 0, v23, vcc
	v_cmp_nlt_f32_e32 vcc, s64, v24
	v_pk_add_f32 v[18:19], v[18:19], v[22:23] op_sel_hi:[1,0] neg_lo:[0,1] neg_hi:[0,1]
	v_cndmask_b32_e32 v173, v156, v23, vcc
	v_mul_f32_e32 v23, 0x3fb8aa3b, v19
	v_fma_f32 v24, v19, s45, -v23
	v_rndne_f32_e32 v25, v23
	v_fmac_f32_e32 v24, 0x32a5705f, v19
	v_sub_f32_e32 v23, v23, v25
	v_add_f32_e32 v23, v23, v24
	v_exp_f32_e32 v23, v23
	v_cvt_i32_f32_e32 v24, v25
	v_cmp_ngt_f32_e32 vcc, s63, v19
	v_ldexp_f32 v23, v23, v24
	v_cndmask_b32_e32 v23, 0, v23, vcc
	v_cmp_nlt_f32_e32 vcc, s64, v19
	v_mul_f32_e32 v19, 0x3fb8aa3b, v18
	v_cndmask_b32_e32 v174, v156, v23, vcc
	v_fma_f32 v23, v18, s45, -v19
	v_rndne_f32_e32 v24, v19
	v_fmac_f32_e32 v23, 0x32a5705f, v18
	v_sub_f32_e32 v19, v19, v24
	v_add_f32_e32 v19, v19, v23
	v_exp_f32_e32 v19, v19
	v_cvt_i32_f32_e32 v23, v24
	v_cmp_ngt_f32_e32 vcc, s63, v18
	v_ldexp_f32 v19, v19, v23
	v_cndmask_b32_e32 v19, 0, v19, vcc
	v_cmp_nlt_f32_e32 vcc, s64, v18
	v_cndmask_b32_e32 v175, v156, v19, vcc
	v_pk_add_f32 v[18:19], v[20:21], v[22:23] op_sel_hi:[1,0] neg_lo:[0,1] neg_hi:[0,1]
	v_mul_f32_e32 v20, 0x3fb8aa3b, v19
	v_fma_f32 v21, v19, s45, -v20
	v_rndne_f32_e32 v23, v20
	v_fmac_f32_e32 v21, 0x32a5705f, v19
	v_sub_f32_e32 v20, v20, v23
	v_add_f32_e32 v20, v20, v21
	v_exp_f32_e32 v20, v20
	v_cvt_i32_f32_e32 v21, v23
	v_cmp_ngt_f32_e32 vcc, s63, v19
	v_pk_add_f32 v[14:15], v[14:15], v[22:23] op_sel_hi:[1,0] neg_lo:[0,1] neg_hi:[0,1]
	v_pk_add_f32 v[10:11], v[10:11], v[22:23] op_sel_hi:[1,0] neg_lo:[0,1] neg_hi:[0,1]
	v_ldexp_f32 v20, v20, v21
	v_cndmask_b32_e32 v20, 0, v20, vcc
	v_cmp_nlt_f32_e32 vcc, s64, v19
	v_mul_f32_e32 v19, 0x3fb8aa3b, v18
	v_cndmask_b32_e32 v176, v156, v20, vcc
	v_fma_f32 v20, v18, s45, -v19
	v_rndne_f32_e32 v21, v19
	v_fmac_f32_e32 v20, 0x32a5705f, v18
	v_sub_f32_e32 v19, v19, v21
	v_add_f32_e32 v19, v19, v20
	v_exp_f32_e32 v19, v19
	v_cvt_i32_f32_e32 v20, v21
	v_cmp_ngt_f32_e32 vcc, s63, v18
	v_ldexp_f32 v19, v19, v20
	v_cndmask_b32_e32 v19, 0, v19, vcc
	v_cmp_nlt_f32_e32 vcc, s64, v18
	v_mul_f32_e32 v18, 0x3fb8aa3b, v15
	v_cndmask_b32_e32 v177, v156, v19, vcc
	v_fma_f32 v19, v15, s45, -v18
	v_rndne_f32_e32 v20, v18
	v_fmac_f32_e32 v19, 0x32a5705f, v15
	v_sub_f32_e32 v18, v18, v20
	v_add_f32_e32 v18, v18, v19
	v_exp_f32_e32 v18, v18
	v_cvt_i32_f32_e32 v19, v20
	v_cmp_ngt_f32_e32 vcc, s63, v15
	;; [unrolled: 13-line block ×3, first 2 shown]
	v_ldexp_f32 v15, v15, v18
	v_cndmask_b32_e32 v15, 0, v15, vcc
	v_cmp_nlt_f32_e32 vcc, s64, v14
	v_cndmask_b32_e32 v179, v156, v15, vcc
	v_pk_add_f32 v[14:15], v[16:17], v[22:23] op_sel_hi:[1,0] neg_lo:[0,1] neg_hi:[0,1]
	v_mul_f32_e32 v16, 0x3fb8aa3b, v15
	v_fma_f32 v17, v15, s45, -v16
	v_rndne_f32_e32 v18, v16
	v_fmac_f32_e32 v17, 0x32a5705f, v15
	v_sub_f32_e32 v16, v16, v18
	v_add_f32_e32 v16, v16, v17
	v_exp_f32_e32 v16, v16
	v_cvt_i32_f32_e32 v17, v18
	v_cmp_ngt_f32_e32 vcc, s63, v15
	v_ldexp_f32 v16, v16, v17
	v_cndmask_b32_e32 v16, 0, v16, vcc
	v_cmp_nlt_f32_e32 vcc, s64, v15
	v_cndmask_b32_e32 v15, v156, v16, vcc
	v_mul_f32_e32 v16, 0x3fb8aa3b, v14
	v_fma_f32 v17, v14, s45, -v16
	v_rndne_f32_e32 v18, v16
	v_fmac_f32_e32 v17, 0x32a5705f, v14
	v_sub_f32_e32 v16, v16, v18
	v_add_f32_e32 v16, v16, v17
	v_exp_f32_e32 v16, v16
	v_cvt_i32_f32_e32 v17, v18
	v_cmp_ngt_f32_e32 vcc, s63, v14
	v_ldexp_f32 v16, v16, v17
	v_cndmask_b32_e32 v16, 0, v16, vcc
	v_cmp_nlt_f32_e32 vcc, s64, v14
	v_cndmask_b32_e32 v14, v156, v16, vcc
	v_mul_f32_e32 v16, 0x3fb8aa3b, v11
	v_fma_f32 v17, v11, s45, -v16
	v_rndne_f32_e32 v18, v16
	v_fmac_f32_e32 v17, 0x32a5705f, v11
	v_sub_f32_e32 v16, v16, v18
	v_add_f32_e32 v16, v16, v17
	v_exp_f32_e32 v16, v16
	v_cvt_i32_f32_e32 v17, v18
	v_cmp_ngt_f32_e32 vcc, s63, v11
	v_ldexp_f32 v16, v16, v17
	v_cndmask_b32_e32 v16, 0, v16, vcc
	v_cmp_nlt_f32_e32 vcc, s64, v11
	v_mul_f32_e32 v11, 0x3fb8aa3b, v10
	v_fma_f32 v17, v10, s45, -v11
	v_rndne_f32_e32 v18, v11
	v_fmac_f32_e32 v17, 0x32a5705f, v10
	v_sub_f32_e32 v11, v11, v18
	v_add_f32_e32 v11, v11, v17
	v_exp_f32_e32 v11, v11
	v_cvt_i32_f32_e32 v17, v18
	v_cndmask_b32_e32 v16, v156, v16, vcc
	v_cmp_ngt_f32_e32 vcc, s63, v10
	v_ldexp_f32 v11, v11, v17
	v_cndmask_b32_e32 v11, 0, v11, vcc
	v_cmp_nlt_f32_e32 vcc, s64, v10
	v_cndmask_b32_e32 v17, v156, v11, vcc
	v_pk_add_f32 v[10:11], v[12:13], v[22:23] op_sel_hi:[1,0] neg_lo:[0,1] neg_hi:[0,1]
	v_mul_f32_e32 v12, 0x3fb8aa3b, v11
	v_fma_f32 v13, v11, s45, -v12
	v_rndne_f32_e32 v18, v12
	v_fmac_f32_e32 v13, 0x32a5705f, v11
	v_sub_f32_e32 v12, v12, v18
	v_add_f32_e32 v12, v12, v13
	v_exp_f32_e32 v12, v12
	v_cvt_i32_f32_e32 v13, v18
	v_cmp_ngt_f32_e32 vcc, s63, v11
	v_ldexp_f32 v12, v12, v13
	v_cndmask_b32_e32 v12, 0, v12, vcc
	v_cmp_nlt_f32_e32 vcc, s64, v11
	v_cndmask_b32_e32 v11, v156, v12, vcc
	v_mul_f32_e32 v12, 0x3fb8aa3b, v10
	v_fma_f32 v13, v10, s45, -v12
	v_rndne_f32_e32 v18, v12
	v_fmac_f32_e32 v13, 0x32a5705f, v10
	v_sub_f32_e32 v12, v12, v18
	v_add_f32_e32 v12, v12, v13
	v_exp_f32_e32 v12, v12
	v_cvt_i32_f32_e32 v13, v18
	v_cmp_ngt_f32_e32 vcc, s63, v10
	v_ldexp_f32 v12, v12, v13
	v_cndmask_b32_e32 v12, 0, v12, vcc
	v_cmp_nlt_f32_e32 vcc, s64, v10
	v_add_f32_e32 v10, v171, v170
	v_add_f32_e32 v10, v173, v10
	;; [unrolled: 1-line block ×12, first 2 shown]
	v_cndmask_b32_e32 v12, v156, v12, vcc
	v_add_f32_e32 v10, v16, v10
	v_add_f32_e32 v10, v12, v10
	;; [unrolled: 1-line block ×3, first 2 shown]
	v_sub_f32_e32 v10, v169, v22
	v_mul_f32_e32 v13, 0x3fb8aa3b, v10
	v_fma_f32 v18, v10, s45, -v13
	v_rndne_f32_e32 v19, v13
	v_fmac_f32_e32 v18, 0x32a5705f, v10
	v_sub_f32_e32 v13, v13, v19
	v_add_f32_e32 v13, v13, v18
	v_exp_f32_e32 v13, v13
	v_cvt_i32_f32_e32 v18, v19
	v_cmp_ngt_f32_e32 vcc, s63, v10
	v_cvt_f16_f32_e32 v11, v11
	v_cvt_f16_f32_e32 v12, v12
	v_ldexp_f32 v13, v13, v18
	v_cndmask_b32_e32 v13, 0, v13, vcc
	v_cmp_nlt_f32_e32 vcc, s64, v10
	v_cndmask_b32_e32 v13, v156, v13, vcc
	v_cmp_le_f32_e32 vcc, s65, v10
	v_cndmask_b32_e32 v10, 0, v13, vcc
	v_fmac_f32_e32 v23, v168, v10
	v_cvt_f16_f32_e32 v10, v10
	v_cvt_f16_f32_e32 v13, v17
	v_pack_b32_f16 v11, v12, v11
	v_cvt_f16_f32_e32 v12, v178
	v_pk_mul_f16 v84, v10, v84 op_sel_hi:[0,1]
	v_pk_mul_f16 v83, v10, v83 op_sel_hi:[0,1]
	;; [unrolled: 1-line block ×10, first 2 shown]
	v_cvt_f16_f32_e32 v10, v16
	v_cvt_f16_f32_e32 v14, v14
	;; [unrolled: 1-line block ×4, first 2 shown]
	v_pack_b32_f16 v10, v13, v10
	v_cvt_f16_f32_e32 v13, v179
	v_cvt_f16_f32_e32 v86, v173
	v_mov_b32_e32 v88, s9
	v_pack_b32_f16 v12, v13, v12
	v_cvt_f16_f32_e32 v13, v15
	v_cvt_f16_f32_e32 v15, v175
	v_pack_b32_f16 v13, v14, v13
	v_cvt_f16_f32_e32 v14, v174
	v_pack_b32_f16 v14, v15, v14
	;; [unrolled: 2-line block ×5, first 2 shown]
	v_add_co_u32_e32 v86, vcc, s76, v40
	v_addc_co_u32_e32 v88, vcc, v88, v41, vcc
	v_add_co_u32_e32 v162, vcc, v86, v167
	v_addc_co_u32_e32 v163, vcc, 0, v88, vcc
	global_load_dwordx4 v[162:165], v[162:163], off
	v_add_co_u32_e32 v86, vcc, s76, v42
	v_mov_b32_e32 v88, s9
	v_addc_co_u32_e32 v88, vcc, v88, v43, vcc
	s_waitcnt vmcnt(0)
	ds_write_b128 v103, v[162:165]
	v_add_co_u32_e32 v162, vcc, v86, v167
	v_addc_co_u32_e32 v163, vcc, 0, v88, vcc
	global_load_dwordx4 v[162:165], v[162:163], off
	s_waitcnt vmcnt(0)
	ds_write_b128 v104, v[162:165]
	s_waitcnt lgkmcnt(0)
	s_barrier
	ds_read_u16 v86, v85 offset:352
	v_cvt_f32_f16_e32 v164, v83
	v_cvt_f32_f16_sdwa v165, v83 dst_sel:DWORD dst_unused:UNUSED_PAD src0_sel:WORD_1
	ds_read_u16 v83, v87
	ds_read_u16 v88, v87 offset:32
	v_cvt_f32_f16_e32 v162, v84
	v_cvt_f32_f16_sdwa v163, v84 dst_sel:DWORD dst_unused:UNUSED_PAD src0_sel:WORD_1
	s_waitcnt lgkmcnt(1)
	v_perm_b32 v167, v83, v86, s51
	ds_read_u16 v83, v81
	ds_read_u16 v86, v81 offset:32
	ds_read_u16 v84, v85 offset:176
	;; [unrolled: 1-line block ×3, first 2 shown]
	s_waitcnt lgkmcnt(1)
	v_perm_b32 v166, v84, v83, s51
	s_nop 1
	v_mfma_f32_16x16x16f16 v[162:165], v[166:167], v[16:17], v[162:165]
	ds_read_u16 v166, v81 offset:2816
	ds_read_u16 v168, v85 offset:2992
	;; [unrolled: 1-line block ×4, first 2 shown]
	s_waitcnt lgkmcnt(2)
	v_perm_b32 v166, v168, v166, s51
	s_waitcnt lgkmcnt(0)
	v_perm_b32 v167, v169, v167, s51
	s_nop 2
	v_cvt_f16_f32_e32 v83, v162
	v_cvt_f16_f32_e32 v84, v163
	;; [unrolled: 1-line block ×4, first 2 shown]
	v_cvt_f32_f16_e32 v162, v83
	v_cvt_f32_f16_e32 v163, v84
	;; [unrolled: 1-line block ×4, first 2 shown]
	s_nop 1
	v_mfma_f32_16x16x16f16 v[162:165], v[166:167], v[14:15], v[162:165]
	ds_read_u16 v166, v81 offset:5632
	ds_read_u16 v168, v85 offset:5808
	;; [unrolled: 1-line block ×4, first 2 shown]
	s_waitcnt lgkmcnt(2)
	v_perm_b32 v166, v168, v166, s51
	s_waitcnt lgkmcnt(0)
	v_perm_b32 v167, v169, v167, s51
	s_nop 2
	v_cvt_f16_f32_e32 v83, v162
	v_cvt_f16_f32_e32 v84, v163
	;; [unrolled: 1-line block ×4, first 2 shown]
	v_cvt_f32_f16_e32 v162, v83
	v_cvt_f32_f16_e32 v163, v84
	;; [unrolled: 1-line block ×4, first 2 shown]
	s_nop 1
	v_mfma_f32_16x16x16f16 v[162:165], v[166:167], v[12:13], v[162:165]
	ds_read_u16 v166, v81 offset:8448
	ds_read_u16 v168, v85 offset:8624
	;; [unrolled: 1-line block ×4, first 2 shown]
	s_waitcnt lgkmcnt(2)
	v_perm_b32 v166, v168, v166, s51
	s_waitcnt lgkmcnt(0)
	v_perm_b32 v167, v169, v167, s51
	v_cvt_f32_f16_sdwa v169, v18 dst_sel:DWORD dst_unused:UNUSED_PAD src0_sel:WORD_1
	s_nop 1
	v_cvt_f16_f32_e32 v83, v162
	v_cvt_f16_f32_e32 v84, v163
	;; [unrolled: 1-line block ×4, first 2 shown]
	v_cvt_f32_f16_e32 v162, v83
	v_cvt_f32_f16_e32 v163, v84
	;; [unrolled: 1-line block ×4, first 2 shown]
	s_nop 1
	v_mfma_f32_16x16x16f16 v[162:165], v[166:167], v[10:11], v[162:165]
	ds_read_u16 v166, v93 offset:352
	s_nop 7
	s_nop 1
	v_cvt_f16_f32_e32 v83, v162
	v_cvt_f16_f32_e32 v84, v163
	;; [unrolled: 1-line block ×4, first 2 shown]
	v_cvt_f32_f16_e32 v164, v72
	v_pack_b32_f16 v84, v83, v84
	v_cvt_f32_f16_sdwa v165, v72 dst_sel:DWORD dst_unused:UNUSED_PAD src0_sel:WORD_1
	v_pack_b32_f16 v83, v162, v163
	v_cvt_f32_f16_e32 v162, v73
	v_cvt_f32_f16_sdwa v163, v73 dst_sel:DWORD dst_unused:UNUSED_PAD src0_sel:WORD_1
	s_waitcnt lgkmcnt(0)
	v_perm_b32 v73, v88, v166, s51
	v_perm_b32 v72, v161, v86, s51
	ds_read_u16 v161, v81 offset:2848
	ds_read_u16 v166, v85 offset:3024
	ds_read_u16 v167, v94 offset:352
	ds_read_u16 v168, v87 offset:2848
	v_mfma_f32_16x16x16f16 v[162:165], v[72:73], v[16:17], v[162:165]
	s_nop 7
	s_nop 2
	v_cvt_f16_f32_e32 v72, v162
	v_cvt_f16_f32_e32 v73, v163
	v_cvt_f16_f32_e32 v86, v164
	v_cvt_f16_f32_e32 v88, v165
	v_cvt_f32_f16_e32 v162, v72
	v_cvt_f32_f16_e32 v163, v73
	s_waitcnt lgkmcnt(0)
	v_perm_b32 v73, v168, v167, s51
	v_perm_b32 v72, v166, v161, s51
	v_cvt_f32_f16_e32 v164, v86
	v_cvt_f32_f16_e32 v165, v88
	ds_read_u16 v161, v81 offset:5664
	ds_read_u16 v166, v85 offset:5840
	ds_read_u16 v167, v95 offset:352
	ds_read_u16 v168, v87 offset:5664
	v_mfma_f32_16x16x16f16 v[162:165], v[72:73], v[14:15], v[162:165]
	s_nop 7
	s_nop 2
	v_cvt_f16_f32_e32 v72, v162
	v_cvt_f16_f32_e32 v73, v163
	v_cvt_f16_f32_e32 v86, v164
	v_cvt_f16_f32_e32 v88, v165
	v_cvt_f32_f16_e32 v162, v72
	v_cvt_f32_f16_e32 v163, v73
	s_waitcnt lgkmcnt(0)
	v_perm_b32 v73, v168, v167, s51
	v_perm_b32 v72, v166, v161, s51
	v_cvt_f32_f16_e32 v164, v86
	v_cvt_f32_f16_e32 v165, v88
	;; [unrolled: 18-line block ×3, first 2 shown]
	s_nop 1
	v_mfma_f32_16x16x16f16 v[162:165], v[72:73], v[10:11], v[162:165]
	s_nop 7
	s_nop 2
	v_cvt_f16_f32_e32 v72, v162
	v_cvt_f16_f32_e32 v73, v163
	;; [unrolled: 1-line block ×4, first 2 shown]
	v_cvt_f32_f16_e32 v162, v25
	v_pack_b32_f16 v86, v72, v73
	v_cvt_f32_f16_sdwa v163, v25 dst_sel:DWORD dst_unused:UNUSED_PAD src0_sel:WORD_1
	v_pack_b32_f16 v88, v88, v161
	ds_read_u16 v72, v81 offset:64
	ds_read_u16 v73, v85 offset:240
	;; [unrolled: 1-line block ×4, first 2 shown]
	v_cvt_f32_f16_e32 v164, v24
	v_cvt_f32_f16_sdwa v165, v24 dst_sel:DWORD dst_unused:UNUSED_PAD src0_sel:WORD_1
	s_waitcnt lgkmcnt(2)
	v_perm_b32 v24, v73, v72, s51
	s_waitcnt lgkmcnt(0)
	v_perm_b32 v25, v166, v161, s51
	ds_read_u16 v161, v81 offset:2880
	ds_read_u16 v166, v85 offset:3056
	ds_read_u16 v167, v98 offset:352
	ds_read_u16 v168, v87 offset:2880
	v_mfma_f32_16x16x16f16 v[162:165], v[24:25], v[16:17], v[162:165]
	s_nop 7
	s_nop 2
	v_cvt_f16_f32_e32 v24, v162
	v_cvt_f16_f32_e32 v25, v163
	v_cvt_f16_f32_e32 v72, v164
	v_cvt_f16_f32_e32 v73, v165
	v_cvt_f32_f16_e32 v162, v24
	v_cvt_f32_f16_e32 v163, v25
	s_waitcnt lgkmcnt(0)
	v_perm_b32 v25, v168, v167, s51
	v_perm_b32 v24, v166, v161, s51
	v_cvt_f32_f16_e32 v164, v72
	v_cvt_f32_f16_e32 v165, v73
	ds_read_u16 v161, v81 offset:5696
	ds_read_u16 v166, v85 offset:5872
	ds_read_u16 v167, v99 offset:352
	ds_read_u16 v168, v87 offset:5696
	v_mfma_f32_16x16x16f16 v[162:165], v[24:25], v[14:15], v[162:165]
	s_nop 7
	s_nop 2
	v_cvt_f16_f32_e32 v24, v162
	v_cvt_f16_f32_e32 v25, v163
	v_cvt_f16_f32_e32 v72, v164
	v_cvt_f16_f32_e32 v73, v165
	v_cvt_f32_f16_e32 v162, v24
	v_cvt_f32_f16_e32 v163, v25
	s_waitcnt lgkmcnt(0)
	v_perm_b32 v25, v168, v167, s51
	v_perm_b32 v24, v166, v161, s51
	v_cvt_f32_f16_e32 v164, v72
	v_cvt_f32_f16_e32 v165, v73
	;; [unrolled: 18-line block ×3, first 2 shown]
	v_cvt_f32_f16_e32 v166, v20
	v_cvt_f32_f16_sdwa v167, v20 dst_sel:DWORD dst_unused:UNUSED_PAD src0_sel:WORD_1
	v_mfma_f32_16x16x16f16 v[162:165], v[24:25], v[10:11], v[162:165]
	s_nop 7
	s_nop 2
	v_cvt_f16_f32_e32 v24, v162
	v_cvt_f16_f32_e32 v25, v163
	v_cvt_f16_f32_e32 v72, v164
	v_cvt_f16_f32_e32 v73, v165
	v_cvt_f32_f16_e32 v164, v21
	v_pack_b32_f16 v162, v24, v25
	v_cvt_f32_f16_sdwa v165, v21 dst_sel:DWORD dst_unused:UNUSED_PAD src0_sel:WORD_1
	v_pack_b32_f16 v161, v72, v73
	ds_read_u16 v24, v81 offset:96
	ds_read_u16 v25, v85 offset:272
	ds_read_u16 v72, v101 offset:352
	ds_read_u16 v73, v87 offset:96
	s_waitcnt lgkmcnt(2)
	v_perm_b32 v20, v25, v24, s51
	s_waitcnt lgkmcnt(0)
	v_perm_b32 v21, v73, v72, s51
	ds_read_u16 v72, v81 offset:2912
	ds_read_u16 v73, v85 offset:3088
	ds_read_u16 v163, v102 offset:352
	ds_read_u16 v168, v87 offset:2912
	v_mfma_f32_16x16x16f16 v[164:167], v[20:21], v[16:17], v[164:167]
	s_nop 7
	s_nop 2
	v_cvt_f16_f32_e32 v20, v164
	v_cvt_f16_f32_e32 v21, v165
	v_cvt_f16_f32_e32 v24, v166
	v_cvt_f16_f32_e32 v25, v167
	v_cvt_f32_f16_e32 v164, v20
	v_cvt_f32_f16_e32 v165, v21
	s_waitcnt lgkmcnt(0)
	v_perm_b32 v21, v168, v163, s51
	v_perm_b32 v20, v73, v72, s51
	v_cvt_f32_f16_e32 v166, v24
	v_cvt_f32_f16_e32 v167, v25
	ds_read_u16 v72, v81 offset:5728
	ds_read_u16 v73, v85 offset:5904
	ds_read_u16 v163, v109 offset:352
	ds_read_u16 v168, v87 offset:5728
	v_mfma_f32_16x16x16f16 v[164:167], v[20:21], v[14:15], v[164:167]
	s_nop 7
	s_nop 2
	v_cvt_f16_f32_e32 v20, v164
	v_cvt_f16_f32_e32 v21, v165
	v_cvt_f16_f32_e32 v24, v166
	v_cvt_f16_f32_e32 v25, v167
	v_cvt_f32_f16_e32 v164, v20
	v_cvt_f32_f16_e32 v165, v21
	s_waitcnt lgkmcnt(0)
	v_perm_b32 v21, v168, v163, s51
	v_perm_b32 v20, v73, v72, s51
	v_cvt_f32_f16_e32 v166, v24
	v_cvt_f32_f16_e32 v167, v25
	;; [unrolled: 18-line block ×3, first 2 shown]
	v_cvt_f32_f16_e32 v168, v18
	s_nop 0
	v_mfma_f32_16x16x16f16 v[164:167], v[20:21], v[10:11], v[164:167]
	s_nop 7
	s_nop 2
	v_cvt_f16_f32_e32 v20, v164
	v_cvt_f16_f32_e32 v21, v165
	v_cvt_f16_f32_e32 v24, v166
	v_cvt_f16_f32_e32 v25, v167
	v_cvt_f32_f16_e32 v166, v19
	v_pack_b32_f16 v164, v20, v21
	v_cvt_f32_f16_sdwa v167, v19 dst_sel:DWORD dst_unused:UNUSED_PAD src0_sel:WORD_1
	v_pack_b32_f16 v163, v24, v25
	ds_read_u16 v20, v81 offset:128
	ds_read_u16 v21, v85 offset:304
	;; [unrolled: 1-line block ×4, first 2 shown]
	s_waitcnt lgkmcnt(2)
	v_perm_b32 v18, v21, v20, s51
	s_waitcnt lgkmcnt(0)
	v_perm_b32 v19, v25, v24, s51
	ds_read_u16 v20, v81 offset:2944
	ds_read_u16 v24, v85 offset:3120
	;; [unrolled: 1-line block ×4, first 2 shown]
	v_mfma_f32_16x16x16f16 v[16:19], v[18:19], v[16:17], v[166:169]
	s_waitcnt lgkmcnt(0)
	v_perm_b32 v21, v25, v21, s51
	v_perm_b32 v20, v24, v20, s51
	s_nop 7
	v_cvt_f16_f32_e32 v16, v16
	v_cvt_f16_f32_e32 v17, v17
	;; [unrolled: 1-line block ×4, first 2 shown]
	v_cvt_f32_f16_e32 v16, v16
	v_cvt_f32_f16_e32 v17, v17
	;; [unrolled: 1-line block ×4, first 2 shown]
	s_nop 1
	v_mfma_f32_16x16x16f16 v[14:17], v[20:21], v[14:15], v[16:19]
	s_nop 6
	ds_read_u16 v18, v81 offset:5760
	ds_read_u16 v20, v85 offset:5936
	;; [unrolled: 1-line block ×4, first 2 shown]
	s_waitcnt lgkmcnt(2)
	v_perm_b32 v18, v20, v18, s51
	s_waitcnt lgkmcnt(0)
	v_perm_b32 v19, v21, v19, s51
	v_cvt_f16_f32_e32 v14, v14
	v_cvt_f16_f32_e32 v15, v15
	;; [unrolled: 1-line block ×4, first 2 shown]
	v_cvt_f32_f16_e32 v14, v14
	v_cvt_f32_f16_e32 v15, v15
	;; [unrolled: 1-line block ×4, first 2 shown]
	s_nop 1
	v_mfma_f32_16x16x16f16 v[14:17], v[18:19], v[12:13], v[14:17]
	s_nop 7
	s_nop 2
	v_cvt_f16_f32_e32 v13, v14
	v_cvt_f16_f32_e32 v14, v15
	;; [unrolled: 1-line block ×4, first 2 shown]
	ds_read_u16 v12, v81 offset:8576
	ds_read_u16 v17, v85 offset:8752
	;; [unrolled: 1-line block ×4, first 2 shown]
	v_cvt_f32_f16_e32 v166, v13
	v_cvt_f32_f16_e32 v167, v14
	s_waitcnt lgkmcnt(2)
	v_perm_b32 v12, v17, v12, s51
	v_cvt_f32_f16_e32 v168, v15
	s_waitcnt lgkmcnt(0)
	v_perm_b32 v13, v19, v18, s51
	v_cvt_f32_f16_e32 v169, v16
	s_barrier
	s_nop 0
	v_mfma_f32_16x16x16f16 v[10:13], v[12:13], v[10:11], v[166:169]
	s_nop 7
	s_nop 2
	v_cvt_f16_f32_e32 v10, v10
	v_cvt_f16_f32_e32 v11, v11
	;; [unrolled: 1-line block ×4, first 2 shown]
	v_pack_b32_f16 v166, v10, v11
	v_pack_b32_f16 v165, v12, v13
	s_cbranch_scc0 .LBB9_71
; %bb.70:                               ;   in Loop: Header=BB9_65 Depth=2
	v_mov_b32_e32 v168, v23
	v_mov_b32_e32 v169, v22
	s_branch .LBB9_65
.LBB9_71:                               ;   in Loop: Header=BB9_15 Depth=1
	s_lshl_b32 s8, s74, 6
	s_ashr_i32 s9, s8, 31
	s_lshl_b64 s[10:11], s[8:9], 1
	v_mov_b32_e32 v10, s11
	v_add_co_u32_e32 v11, vcc, s10, v64
	v_addc_co_u32_e32 v10, vcc, v157, v10, vcc
	v_lshlrev_b32_e32 v12, 1, v38
	v_add_co_u32_e32 v14, vcc, v11, v12
	v_addc_co_u32_e32 v15, vcc, 0, v10, vcc
	v_lshlrev_b64 v[10:11], 1, v[68:69]
	v_add_co_u32_e32 v10, vcc, v14, v10
	v_addc_co_u32_e32 v11, vcc, v15, v11, vcc
	v_lshlrev_b64 v[12:13], 1, v[70:71]
	v_add_co_u32_e32 v12, vcc, v14, v12
	v_addc_co_u32_e32 v13, vcc, v15, v13, vcc
	global_load_dword v10, v[10:11], off
	s_nop 0
	global_load_dword v11, v[12:13], off
	s_mul_hi_i32 s11, s40, s8
	s_mul_i32 s10, s40, s8
	s_lshl_b64 s[10:11], s[10:11], 2
	s_add_u32 s74, s52, s10
	v_add_u32_e32 v12, v123, v148
	s_addc_u32 s9, s62, s11
	s_waitcnt vmcnt(1)
	ds_write_b32 v12, v10 offset:11264
	s_waitcnt vmcnt(0)
	ds_write_b32 v12, v11 offset:12416
	s_and_saveexec_b64 s[10:11], s[0:1]
	s_cbranch_execz .LBB9_73
; %bb.72:                               ;   in Loop: Header=BB9_15 Depth=1
	v_mov_b32_e32 v10, s9
	v_add_co_u32_e32 v11, vcc, s74, v36
	v_addc_co_u32_e32 v12, vcc, v10, v37, vcc
	v_lshlrev_b32_e32 v10, 2, v28
	v_add_co_u32_e32 v10, vcc, v11, v10
	v_addc_co_u32_e32 v11, vcc, 0, v12, vcc
	global_load_dwordx4 v[10:13], v[10:11], off offset:128
	s_waitcnt vmcnt(0)
	ds_write_b128 v107, v[10:13]
.LBB9_73:                               ;   in Loop: Header=BB9_15 Depth=1
	s_or_b64 exec, exec, s[10:11]
	v_add_co_u32_e32 v10, vcc, s74, v44
	v_mov_b32_e32 v11, s9
	v_addc_co_u32_e32 v11, vcc, v11, v45, vcc
	v_lshlrev_b32_e32 v68, 2, v30
	v_add_co_u32_e32 v10, vcc, v10, v68
	v_addc_co_u32_e32 v11, vcc, 0, v11, vcc
	global_load_dwordx4 v[10:13], v[10:11], off
	v_add_u32_e32 v24, 0x800, v53
	s_waitcnt vmcnt(0)
	ds_write_b128 v103, v[10:13]
	v_add_co_u32_e32 v10, vcc, s74, v46
	v_mov_b32_e32 v11, s9
	v_addc_co_u32_e32 v11, vcc, v11, v47, vcc
	v_add_co_u32_e32 v10, vcc, v10, v68
	v_addc_co_u32_e32 v11, vcc, 0, v11, vcc
	global_load_dwordx4 v[10:13], v[10:11], off
	s_mul_hi_i32 s9, s8, s30
	s_mul_i32 s8, s8, s30
	s_lshl_b64 s[8:9], s[8:9], 2
	s_add_u32 s11, s57, s8
	s_addc_u32 s10, s94, s9
	s_waitcnt vmcnt(0)
	ds_write_b128 v104, v[10:13]
	s_waitcnt lgkmcnt(0)
	s_barrier
	ds_read2_b64 v[10:13], v53 offset1:4
	s_waitcnt lgkmcnt(0)
	v_mfma_f32_16x16x16f16 v[14:17], v[10:11], v[6:7], 0
	v_mfma_f32_16x16x16f16 v[10:13], v[12:13], v[8:9], v[14:17]
	s_nop 7
	s_nop 1
	ds_read2_b64 v[14:17], v53 offset0:8 offset1:12
	s_waitcnt lgkmcnt(0)
	v_mfma_f32_16x16x16f16 v[10:13], v[14:15], v[2:3], v[10:13]
	ds_read_b64 v[14:15], v53 offset:128
	v_mfma_f32_16x16x16f16 v[10:13], v[16:17], v[4:5], v[10:13]
	s_waitcnt lgkmcnt(0)
	v_mfma_f32_16x16x16f16 v[18:21], v[14:15], v[66:67], v[10:13]
	s_nop 7
	s_nop 0
	ds_read2_b64 v[10:13], v24 offset0:96 offset1:100
	s_waitcnt lgkmcnt(0)
	v_mfma_f32_16x16x16f16 v[14:17], v[10:11], v[6:7], 0
	v_mfma_f32_16x16x16f16 v[10:13], v[12:13], v[8:9], v[14:17]
	s_nop 7
	s_nop 1
	ds_read2_b64 v[14:17], v24 offset0:104 offset1:108
	s_waitcnt lgkmcnt(0)
	v_mfma_f32_16x16x16f16 v[10:13], v[14:15], v[2:3], v[10:13]
	ds_read_b64 v[14:15], v53 offset:2944
	v_add_u32_e32 v24, 0x1000, v53
	v_mfma_f32_16x16x16f16 v[10:13], v[16:17], v[4:5], v[10:13]
	s_waitcnt lgkmcnt(0)
	v_mfma_f32_16x16x16f16 v[14:17], v[14:15], v[66:67], v[10:13]
	s_nop 7
	s_nop 0
	ds_read2_b64 v[10:13], v24 offset0:192 offset1:196
	s_waitcnt lgkmcnt(0)
	v_mfma_f32_16x16x16f16 v[70:73], v[10:11], v[6:7], 0
	v_mfma_f32_16x16x16f16 v[10:13], v[12:13], v[8:9], v[70:73]
	s_nop 7
	s_nop 1
	ds_read2_b64 v[70:73], v24 offset0:200 offset1:204
	s_waitcnt lgkmcnt(0)
	v_mfma_f32_16x16x16f16 v[10:13], v[70:71], v[2:3], v[10:13]
	ds_read_b64 v[24:25], v53 offset:5760
	v_mfma_f32_16x16x16f16 v[10:13], v[72:73], v[4:5], v[10:13]
	s_waitcnt lgkmcnt(0)
	v_mfma_f32_16x16x16f16 v[10:13], v[24:25], v[66:67], v[10:13]
	v_add_u32_e32 v24, 0x2000, v53
	ds_read2_b64 v[70:73], v24 offset0:32 offset1:36
	v_xor_b32_e32 v25, 32, v155
	s_waitcnt lgkmcnt(0)
	v_mfma_f32_16x16x16f16 v[168:171], v[70:71], v[6:7], 0
	v_mfma_f32_16x16x16f16 v[6:9], v[72:73], v[8:9], v[168:171]
	ds_read2_b64 v[70:73], v24 offset0:40 offset1:44
	v_and_b32_e32 v24, 64, v155
	v_add_u32_e32 v24, 64, v24
	v_cmp_lt_i32_e32 vcc, v25, v24
	v_cndmask_b32_e32 v25, v155, v25, vcc
	v_lshlrev_b32_e32 v25, 2, v25
	s_waitcnt lgkmcnt(0)
	v_mfma_f32_16x16x16f16 v[6:9], v[70:71], v[2:3], v[6:9]
	v_xor_b32_e32 v71, 16, v155
	v_cmp_lt_i32_e32 vcc, v71, v24
	v_cndmask_b32_e32 v24, v155, v71, vcc
	v_lshlrev_b32_e32 v24, 2, v24
	v_mfma_f32_16x16x16f16 v[2:5], v[72:73], v[4:5], v[6:9]
	s_nop 6
	ds_read_b64 v[6:7], v53 offset:8576
	s_waitcnt lgkmcnt(0)
	s_barrier
	ds_read_b32 v69, v63 offset:11264
	ds_read_b32 v70, v79 offset:11264
	v_mfma_f32_16x16x16f16 v[2:5], v[6:7], v[66:67], v[2:5]
	s_waitcnt lgkmcnt(0)
	v_cvt_f32_f16_sdwa v71, v70 dst_sel:DWORD dst_unused:UNUSED_PAD src0_sel:WORD_1
	v_cvt_f32_f16_e32 v70, v70
	v_add_u32_e32 v6, 0x2c00, v150
	ds_read2_b32 v[6:7], v6 offset1:1
	v_add_u32_e32 v8, 0x2c00, v151
	ds_read2_b32 v[66:67], v8 offset1:1
	v_pk_add_f32 v[20:21], v[20:21], v[70:71]
	v_cvt_f32_f16_sdwa v71, v69 dst_sel:DWORD dst_unused:UNUSED_PAD src0_sel:WORD_1
	v_cvt_f32_f16_e32 v70, v69
	v_add_f32_e32 v72, 0x40051340, v20
	v_add_f32_e32 v73, 0x40051340, v21
	v_add_u32_e32 v8, 0x2c00, v152
	v_pk_add_f32 v[18:19], v[18:19], v[70:71]
	v_add_f32_e32 v69, 0x40051340, v18
	v_add_f32_e32 v70, 0x40051340, v19
	v_max3_f32 v69, v22, v69, v70
	s_waitcnt lgkmcnt(1)
	v_cvt_f32_f16_e32 v70, v7
	v_cvt_f32_f16_sdwa v71, v7 dst_sel:DWORD dst_unused:UNUSED_PAD src0_sel:WORD_1
	v_max3_f32 v69, v69, v72, v73
	ds_read2_b32 v[8:9], v8 offset1:1
	v_pk_add_f32 v[16:17], v[16:17], v[70:71]
	v_cvt_f32_f16_e32 v70, v6
	v_cvt_f32_f16_sdwa v71, v6 dst_sel:DWORD dst_unused:UNUSED_PAD src0_sel:WORD_1
	v_add_f32_e32 v7, 0x40051340, v16
	v_add_f32_e32 v72, 0x40051340, v17
	v_pk_add_f32 v[14:15], v[14:15], v[70:71]
	v_add_f32_e32 v6, 0x40051340, v14
	v_add_f32_e32 v70, 0x40051340, v15
	v_max3_f32 v6, v69, v6, v70
	v_max3_f32 v69, v6, v7, v72
	s_waitcnt lgkmcnt(1)
	v_cvt_f32_f16_e32 v6, v67
	v_cvt_f32_f16_sdwa v7, v67 dst_sel:DWORD dst_unused:UNUSED_PAD src0_sel:WORD_1
	v_pk_add_f32 v[6:7], v[12:13], v[6:7]
	v_cvt_f32_f16_e32 v12, v66
	v_cvt_f32_f16_sdwa v13, v66 dst_sel:DWORD dst_unused:UNUSED_PAD src0_sel:WORD_1
	v_add_f32_e32 v67, 0x40051340, v6
	v_add_f32_e32 v70, 0x40051340, v7
	v_pk_add_f32 v[10:11], v[10:11], v[12:13]
	v_add_f32_e32 v12, 0x40051340, v10
	v_add_f32_e32 v13, 0x40051340, v11
	v_max3_f32 v12, v69, v12, v13
	v_max3_f32 v66, v12, v67, v70
	s_waitcnt lgkmcnt(0)
	v_cvt_f32_f16_e32 v12, v9
	v_cvt_f32_f16_sdwa v13, v9 dst_sel:DWORD dst_unused:UNUSED_PAD src0_sel:WORD_1
	v_pk_add_f32 v[4:5], v[4:5], v[12:13]
	v_cvt_f32_f16_e32 v12, v8
	v_cvt_f32_f16_sdwa v13, v8 dst_sel:DWORD dst_unused:UNUSED_PAD src0_sel:WORD_1
	v_add_f32_e32 v67, 0x40051340, v4
	v_add_f32_e32 v69, 0x40051340, v5
	v_pk_add_f32 v[8:9], v[2:3], v[12:13]
	v_add_f32_e32 v2, 0x40051340, v8
	v_add_f32_e32 v3, 0x40051340, v9
	v_max3_f32 v2, v66, v2, v3
	v_max3_f32 v2, v2, v67, v69
	ds_bpermute_b32 v3, v25, v2
	s_waitcnt lgkmcnt(0)
	v_max_f32_e32 v3, v3, v3
	v_max_f32_e32 v2, v2, v3
	ds_bpermute_b32 v3, v24, v2
	s_and_saveexec_b64 s[8:9], s[0:1]
	s_cbranch_execz .LBB9_75
; %bb.74:                               ;   in Loop: Header=BB9_15 Depth=1
	v_mov_b32_e32 v12, s10
	v_add_co_u32_e32 v13, vcc, s11, v34
	v_addc_co_u32_e32 v66, vcc, v12, v35, vcc
	v_lshlrev_b32_e32 v12, 2, v28
	v_add_co_u32_e32 v12, vcc, v13, v12
	v_addc_co_u32_e32 v13, vcc, 0, v66, vcc
	global_load_dwordx4 v[70:73], v[12:13], off offset:128
	s_waitcnt vmcnt(0)
	ds_write_b128 v61, v[70:73]
.LBB9_75:                               ;   in Loop: Header=BB9_15 Depth=1
	s_or_b64 exec, exec, s[8:9]
	s_waitcnt lgkmcnt(0)
	v_max_f32_e32 v3, v3, v3
	v_max_f32_e32 v2, v2, v2
	;; [unrolled: 1-line block ×3, first 2 shown]
	v_pk_add_f32 v[12:13], v[18:19], v[2:3] op_sel_hi:[1,0] neg_lo:[0,1] neg_hi:[0,1]
	v_mul_f32_e32 v3, 0x3fb8aa3b, v13
	v_fma_f32 v18, v13, s45, -v3
	v_rndne_f32_e32 v19, v3
	v_fmac_f32_e32 v18, 0x32a5705f, v13
	v_sub_f32_e32 v3, v3, v19
	v_add_f32_e32 v3, v3, v18
	v_exp_f32_e32 v3, v3
	v_cvt_i32_f32_e32 v18, v19
	v_cmp_ngt_f32_e32 vcc, s63, v13
	s_cmp_lg_u64 s[72:73], 0
	v_ldexp_f32 v3, v3, v18
	v_cndmask_b32_e32 v3, 0, v3, vcc
	v_cmp_nlt_f32_e32 vcc, s64, v13
	v_cndmask_b32_e32 v66, v156, v3, vcc
	v_mul_f32_e32 v3, 0x3fb8aa3b, v12
	v_fma_f32 v13, v12, s45, -v3
	v_rndne_f32_e32 v18, v3
	v_fmac_f32_e32 v13, 0x32a5705f, v12
	v_sub_f32_e32 v3, v3, v18
	v_add_f32_e32 v3, v3, v13
	v_exp_f32_e32 v3, v3
	v_cvt_i32_f32_e32 v13, v18
	v_cmp_ngt_f32_e32 vcc, s63, v12
	v_ldexp_f32 v3, v3, v13
	v_cndmask_b32_e32 v3, 0, v3, vcc
	v_cmp_nlt_f32_e32 vcc, s64, v12
	v_pk_add_f32 v[12:13], v[20:21], v[2:3] op_sel_hi:[1,0] neg_lo:[0,1] neg_hi:[0,1]
	v_cndmask_b32_e32 v67, v156, v3, vcc
	v_mul_f32_e32 v3, 0x3fb8aa3b, v13
	v_fma_f32 v18, v13, s45, -v3
	v_rndne_f32_e32 v19, v3
	v_fmac_f32_e32 v18, 0x32a5705f, v13
	v_sub_f32_e32 v3, v3, v19
	v_add_f32_e32 v3, v3, v18
	v_exp_f32_e32 v3, v3
	v_cvt_i32_f32_e32 v18, v19
	v_cmp_ngt_f32_e32 vcc, s63, v13
	v_ldexp_f32 v3, v3, v18
	v_cndmask_b32_e32 v3, 0, v3, vcc
	v_cmp_nlt_f32_e32 vcc, s64, v13
	v_cndmask_b32_e32 v69, v156, v3, vcc
	v_mul_f32_e32 v3, 0x3fb8aa3b, v12
	v_fma_f32 v13, v12, s45, -v3
	v_rndne_f32_e32 v18, v3
	v_fmac_f32_e32 v13, 0x32a5705f, v12
	v_sub_f32_e32 v3, v3, v18
	v_add_f32_e32 v3, v3, v13
	v_exp_f32_e32 v3, v3
	v_cvt_i32_f32_e32 v13, v18
	v_cmp_ngt_f32_e32 vcc, s63, v12
	v_ldexp_f32 v3, v3, v13
	v_cndmask_b32_e32 v3, 0, v3, vcc
	v_cmp_nlt_f32_e32 vcc, s64, v12
	v_pk_add_f32 v[12:13], v[14:15], v[2:3] op_sel_hi:[1,0] neg_lo:[0,1] neg_hi:[0,1]
	v_cndmask_b32_e32 v70, v156, v3, vcc
	v_mul_f32_e32 v3, 0x3fb8aa3b, v13
	v_fma_f32 v14, v13, s45, -v3
	v_rndne_f32_e32 v15, v3
	v_fmac_f32_e32 v14, 0x32a5705f, v13
	v_sub_f32_e32 v3, v3, v15
	v_add_f32_e32 v3, v3, v14
	v_exp_f32_e32 v3, v3
	v_cvt_i32_f32_e32 v14, v15
	v_cmp_ngt_f32_e32 vcc, s63, v13
	;; [unrolled: 27-line block ×7, first 2 shown]
	v_ldexp_f32 v3, v3, v6
	v_cndmask_b32_e32 v3, 0, v3, vcc
	v_cmp_nlt_f32_e32 vcc, s64, v5
	v_cndmask_b32_e32 v5, v156, v3, vcc
	v_mul_f32_e32 v3, 0x3fb8aa3b, v4
	v_fma_f32 v6, v4, s45, -v3
	v_rndne_f32_e32 v7, v3
	v_fmac_f32_e32 v6, 0x32a5705f, v4
	v_sub_f32_e32 v3, v3, v7
	v_add_f32_e32 v3, v3, v6
	v_exp_f32_e32 v3, v3
	v_cvt_i32_f32_e32 v6, v7
	v_cmp_ngt_f32_e32 vcc, s63, v4
	v_ldexp_f32 v3, v3, v6
	v_cndmask_b32_e32 v3, 0, v3, vcc
	v_cmp_nlt_f32_e32 vcc, s64, v4
	v_cndmask_b32_e32 v158, v156, v3, vcc
	v_add_f32_e32 v3, v67, v66
	v_add_f32_e32 v3, v70, v3
	;; [unrolled: 1-line block ×3, first 2 shown]
	v_sub_f32_e32 v4, v22, v2
	v_add_f32_e32 v3, v72, v3
	v_mul_f32_e32 v6, 0x3fb8aa3b, v4
	v_add_f32_e32 v3, v71, v3
	v_fma_f32 v7, v4, s45, -v6
	v_rndne_f32_e32 v8, v6
	v_add_f32_e32 v3, v16, v3
	v_fmac_f32_e32 v7, 0x32a5705f, v4
	v_sub_f32_e32 v6, v6, v8
	v_add_f32_e32 v3, v13, v3
	v_add_f32_e32 v6, v6, v7
	;; [unrolled: 1-line block ×3, first 2 shown]
	v_exp_f32_e32 v6, v6
	v_cvt_i32_f32_e32 v7, v8
	v_add_f32_e32 v3, v11, v3
	v_add_f32_e32 v3, v17, v3
	;; [unrolled: 1-line block ×4, first 2 shown]
	v_ldexp_f32 v6, v6, v7
	v_cmp_ngt_f32_e32 vcc, s63, v4
	v_cvt_f16_f32_e32 v11, v11
	v_cvt_f16_f32_e32 v10, v10
	v_add_f32_e32 v3, v73, v3
	v_cndmask_b32_e32 v6, 0, v6, vcc
	v_cmp_nlt_f32_e32 vcc, s64, v4
	v_add_f32_e32 v3, v158, v3
	v_cndmask_b32_e32 v6, v156, v6, vcc
	v_cmp_le_f32_e32 vcc, s65, v4
	v_add_f32_e32 v3, v5, v3
	v_cndmask_b32_e32 v4, 0, v6, vcc
	v_fmac_f32_e32 v3, v23, v4
	v_cvt_f16_f32_e32 v4, v4
	v_pack_b32_f16 v10, v10, v11
	v_cvt_f16_f32_e32 v11, v12
	v_cvt_f16_f32_e32 v12, v17
	v_pk_mul_f16 v7, v4, v84 op_sel_hi:[0,1]
	v_pk_mul_f16 v6, v4, v83 op_sel_hi:[0,1]
	;; [unrolled: 1-line block ×10, first 2 shown]
	v_cvt_f16_f32_e32 v4, v73
	v_cvt_f16_f32_e32 v22, v89
	v_pack_b32_f16 v11, v12, v11
	v_cvt_f16_f32_e32 v12, v71
	v_cvt_f16_f32_e32 v17, v72
	;; [unrolled: 1-line block ×4, first 2 shown]
	v_pack_b32_f16 v4, v22, v4
	v_cvt_f16_f32_e32 v5, v5
	v_cvt_f16_f32_e32 v22, v158
	v_pack_b32_f16 v12, v17, v12
	v_pack_b32_f16 v13, v16, v13
	v_cvt_f16_f32_e32 v16, v66
	v_cvt_f16_f32_e32 v17, v67
	v_pack_b32_f16 v5, v22, v5
	v_cvt_f16_f32_e32 v22, v70
	v_mov_b32_e32 v23, s10
	v_pack_b32_f16 v16, v17, v16
	v_cvt_f16_f32_e32 v17, v69
	v_pack_b32_f16 v17, v22, v17
	v_add_co_u32_e32 v22, vcc, s11, v40
	v_addc_co_u32_e32 v23, vcc, v23, v41, vcc
	v_add_co_u32_e32 v22, vcc, v22, v68
	v_addc_co_u32_e32 v23, vcc, 0, v23, vcc
	global_load_dwordx4 v[70:73], v[22:23], off
	v_add_co_u32_e32 v22, vcc, s11, v42
	v_mov_b32_e32 v23, s10
	v_addc_co_u32_e32 v23, vcc, v23, v43, vcc
	v_add_co_u32_e32 v22, vcc, v22, v68
	v_addc_co_u32_e32 v23, vcc, 0, v23, vcc
	global_load_dwordx4 v[66:69], v[22:23], off
	s_waitcnt vmcnt(1)
	ds_write_b128 v103, v[70:73]
	s_waitcnt vmcnt(0)
	ds_write_b128 v104, v[66:69]
	s_waitcnt lgkmcnt(0)
	s_barrier
	ds_read_u16 v22, v85 offset:352
	v_cvt_f32_f16_e32 v68, v6
	v_cvt_f32_f16_sdwa v69, v6 dst_sel:DWORD dst_unused:UNUSED_PAD src0_sel:WORD_1
	ds_read_u16 v6, v87
	ds_read_u16 v23, v87 offset:32
	v_cvt_f32_f16_e32 v66, v7
	v_cvt_f32_f16_sdwa v67, v7 dst_sel:DWORD dst_unused:UNUSED_PAD src0_sel:WORD_1
	s_waitcnt lgkmcnt(1)
	v_perm_b32 v7, v6, v22, s51
	ds_read_u16 v6, v81
	ds_read_u16 v22, v81 offset:32
	ds_read_u16 v70, v85 offset:176
	;; [unrolled: 1-line block ×3, first 2 shown]
	s_waitcnt lgkmcnt(1)
	v_perm_b32 v6, v70, v6, s51
	s_nop 1
	v_mfma_f32_16x16x16f16 v[66:69], v[6:7], v[16:17], v[66:69]
	ds_read_u16 v70, v81 offset:2816
	ds_read_u16 v72, v85 offset:2992
	;; [unrolled: 1-line block ×4, first 2 shown]
	s_nop 6
	v_cvt_f16_f32_e32 v6, v66
	v_cvt_f16_f32_e32 v7, v67
	;; [unrolled: 1-line block ×4, first 2 shown]
	v_cvt_f32_f16_e32 v66, v6
	v_cvt_f32_f16_e32 v67, v7
	s_waitcnt lgkmcnt(0)
	v_perm_b32 v7, v83, v73, s51
	v_perm_b32 v6, v72, v70, s51
	v_cvt_f32_f16_e32 v68, v68
	v_cvt_f32_f16_e32 v69, v69
	ds_read_u16 v70, v81 offset:5632
	ds_read_u16 v72, v85 offset:5808
	;; [unrolled: 1-line block ×4, first 2 shown]
	v_mfma_f32_16x16x16f16 v[66:69], v[6:7], v[12:13], v[66:69]
	s_nop 7
	s_nop 2
	v_cvt_f16_f32_e32 v6, v66
	v_cvt_f16_f32_e32 v7, v67
	;; [unrolled: 1-line block ×4, first 2 shown]
	v_cvt_f32_f16_e32 v66, v6
	v_cvt_f32_f16_e32 v67, v7
	s_waitcnt lgkmcnt(0)
	v_perm_b32 v7, v83, v73, s51
	v_perm_b32 v6, v72, v70, s51
	v_cvt_f32_f16_e32 v68, v68
	v_cvt_f32_f16_e32 v69, v69
	ds_read_u16 v70, v81 offset:8448
	ds_read_u16 v72, v85 offset:8624
	;; [unrolled: 1-line block ×4, first 2 shown]
	v_mfma_f32_16x16x16f16 v[66:69], v[6:7], v[10:11], v[66:69]
	s_nop 7
	s_nop 2
	v_cvt_f16_f32_e32 v6, v66
	v_cvt_f16_f32_e32 v7, v67
	;; [unrolled: 1-line block ×4, first 2 shown]
	v_cvt_f32_f16_e32 v66, v6
	v_cvt_f32_f16_e32 v67, v7
	s_waitcnt lgkmcnt(0)
	v_perm_b32 v7, v83, v73, s51
	v_perm_b32 v6, v72, v70, s51
	v_cvt_f32_f16_e32 v68, v68
	v_cvt_f32_f16_e32 v69, v69
	ds_read_u16 v70, v93 offset:352
	s_nop 0
	v_mfma_f32_16x16x16f16 v[66:69], v[6:7], v[4:5], v[66:69]
	s_nop 7
	s_nop 2
	v_cvt_f16_f32_e32 v6, v66
	v_cvt_f16_f32_e32 v7, v67
	;; [unrolled: 1-line block ×4, first 2 shown]
	v_cvt_f32_f16_e32 v68, v8
	v_pack_b32_f16 v6, v6, v7
	v_cvt_f32_f16_sdwa v69, v8 dst_sel:DWORD dst_unused:UNUSED_PAD src0_sel:WORD_1
	v_pack_b32_f16 v7, v66, v67
	v_cvt_f32_f16_e32 v66, v9
	v_cvt_f32_f16_sdwa v67, v9 dst_sel:DWORD dst_unused:UNUSED_PAD src0_sel:WORD_1
	s_waitcnt lgkmcnt(0)
	v_perm_b32 v9, v23, v70, s51
	v_perm_b32 v8, v71, v22, s51
	ds_read_u16 v70, v81 offset:2848
	ds_read_u16 v71, v85 offset:3024
	ds_read_u16 v72, v94 offset:352
	ds_read_u16 v73, v87 offset:2848
	v_mfma_f32_16x16x16f16 v[66:69], v[8:9], v[16:17], v[66:69]
	s_nop 7
	s_nop 2
	v_cvt_f16_f32_e32 v8, v66
	v_cvt_f16_f32_e32 v9, v67
	v_cvt_f16_f32_e32 v22, v68
	v_cvt_f16_f32_e32 v23, v69
	v_cvt_f32_f16_e32 v66, v8
	v_cvt_f32_f16_e32 v67, v9
	s_waitcnt lgkmcnt(0)
	v_perm_b32 v9, v73, v72, s51
	v_perm_b32 v8, v71, v70, s51
	v_cvt_f32_f16_e32 v68, v22
	v_cvt_f32_f16_e32 v69, v23
	ds_read_u16 v70, v81 offset:5664
	ds_read_u16 v71, v85 offset:5840
	ds_read_u16 v72, v95 offset:352
	ds_read_u16 v73, v87 offset:5664
	v_mfma_f32_16x16x16f16 v[66:69], v[8:9], v[12:13], v[66:69]
	s_nop 7
	s_nop 2
	v_cvt_f16_f32_e32 v8, v66
	v_cvt_f16_f32_e32 v9, v67
	v_cvt_f16_f32_e32 v22, v68
	v_cvt_f16_f32_e32 v23, v69
	v_cvt_f32_f16_e32 v66, v8
	v_cvt_f32_f16_e32 v67, v9
	s_waitcnt lgkmcnt(0)
	v_perm_b32 v9, v73, v72, s51
	v_perm_b32 v8, v71, v70, s51
	v_cvt_f32_f16_e32 v68, v22
	v_cvt_f32_f16_e32 v69, v23
	ds_read_u16 v70, v81 offset:8480
	ds_read_u16 v71, v85 offset:8656
	ds_read_u16 v72, v96 offset:352
	ds_read_u16 v73, v87 offset:8480
	v_mfma_f32_16x16x16f16 v[66:69], v[8:9], v[10:11], v[66:69]
	s_nop 7
	s_nop 2
	v_cvt_f16_f32_e32 v8, v66
	v_cvt_f16_f32_e32 v9, v67
	v_cvt_f16_f32_e32 v22, v68
	v_cvt_f16_f32_e32 v23, v69
	v_cvt_f32_f16_e32 v66, v8
	v_cvt_f32_f16_e32 v67, v9
	s_waitcnt lgkmcnt(0)
	v_perm_b32 v9, v73, v72, s51
	v_perm_b32 v8, v71, v70, s51
	v_cvt_f32_f16_e32 v68, v22
	v_cvt_f32_f16_e32 v69, v23
	s_nop 1
	v_mfma_f32_16x16x16f16 v[66:69], v[8:9], v[4:5], v[66:69]
	s_nop 7
	s_nop 2
	v_cvt_f16_f32_e32 v8, v66
	v_cvt_f16_f32_e32 v9, v67
	;; [unrolled: 1-line block ×4, first 2 shown]
	v_cvt_f32_f16_e32 v66, v15
	v_pack_b32_f16 v8, v8, v9
	v_cvt_f32_f16_sdwa v67, v15 dst_sel:DWORD dst_unused:UNUSED_PAD src0_sel:WORD_1
	v_pack_b32_f16 v9, v22, v23
	ds_read_u16 v22, v81 offset:64
	ds_read_u16 v23, v85 offset:240
	;; [unrolled: 1-line block ×4, first 2 shown]
	v_cvt_f32_f16_e32 v68, v14
	v_cvt_f32_f16_sdwa v69, v14 dst_sel:DWORD dst_unused:UNUSED_PAD src0_sel:WORD_1
	s_waitcnt lgkmcnt(2)
	v_perm_b32 v14, v23, v22, s51
	s_waitcnt lgkmcnt(0)
	v_perm_b32 v15, v71, v70, s51
	ds_read_u16 v70, v81 offset:2880
	ds_read_u16 v71, v85 offset:3056
	ds_read_u16 v72, v98 offset:352
	ds_read_u16 v73, v87 offset:2880
	v_mfma_f32_16x16x16f16 v[66:69], v[14:15], v[16:17], v[66:69]
	s_nop 7
	s_nop 2
	v_cvt_f16_f32_e32 v14, v66
	v_cvt_f16_f32_e32 v15, v67
	v_cvt_f16_f32_e32 v22, v68
	v_cvt_f16_f32_e32 v23, v69
	v_cvt_f32_f16_e32 v66, v14
	v_cvt_f32_f16_e32 v67, v15
	s_waitcnt lgkmcnt(0)
	v_perm_b32 v15, v73, v72, s51
	v_perm_b32 v14, v71, v70, s51
	v_cvt_f32_f16_e32 v68, v22
	v_cvt_f32_f16_e32 v69, v23
	ds_read_u16 v70, v81 offset:5696
	ds_read_u16 v71, v85 offset:5872
	ds_read_u16 v72, v99 offset:352
	ds_read_u16 v73, v87 offset:5696
	v_mfma_f32_16x16x16f16 v[66:69], v[14:15], v[12:13], v[66:69]
	s_nop 7
	s_nop 2
	v_cvt_f16_f32_e32 v14, v66
	v_cvt_f16_f32_e32 v15, v67
	v_cvt_f16_f32_e32 v22, v68
	v_cvt_f16_f32_e32 v23, v69
	v_cvt_f32_f16_e32 v66, v14
	v_cvt_f32_f16_e32 v67, v15
	s_waitcnt lgkmcnt(0)
	v_perm_b32 v15, v73, v72, s51
	v_perm_b32 v14, v71, v70, s51
	v_cvt_f32_f16_e32 v68, v22
	v_cvt_f32_f16_e32 v69, v23
	;; [unrolled: 18-line block ×3, first 2 shown]
	s_nop 1
	v_mfma_f32_16x16x16f16 v[66:69], v[14:15], v[4:5], v[66:69]
	s_nop 7
	s_nop 2
	v_cvt_f16_f32_e32 v14, v66
	v_cvt_f16_f32_e32 v15, v67
	;; [unrolled: 1-line block ×4, first 2 shown]
	v_cvt_f32_f16_e32 v66, v19
	v_pack_b32_f16 v14, v14, v15
	v_cvt_f32_f16_sdwa v67, v19 dst_sel:DWORD dst_unused:UNUSED_PAD src0_sel:WORD_1
	v_pack_b32_f16 v15, v22, v23
	ds_read_u16 v22, v81 offset:96
	ds_read_u16 v23, v85 offset:272
	;; [unrolled: 1-line block ×4, first 2 shown]
	v_cvt_f32_f16_e32 v68, v18
	v_cvt_f32_f16_sdwa v69, v18 dst_sel:DWORD dst_unused:UNUSED_PAD src0_sel:WORD_1
	s_waitcnt lgkmcnt(2)
	v_perm_b32 v18, v23, v22, s51
	s_waitcnt lgkmcnt(0)
	v_perm_b32 v19, v71, v70, s51
	ds_read_u16 v70, v81 offset:2912
	ds_read_u16 v71, v85 offset:3088
	ds_read_u16 v72, v102 offset:352
	ds_read_u16 v73, v87 offset:2912
	v_mfma_f32_16x16x16f16 v[66:69], v[18:19], v[16:17], v[66:69]
	s_nop 7
	s_nop 2
	v_cvt_f16_f32_e32 v18, v66
	v_cvt_f16_f32_e32 v19, v67
	v_cvt_f16_f32_e32 v22, v68
	v_cvt_f16_f32_e32 v23, v69
	v_cvt_f32_f16_e32 v66, v18
	v_cvt_f32_f16_e32 v67, v19
	s_waitcnt lgkmcnt(0)
	v_perm_b32 v19, v73, v72, s51
	v_perm_b32 v18, v71, v70, s51
	v_cvt_f32_f16_e32 v68, v22
	v_cvt_f32_f16_e32 v69, v23
	ds_read_u16 v70, v81 offset:5728
	ds_read_u16 v71, v85 offset:5904
	ds_read_u16 v72, v109 offset:352
	ds_read_u16 v73, v87 offset:5728
	v_mfma_f32_16x16x16f16 v[66:69], v[18:19], v[12:13], v[66:69]
	s_nop 7
	s_nop 2
	v_cvt_f16_f32_e32 v18, v66
	v_cvt_f16_f32_e32 v19, v67
	v_cvt_f16_f32_e32 v22, v68
	v_cvt_f16_f32_e32 v23, v69
	v_cvt_f32_f16_e32 v66, v18
	v_cvt_f32_f16_e32 v67, v19
	s_waitcnt lgkmcnt(0)
	v_perm_b32 v19, v73, v72, s51
	v_perm_b32 v18, v71, v70, s51
	v_cvt_f32_f16_e32 v68, v22
	v_cvt_f32_f16_e32 v69, v23
	;; [unrolled: 18-line block ×3, first 2 shown]
	s_nop 1
	v_mfma_f32_16x16x16f16 v[66:69], v[18:19], v[4:5], v[66:69]
	s_nop 7
	s_nop 2
	v_cvt_f16_f32_e32 v18, v66
	v_cvt_f16_f32_e32 v19, v67
	;; [unrolled: 1-line block ×4, first 2 shown]
	v_cvt_f32_f16_e32 v66, v21
	v_pack_b32_f16 v18, v18, v19
	v_cvt_f32_f16_sdwa v67, v21 dst_sel:DWORD dst_unused:UNUSED_PAD src0_sel:WORD_1
	v_pack_b32_f16 v19, v22, v23
	ds_read_u16 v22, v81 offset:128
	ds_read_u16 v23, v85 offset:304
	;; [unrolled: 1-line block ×4, first 2 shown]
	v_cvt_f32_f16_e32 v68, v20
	v_cvt_f32_f16_sdwa v69, v20 dst_sel:DWORD dst_unused:UNUSED_PAD src0_sel:WORD_1
	s_waitcnt lgkmcnt(2)
	v_perm_b32 v20, v23, v22, s51
	s_waitcnt lgkmcnt(0)
	v_perm_b32 v21, v71, v70, s51
	s_nop 1
	v_mfma_f32_16x16x16f16 v[20:23], v[20:21], v[16:17], v[66:69]
	s_nop 6
	ds_read_u16 v66, v81 offset:2944
	ds_read_u16 v67, v85 offset:3120
	ds_read_u16 v68, v112 offset:352
	ds_read_u16 v69, v87 offset:2944
	v_cvt_f16_f32_e32 v16, v20
	v_cvt_f16_f32_e32 v17, v21
	;; [unrolled: 1-line block ×4, first 2 shown]
	v_cvt_f32_f16_e32 v20, v16
	v_cvt_f32_f16_e32 v21, v17
	s_waitcnt lgkmcnt(0)
	v_perm_b32 v17, v69, v68, s51
	v_perm_b32 v16, v67, v66, s51
	v_cvt_f32_f16_e32 v22, v22
	v_cvt_f32_f16_e32 v23, v23
	ds_read_u16 v66, v81 offset:5760
	ds_read_u16 v67, v85 offset:5936
	;; [unrolled: 1-line block ×4, first 2 shown]
	v_mfma_f32_16x16x16f16 v[20:23], v[16:17], v[12:13], v[20:23]
	s_nop 7
	s_nop 2
	v_cvt_f16_f32_e32 v12, v20
	v_cvt_f16_f32_e32 v13, v21
	;; [unrolled: 1-line block ×4, first 2 shown]
	v_cvt_f32_f16_e32 v20, v12
	v_cvt_f32_f16_e32 v21, v13
	s_waitcnt lgkmcnt(0)
	v_perm_b32 v13, v69, v68, s51
	v_perm_b32 v12, v67, v66, s51
	v_cvt_f32_f16_e32 v22, v16
	v_cvt_f32_f16_e32 v23, v17
	s_nop 1
	v_mfma_f32_16x16x16f16 v[20:23], v[12:13], v[10:11], v[20:23]
	s_nop 7
	s_nop 2
	v_cvt_f16_f32_e32 v11, v20
	v_cvt_f16_f32_e32 v12, v21
	ds_read_u16 v10, v81 offset:8576
	ds_read_u16 v17, v85 offset:8752
	;; [unrolled: 1-line block ×4, first 2 shown]
	v_cvt_f16_f32_e32 v13, v22
	v_cvt_f16_f32_e32 v16, v23
	v_cvt_f32_f16_e32 v66, v11
	s_waitcnt lgkmcnt(2)
	v_perm_b32 v10, v17, v10, s51
	s_waitcnt lgkmcnt(0)
	v_perm_b32 v11, v21, v20, s51
	v_cvt_f32_f16_e32 v67, v12
	v_cvt_f32_f16_e32 v68, v13
	;; [unrolled: 1-line block ×3, first 2 shown]
	s_barrier
	s_nop 0
	v_mfma_f32_16x16x16f16 v[10:13], v[10:11], v[4:5], v[66:69]
	s_nop 7
	s_nop 2
	v_cvt_f16_f32_e32 v4, v10
	v_cvt_f16_f32_e32 v5, v11
	;; [unrolled: 1-line block ×4, first 2 shown]
	v_pack_b32_f16 v4, v4, v5
	v_pack_b32_f16 v5, v10, v11
	ds_bpermute_b32 v10, v25, v3
	s_waitcnt lgkmcnt(0)
	v_add_f32_e32 v3, v3, v10
	ds_bpermute_b32 v10, v24, v3
	s_waitcnt lgkmcnt(0)
	v_add_f32_e32 v3, v3, v10
	s_cbranch_scc0 .LBB9_233
; %bb.76:                               ;   in Loop: Header=BB9_15 Depth=1
	v_lshlrev_b32_e32 v10, 2, v54
	global_load_dword v11, v10, s[72:73]
	v_max_f32_e32 v10, v2, v2
	s_waitcnt vmcnt(0)
	v_max_f32_e32 v12, v11, v11
	v_max_f32_e32 v10, v10, v12
	v_sub_f32_e32 v12, v2, v10
	v_sub_f32_e32 v11, v11, v10
	v_mul_f32_e32 v13, 0x3fb8aa3b, v12
	v_mul_f32_e32 v16, 0x3fb8aa3b, v11
	v_fma_f32 v17, v12, s45, -v13
	v_rndne_f32_e32 v20, v13
	v_fma_f32 v21, v11, s45, -v16
	v_rndne_f32_e32 v22, v16
	v_fmac_f32_e32 v17, 0x32a5705f, v12
	v_sub_f32_e32 v13, v13, v20
	v_fmac_f32_e32 v21, 0x32a5705f, v11
	v_sub_f32_e32 v16, v16, v22
	v_add_f32_e32 v13, v13, v17
	v_cvt_i32_f32_e32 v20, v20
	v_add_f32_e32 v16, v16, v21
	v_exp_f32_e32 v13, v13
	v_cvt_i32_f32_e32 v22, v22
	v_exp_f32_e32 v16, v16
	v_cmp_ngt_f32_e32 vcc, s63, v12
	v_ldexp_f32 v13, v13, v20
	v_cndmask_b32_e32 v13, 0, v13, vcc
	v_ldexp_f32 v16, v16, v22
	v_cmp_ngt_f32_e32 vcc, s63, v11
	v_cndmask_b32_e32 v16, 0, v16, vcc
	v_cmp_nlt_f32_e32 vcc, s64, v12
	v_cndmask_b32_e32 v13, v156, v13, vcc
	v_cmp_le_f32_e32 vcc, s65, v12
	v_cndmask_b32_e32 v12, 0, v13, vcc
	v_cvt_f16_f32_e32 v25, v12
	v_cmp_nlt_f32_e32 vcc, s64, v11
	v_cndmask_b32_e32 v11, v156, v16, vcc
	v_fmac_f32_e32 v11, v3, v12
	v_pk_mul_f16 v12, v25, v6 op_sel_hi:[0,1]
	v_pk_mul_f16 v13, v25, v7 op_sel_hi:[0,1]
	;; [unrolled: 1-line block ×10, first 2 shown]
	s_cbranch_execnz .LBB9_78
.LBB9_77:                               ;   in Loop: Header=BB9_15 Depth=1
	v_pk_mov_b32 v[16:17], v[8:9], v[8:9] op_sel:[0,1]
	v_pk_mov_b32 v[12:13], v[6:7], v[6:7] op_sel:[0,1]
	v_pk_mov_b32 v[20:21], v[14:15], v[14:15] op_sel:[0,1]
	v_pk_mov_b32 v[22:23], v[18:19], v[18:19] op_sel:[0,1]
	v_pk_mov_b32 v[24:25], v[4:5], v[4:5] op_sel:[0,1]
	v_pk_mov_b32 v[10:11], v[2:3], v[2:3] op_sel:[0,1]
.LBB9_78:                               ;   in Loop: Header=BB9_15 Depth=1
	s_barrier
	s_mov_b64 s[8:9], exec
	v_readlane_b32 s10, v192, 24
	v_readlane_b32 s11, v192, 25
	s_and_b64 s[10:11], s[8:9], s[10:11]
	s_mov_b64 exec, s[10:11]
	s_cbranch_execz .LBB9_80
; %bb.79:                               ;   in Loop: Header=BB9_15 Depth=1
	global_store_dwordx2 v[32:33], v[10:11], off
.LBB9_80:                               ;   in Loop: Header=BB9_15 Depth=1
	s_or_b64 exec, exec, s[8:9]
	v_cmp_gt_i32_e64 s[8:9], s28, v82
	v_cmp_gt_i32_e64 s[10:11], s33, v27
	v_cmp_le_i32_e32 vcc, s33, v27
	s_and_b64 s[8:9], s[8:9], s[10:11]
	v_mov_b32_e32 v2, 50
	ds_write2_b32 v146, v12, v13 offset1:1
	ds_write2_b32 v146, v16, v17 offset0:8 offset1:9
	ds_write2_b32 v146, v20, v21 offset0:16 offset1:17
	;; [unrolled: 1-line block ×4, first 2 shown]
	s_waitcnt lgkmcnt(0)
	s_barrier
	s_and_saveexec_b64 s[10:11], s[8:9]
	s_cbranch_execz .LBB9_82
; %bb.81:                               ;   in Loop: Header=BB9_15 Depth=1
	ds_read_b32 v4, v124
	v_mad_u64_u32 v[2:3], s[8:9], v82, s29, v[56:57]
	v_mad_u64_u32 v[2:3], s[8:9], v2, 40, v[52:53]
	s_waitcnt lgkmcnt(0)
	v_cvt_f32_f16_sdwa v5, v4 dst_sel:DWORD dst_unused:UNUSED_PAD src0_sel:WORD_1
	v_cvt_f32_f16_e32 v4, v4
	v_ashrrev_i32_e32 v3, 31, v2
	v_lshlrev_b64 v[2:3], 3, v[2:3]
	v_mov_b32_e32 v6, s56
	v_add_co_u32_e64 v2, s[8:9], s95, v2
	v_addc_co_u32_e64 v3, s[8:9], v6, v3, s[8:9]
	v_pk_add_f32 v[4:5], v[4:5], 0 op_sel_hi:[1,0]
	global_store_dwordx2 v[2:3], v[4:5], off
	v_mov_b32_e32 v2, 0
.LBB9_82:                               ;   in Loop: Header=BB9_15 Depth=1
	s_or_b64 exec, exec, s[10:11]
	v_cmp_gt_i32_e64 s[8:9], 50, v2
	s_mov_b64 s[74:75], -1
	s_and_saveexec_b64 s[10:11], s[8:9]
; %bb.83:                               ;   in Loop: Header=BB9_15 Depth=1
	v_cmp_eq_u32_e64 s[8:9], 0, v2
	s_orn2_b64 s[74:75], s[8:9], exec
; %bb.84:                               ;   in Loop: Header=BB9_15 Depth=1
	s_or_b64 exec, exec, s[10:11]
	s_and_saveexec_b64 s[10:11], s[74:75]
	s_cbranch_execz .LBB9_117
; %bb.85:                               ;   in Loop: Header=BB9_15 Depth=1
	v_cmp_gt_i32_e64 s[8:9], s28, v80
	s_xor_b64 s[74:75], vcc, -1
	s_and_b64 s[76:77], s[8:9], s[74:75]
	v_mov_b32_e32 v2, 50
	s_and_saveexec_b64 s[8:9], s[76:77]
	s_cbranch_execz .LBB9_87
; %bb.86:                               ;   in Loop: Header=BB9_15 Depth=1
	ds_read_b32 v4, v124 offset:1408
	v_mad_u64_u32 v[2:3], s[76:77], v80, s29, v[56:57]
	v_mad_u64_u32 v[2:3], s[76:77], v2, 40, v[52:53]
	s_waitcnt lgkmcnt(0)
	v_cvt_f32_f16_sdwa v5, v4 dst_sel:DWORD dst_unused:UNUSED_PAD src0_sel:WORD_1
	v_cvt_f32_f16_e32 v4, v4
	v_ashrrev_i32_e32 v3, 31, v2
	v_lshlrev_b64 v[2:3], 3, v[2:3]
	v_mov_b32_e32 v6, s56
	v_add_co_u32_e32 v2, vcc, s95, v2
	v_addc_co_u32_e32 v3, vcc, v6, v3, vcc
	v_pk_add_f32 v[4:5], v[4:5], 0 op_sel_hi:[1,0]
	global_store_dwordx2 v[2:3], v[4:5], off
	v_mov_b32_e32 v2, 0
.LBB9_87:                               ;   in Loop: Header=BB9_15 Depth=1
	s_or_b64 exec, exec, s[8:9]
	v_cmp_gt_i32_e32 vcc, 50, v2
	s_mov_b64 s[8:9], -1
	s_and_saveexec_b64 s[76:77], vcc
; %bb.88:                               ;   in Loop: Header=BB9_15 Depth=1
	v_cmp_eq_u32_e32 vcc, 0, v2
	s_orn2_b64 s[8:9], vcc, exec
; %bb.89:                               ;   in Loop: Header=BB9_15 Depth=1
	s_or_b64 exec, exec, s[76:77]
	s_and_b64 exec, exec, s[8:9]
	s_cbranch_execz .LBB9_117
; %bb.90:                               ;   in Loop: Header=BB9_15 Depth=1
	v_cmp_gt_i32_e32 vcc, s28, v78
	s_and_b64 s[76:77], vcc, s[74:75]
	v_mov_b32_e32 v2, 50
	s_and_saveexec_b64 s[8:9], s[76:77]
	s_cbranch_execz .LBB9_92
; %bb.91:                               ;   in Loop: Header=BB9_15 Depth=1
	ds_read_b32 v4, v126
	v_mad_u64_u32 v[2:3], s[76:77], v78, s29, v[56:57]
	v_mad_u64_u32 v[2:3], s[76:77], v2, 40, v[52:53]
	s_waitcnt lgkmcnt(0)
	v_cvt_f32_f16_sdwa v5, v4 dst_sel:DWORD dst_unused:UNUSED_PAD src0_sel:WORD_1
	v_cvt_f32_f16_e32 v4, v4
	v_ashrrev_i32_e32 v3, 31, v2
	v_lshlrev_b64 v[2:3], 3, v[2:3]
	v_mov_b32_e32 v6, s56
	v_add_co_u32_e32 v2, vcc, s95, v2
	v_addc_co_u32_e32 v3, vcc, v6, v3, vcc
	v_pk_add_f32 v[4:5], v[4:5], 0 op_sel_hi:[1,0]
	global_store_dwordx2 v[2:3], v[4:5], off
	v_mov_b32_e32 v2, 0
.LBB9_92:                               ;   in Loop: Header=BB9_15 Depth=1
	s_or_b64 exec, exec, s[8:9]
	v_cmp_gt_i32_e32 vcc, 50, v2
	s_mov_b64 s[8:9], -1
	s_and_saveexec_b64 s[76:77], vcc
; %bb.93:                               ;   in Loop: Header=BB9_15 Depth=1
	v_cmp_eq_u32_e32 vcc, 0, v2
	s_orn2_b64 s[8:9], vcc, exec
; %bb.94:                               ;   in Loop: Header=BB9_15 Depth=1
	s_or_b64 exec, exec, s[76:77]
	s_and_b64 exec, exec, s[8:9]
	s_cbranch_execz .LBB9_117
; %bb.95:                               ;   in Loop: Header=BB9_15 Depth=1
	v_cmp_gt_i32_e32 vcc, s28, v77
	s_and_b64 s[76:77], vcc, s[74:75]
	v_mov_b32_e32 v2, 50
	s_and_saveexec_b64 s[8:9], s[76:77]
	s_cbranch_execz .LBB9_97
; %bb.96:                               ;   in Loop: Header=BB9_15 Depth=1
	ds_read_b32 v4, v124 offset:4224
	v_mad_u64_u32 v[2:3], s[76:77], v77, s29, v[56:57]
	v_mad_u64_u32 v[2:3], s[76:77], v2, 40, v[52:53]
	s_waitcnt lgkmcnt(0)
	v_cvt_f32_f16_sdwa v5, v4 dst_sel:DWORD dst_unused:UNUSED_PAD src0_sel:WORD_1
	v_cvt_f32_f16_e32 v4, v4
	v_ashrrev_i32_e32 v3, 31, v2
	v_lshlrev_b64 v[2:3], 3, v[2:3]
	v_mov_b32_e32 v6, s56
	v_add_co_u32_e32 v2, vcc, s95, v2
	v_addc_co_u32_e32 v3, vcc, v6, v3, vcc
	v_pk_add_f32 v[4:5], v[4:5], 0 op_sel_hi:[1,0]
	global_store_dwordx2 v[2:3], v[4:5], off
	v_mov_b32_e32 v2, 0
.LBB9_97:                               ;   in Loop: Header=BB9_15 Depth=1
	s_or_b64 exec, exec, s[8:9]
	v_cmp_gt_i32_e32 vcc, 50, v2
	s_mov_b64 s[8:9], -1
	s_and_saveexec_b64 s[76:77], vcc
; %bb.98:                               ;   in Loop: Header=BB9_15 Depth=1
	v_cmp_eq_u32_e32 vcc, 0, v2
	s_orn2_b64 s[8:9], vcc, exec
; %bb.99:                               ;   in Loop: Header=BB9_15 Depth=1
	s_or_b64 exec, exec, s[76:77]
	s_and_b64 exec, exec, s[8:9]
	s_cbranch_execz .LBB9_117
; %bb.100:                              ;   in Loop: Header=BB9_15 Depth=1
	v_cmp_gt_i32_e32 vcc, s28, v76
	s_and_b64 s[76:77], vcc, s[74:75]
	v_mov_b32_e32 v2, 50
	s_and_saveexec_b64 s[8:9], s[76:77]
	s_cbranch_execz .LBB9_102
; %bb.101:                              ;   in Loop: Header=BB9_15 Depth=1
	ds_read_b32 v4, v128
	v_mad_u64_u32 v[2:3], s[76:77], v76, s29, v[56:57]
	v_mad_u64_u32 v[2:3], s[76:77], v2, 40, v[52:53]
	s_waitcnt lgkmcnt(0)
	v_cvt_f32_f16_sdwa v5, v4 dst_sel:DWORD dst_unused:UNUSED_PAD src0_sel:WORD_1
	v_cvt_f32_f16_e32 v4, v4
	v_ashrrev_i32_e32 v3, 31, v2
	v_lshlrev_b64 v[2:3], 3, v[2:3]
	v_mov_b32_e32 v6, s56
	v_add_co_u32_e32 v2, vcc, s95, v2
	v_addc_co_u32_e32 v3, vcc, v6, v3, vcc
	v_pk_add_f32 v[4:5], v[4:5], 0 op_sel_hi:[1,0]
	global_store_dwordx2 v[2:3], v[4:5], off
	v_mov_b32_e32 v2, 0
.LBB9_102:                              ;   in Loop: Header=BB9_15 Depth=1
	s_or_b64 exec, exec, s[8:9]
	v_cmp_gt_i32_e32 vcc, 50, v2
	s_mov_b64 s[8:9], -1
	s_and_saveexec_b64 s[76:77], vcc
; %bb.103:                              ;   in Loop: Header=BB9_15 Depth=1
	v_cmp_eq_u32_e32 vcc, 0, v2
	s_orn2_b64 s[8:9], vcc, exec
; %bb.104:                              ;   in Loop: Header=BB9_15 Depth=1
	s_or_b64 exec, exec, s[76:77]
	s_and_b64 exec, exec, s[8:9]
	s_cbranch_execz .LBB9_117
; %bb.105:                              ;   in Loop: Header=BB9_15 Depth=1
	v_cmp_gt_i32_e32 vcc, s28, v75
	s_and_b64 s[76:77], vcc, s[74:75]
	v_mov_b32_e32 v2, 50
	s_and_saveexec_b64 s[8:9], s[76:77]
	s_cbranch_execz .LBB9_107
; %bb.106:                              ;   in Loop: Header=BB9_15 Depth=1
	ds_read_b32 v4, v124 offset:7040
	v_mad_u64_u32 v[2:3], s[76:77], v75, s29, v[56:57]
	v_mad_u64_u32 v[2:3], s[76:77], v2, 40, v[52:53]
	s_waitcnt lgkmcnt(0)
	v_cvt_f32_f16_sdwa v5, v4 dst_sel:DWORD dst_unused:UNUSED_PAD src0_sel:WORD_1
	v_cvt_f32_f16_e32 v4, v4
	v_ashrrev_i32_e32 v3, 31, v2
	v_lshlrev_b64 v[2:3], 3, v[2:3]
	v_mov_b32_e32 v6, s56
	v_add_co_u32_e32 v2, vcc, s95, v2
	v_addc_co_u32_e32 v3, vcc, v6, v3, vcc
	v_pk_add_f32 v[4:5], v[4:5], 0 op_sel_hi:[1,0]
	global_store_dwordx2 v[2:3], v[4:5], off
	v_mov_b32_e32 v2, 0
.LBB9_107:                              ;   in Loop: Header=BB9_15 Depth=1
	s_or_b64 exec, exec, s[8:9]
	v_cmp_gt_i32_e32 vcc, 50, v2
	s_mov_b64 s[8:9], -1
	s_and_saveexec_b64 s[76:77], vcc
; %bb.108:                              ;   in Loop: Header=BB9_15 Depth=1
	v_cmp_eq_u32_e32 vcc, 0, v2
	s_orn2_b64 s[8:9], vcc, exec
; %bb.109:                              ;   in Loop: Header=BB9_15 Depth=1
	s_or_b64 exec, exec, s[76:77]
	s_and_b64 exec, exec, s[8:9]
	s_cbranch_execz .LBB9_117
; %bb.110:                              ;   in Loop: Header=BB9_15 Depth=1
	v_cmp_gt_i32_e32 vcc, s28, v74
	s_and_b64 s[76:77], vcc, s[74:75]
	v_mov_b32_e32 v2, 50
	s_and_saveexec_b64 s[8:9], s[76:77]
	s_cbranch_execz .LBB9_112
; %bb.111:                              ;   in Loop: Header=BB9_15 Depth=1
	ds_read_b32 v4, v130
	v_mad_u64_u32 v[2:3], s[76:77], v74, s29, v[56:57]
	v_mad_u64_u32 v[2:3], s[76:77], v2, 40, v[52:53]
	s_waitcnt lgkmcnt(0)
	v_cvt_f32_f16_sdwa v5, v4 dst_sel:DWORD dst_unused:UNUSED_PAD src0_sel:WORD_1
	v_cvt_f32_f16_e32 v4, v4
	v_ashrrev_i32_e32 v3, 31, v2
	v_lshlrev_b64 v[2:3], 3, v[2:3]
	v_mov_b32_e32 v6, s56
	v_add_co_u32_e32 v2, vcc, s95, v2
	v_addc_co_u32_e32 v3, vcc, v6, v3, vcc
	v_pk_add_f32 v[4:5], v[4:5], 0 op_sel_hi:[1,0]
	global_store_dwordx2 v[2:3], v[4:5], off
	v_mov_b32_e32 v2, 0
.LBB9_112:                              ;   in Loop: Header=BB9_15 Depth=1
	s_or_b64 exec, exec, s[8:9]
	v_cmp_gt_i32_e32 vcc, 50, v2
	s_mov_b64 s[8:9], -1
	s_and_saveexec_b64 s[76:77], vcc
; %bb.113:                              ;   in Loop: Header=BB9_15 Depth=1
	v_cmp_eq_u32_e32 vcc, 0, v2
	s_orn2_b64 s[8:9], vcc, exec
; %bb.114:                              ;   in Loop: Header=BB9_15 Depth=1
	s_or_b64 exec, exec, s[76:77]
	s_and_b64 exec, exec, s[8:9]
	s_cbranch_execz .LBB9_117
; %bb.115:                              ;   in Loop: Header=BB9_15 Depth=1
	v_cmp_gt_i32_e32 vcc, s28, v29
	s_and_b64 s[8:9], vcc, s[74:75]
	s_and_b64 exec, exec, s[8:9]
	s_cbranch_execz .LBB9_117
; %bb.116:                              ;   in Loop: Header=BB9_15 Depth=1
	ds_read_b32 v4, v124 offset:9856
	v_mad_u64_u32 v[2:3], s[8:9], v29, s29, v[56:57]
	v_mad_u64_u32 v[2:3], s[8:9], v2, 40, v[52:53]
	s_waitcnt lgkmcnt(0)
	v_cvt_f32_f16_sdwa v5, v4 dst_sel:DWORD dst_unused:UNUSED_PAD src0_sel:WORD_1
	v_cvt_f32_f16_e32 v4, v4
	v_ashrrev_i32_e32 v3, 31, v2
	v_lshlrev_b64 v[2:3], 3, v[2:3]
	v_mov_b32_e32 v6, s56
	v_add_co_u32_e32 v2, vcc, s95, v2
	v_addc_co_u32_e32 v3, vcc, v6, v3, vcc
	v_pk_add_f32 v[4:5], v[4:5], 0 op_sel_hi:[1,0]
	global_store_dwordx2 v[2:3], v[4:5], off
.LBB9_117:                              ;   in Loop: Header=BB9_15 Depth=1
	s_or_b64 exec, exec, s[10:11]
	v_cmp_gt_i32_e64 s[8:9], s33, v65
	v_cmp_gt_i32_e64 s[10:11], s28, v31
	v_cmp_le_i32_e32 vcc, s33, v65
	s_and_b64 s[8:9], s[10:11], s[8:9]
	v_mov_b32_e32 v2, 50
	s_and_saveexec_b64 s[10:11], s[8:9]
	s_cbranch_execz .LBB9_119
; %bb.118:                              ;   in Loop: Header=BB9_15 Depth=1
	ds_read_b32 v4, v105 offset:128
	v_mad_u64_u32 v[2:3], s[8:9], v31, s29, v[48:49]
	v_mul_lo_u32 v2, v2, 40
	v_ashrrev_i32_e32 v3, 31, v2
	s_waitcnt lgkmcnt(0)
	v_cvt_f32_f16_sdwa v5, v4 dst_sel:DWORD dst_unused:UNUSED_PAD src0_sel:WORD_1
	v_cvt_f32_f16_e32 v4, v4
	v_or_b32_e32 v3, 0, v3
	v_or_b32_e32 v2, v2, v26
	v_lshlrev_b64 v[2:3], 3, v[2:3]
	v_mov_b32_e32 v6, s56
	v_add_co_u32_e64 v2, s[8:9], s95, v2
	v_addc_co_u32_e64 v3, s[8:9], v6, v3, s[8:9]
	v_pk_add_f32 v[4:5], v[4:5], 0 op_sel_hi:[1,0]
	global_store_dwordx2 v[2:3], v[4:5], off offset:256
	v_mov_b32_e32 v2, 0
.LBB9_119:                              ;   in Loop: Header=BB9_15 Depth=1
	s_or_b64 exec, exec, s[10:11]
	v_cmp_gt_i32_e64 s[8:9], 50, v2
	s_mov_b64 s[78:79], -1
	s_and_saveexec_b64 s[10:11], s[8:9]
; %bb.120:                              ;   in Loop: Header=BB9_15 Depth=1
	v_cmp_eq_u32_e64 s[8:9], 0, v2
	s_orn2_b64 s[78:79], s[8:9], exec
; %bb.121:                              ;   in Loop: Header=BB9_15 Depth=1
	s_or_b64 exec, exec, s[10:11]
	s_mov_b64 s[74:75], 0
	s_mov_b64 s[10:11], 0
                                        ; implicit-def: $vgpr2_vgpr3
	s_and_saveexec_b64 s[76:77], s[78:79]
	s_cbranch_execz .LBB9_125
; %bb.122:                              ;   in Loop: Header=BB9_15 Depth=1
	v_cmp_gt_i32_e64 s[8:9], s28, v59
	s_xor_b64 s[10:11], vcc, -1
	s_and_b64 s[10:11], s[8:9], s[10:11]
	s_mov_b64 s[8:9], 0
                                        ; implicit-def: $vgpr2_vgpr3
	s_and_saveexec_b64 s[78:79], s[10:11]
	s_xor_b64 s[10:11], exec, s[78:79]
	s_cbranch_execz .LBB9_124
; %bb.123:                              ;   in Loop: Header=BB9_15 Depth=1
	ds_read_b32 v2, v106 offset:128
	s_mov_b64 s[8:9], exec
	s_waitcnt lgkmcnt(0)
	v_cvt_f32_f16_sdwa v3, v2 dst_sel:DWORD dst_unused:UNUSED_PAD src0_sel:WORD_1
	v_cvt_f32_f16_e32 v2, v2
	v_pk_add_f32 v[2:3], v[2:3], 0 op_sel_hi:[1,0]
.LBB9_124:                              ;   in Loop: Header=BB9_15 Depth=1
	s_or_b64 exec, exec, s[10:11]
	s_and_b64 s[10:11], s[8:9], exec
.LBB9_125:                              ;   in Loop: Header=BB9_15 Depth=1
	s_or_b64 exec, exec, s[76:77]
	s_and_b64 vcc, exec, s[74:75]
	s_cbranch_vccz .LBB9_61
.LBB9_126:                              ;   in Loop: Header=BB9_15 Depth=1
	s_lshl_b32 s78, s82, 4
	v_add_u32_e32 v166, s78, v153
	v_cmp_gt_i32_e64 s[8:9], s28, v166
	v_cmp_gt_i32_e32 vcc, s33, v27
	s_and_b64 s[90:91], s[8:9], vcc
	s_xor_b64 s[8:9], s[90:91], -1
	s_and_saveexec_b64 s[74:75], s[8:9]
	s_xor_b64 s[8:9], exec, s[74:75]
	s_cbranch_execz .LBB9_128
; %bb.127:                              ;   in Loop: Header=BB9_15 Depth=1
	ds_write_b32 v124, v147
.LBB9_128:                              ;   in Loop: Header=BB9_15 Depth=1
	s_andn2_saveexec_b64 s[74:75], s[8:9]
	s_cbranch_execz .LBB9_130
; %bb.129:                              ;   in Loop: Header=BB9_15 Depth=1
	v_mad_u64_u32 v[2:3], s[8:9], v166, s55, v[58:59]
	v_ashrrev_i32_e32 v3, 31, v2
	v_lshlrev_b64 v[2:3], 3, v[2:3]
	v_mov_b32_e32 v4, s80
	v_add_co_u32_e64 v2, s[8:9], s50, v2
	v_addc_co_u32_e64 v3, s[8:9], v4, v3, s[8:9]
	global_load_dwordx2 v[2:3], v[2:3], off
	s_waitcnt vmcnt(0)
	v_cvt_f16_f32_e32 v2, v2
	v_cvt_f16_f32_e32 v3, v3
	v_pack_b32_f16 v2, v2, v3
	v_pk_mul_f16 v2, v49, v2
	ds_write_b32 v124, v2
.LBB9_130:                              ;   in Loop: Header=BB9_15 Depth=1
	s_or_b64 exec, exec, s[74:75]
	v_add_u32_e32 v165, s78, v154
	v_cmp_gt_i32_e64 s[8:9], s28, v165
	s_and_b64 s[88:89], s[8:9], vcc
	s_xor_b64 s[8:9], s[88:89], -1
	s_and_saveexec_b64 s[74:75], s[8:9]
	s_xor_b64 s[8:9], exec, s[74:75]
	s_cbranch_execz .LBB9_132
; %bb.131:                              ;   in Loop: Header=BB9_15 Depth=1
	ds_write_b32 v124, v147 offset:1408
.LBB9_132:                              ;   in Loop: Header=BB9_15 Depth=1
	s_andn2_saveexec_b64 s[74:75], s[8:9]
	s_cbranch_execz .LBB9_134
; %bb.133:                              ;   in Loop: Header=BB9_15 Depth=1
	v_mad_u64_u32 v[2:3], s[8:9], v165, s55, v[58:59]
	v_ashrrev_i32_e32 v3, 31, v2
	v_lshlrev_b64 v[2:3], 3, v[2:3]
	v_mov_b32_e32 v4, s80
	v_add_co_u32_e64 v2, s[8:9], s50, v2
	v_addc_co_u32_e64 v3, s[8:9], v4, v3, s[8:9]
	global_load_dwordx2 v[2:3], v[2:3], off
	s_waitcnt vmcnt(0)
	v_cvt_f16_f32_e32 v2, v2
	v_cvt_f16_f32_e32 v3, v3
	v_pack_b32_f16 v2, v2, v3
	v_pk_mul_f16 v2, v49, v2
	ds_write_b32 v124, v2 offset:1408
.LBB9_134:                              ;   in Loop: Header=BB9_15 Depth=1
	s_or_b64 exec, exec, s[74:75]
	v_add_u32_e32 v164, s78, v117
	v_cmp_gt_i32_e64 s[8:9], s28, v164
	s_and_b64 s[86:87], s[8:9], vcc
	s_xor_b64 s[8:9], s[86:87], -1
	s_and_saveexec_b64 s[74:75], s[8:9]
	s_xor_b64 s[8:9], exec, s[74:75]
	s_cbranch_execz .LBB9_136
; %bb.135:                              ;   in Loop: Header=BB9_15 Depth=1
	ds_write_b32 v124, v147 offset:2816
.LBB9_136:                              ;   in Loop: Header=BB9_15 Depth=1
	s_andn2_saveexec_b64 s[74:75], s[8:9]
	s_cbranch_execz .LBB9_138
; %bb.137:                              ;   in Loop: Header=BB9_15 Depth=1
	v_mad_u64_u32 v[2:3], s[8:9], v164, s55, v[58:59]
	v_ashrrev_i32_e32 v3, 31, v2
	v_lshlrev_b64 v[2:3], 3, v[2:3]
	v_mov_b32_e32 v4, s80
	v_add_co_u32_e64 v2, s[8:9], s50, v2
	v_addc_co_u32_e64 v3, s[8:9], v4, v3, s[8:9]
	global_load_dwordx2 v[2:3], v[2:3], off
	s_waitcnt vmcnt(0)
	v_cvt_f16_f32_e32 v2, v2
	v_cvt_f16_f32_e32 v3, v3
	v_pack_b32_f16 v2, v2, v3
	v_pk_mul_f16 v2, v49, v2
	ds_write_b32 v124, v2 offset:2816
.LBB9_138:                              ;   in Loop: Header=BB9_15 Depth=1
	;; [unrolled: 28-line block ×4, first 2 shown]
	s_or_b64 exec, exec, s[74:75]
	v_add_u32_e32 v161, s78, v116
	v_cmp_gt_i32_e64 s[8:9], s28, v161
	s_and_b64 s[8:9], s[8:9], vcc
	v_writelane_b32 v192, s8, 35
	v_writelane_b32 v192, s9, 36
	s_xor_b64 s[8:9], s[8:9], -1
	s_and_saveexec_b64 s[74:75], s[8:9]
	s_xor_b64 s[8:9], exec, s[74:75]
	s_cbranch_execz .LBB9_148
; %bb.147:                              ;   in Loop: Header=BB9_15 Depth=1
	ds_write_b32 v124, v147 offset:7040
.LBB9_148:                              ;   in Loop: Header=BB9_15 Depth=1
	s_andn2_saveexec_b64 s[74:75], s[8:9]
	s_cbranch_execz .LBB9_150
; %bb.149:                              ;   in Loop: Header=BB9_15 Depth=1
	v_mad_u64_u32 v[2:3], s[8:9], v161, s55, v[58:59]
	v_ashrrev_i32_e32 v3, 31, v2
	v_lshlrev_b64 v[2:3], 3, v[2:3]
	v_mov_b32_e32 v4, s80
	v_add_co_u32_e64 v2, s[8:9], s50, v2
	v_addc_co_u32_e64 v3, s[8:9], v4, v3, s[8:9]
	global_load_dwordx2 v[2:3], v[2:3], off
	s_waitcnt vmcnt(0)
	v_cvt_f16_f32_e32 v2, v2
	v_cvt_f16_f32_e32 v3, v3
	v_pack_b32_f16 v2, v2, v3
	v_pk_mul_f16 v2, v49, v2
	ds_write_b32 v124, v2 offset:7040
.LBB9_150:                              ;   in Loop: Header=BB9_15 Depth=1
	s_or_b64 exec, exec, s[74:75]
	v_add_u32_e32 v160, s78, v119
	v_cmp_gt_i32_e64 s[8:9], s28, v160
	s_and_b64 s[8:9], s[8:9], vcc
	v_writelane_b32 v192, s8, 37
	v_writelane_b32 v192, s9, 38
	s_xor_b64 s[8:9], s[8:9], -1
	s_and_saveexec_b64 s[74:75], s[8:9]
	s_xor_b64 s[8:9], exec, s[74:75]
	s_cbranch_execz .LBB9_152
; %bb.151:                              ;   in Loop: Header=BB9_15 Depth=1
	ds_write_b32 v124, v147 offset:8448
.LBB9_152:                              ;   in Loop: Header=BB9_15 Depth=1
	s_andn2_saveexec_b64 s[74:75], s[8:9]
	s_cbranch_execz .LBB9_154
; %bb.153:                              ;   in Loop: Header=BB9_15 Depth=1
	v_mad_u64_u32 v[2:3], s[8:9], v160, s55, v[58:59]
	v_ashrrev_i32_e32 v3, 31, v2
	v_lshlrev_b64 v[2:3], 3, v[2:3]
	v_mov_b32_e32 v4, s80
	v_add_co_u32_e64 v2, s[8:9], s50, v2
	v_addc_co_u32_e64 v3, s[8:9], v4, v3, s[8:9]
	global_load_dwordx2 v[2:3], v[2:3], off
	s_waitcnt vmcnt(0)
	v_cvt_f16_f32_e32 v2, v2
	v_cvt_f16_f32_e32 v3, v3
	v_pack_b32_f16 v2, v2, v3
	v_pk_mul_f16 v2, v49, v2
	ds_write_b32 v124, v2 offset:8448
.LBB9_154:                              ;   in Loop: Header=BB9_15 Depth=1
	s_or_b64 exec, exec, s[74:75]
	v_add_u32_e32 v159, s78, v120
	v_cmp_gt_i32_e64 s[8:9], s28, v159
	s_and_b64 s[8:9], s[8:9], vcc
	v_writelane_b32 v192, s8, 39
	v_writelane_b32 v192, s9, 40
	s_xor_b64 s[8:9], s[8:9], -1
	s_and_saveexec_b64 s[74:75], s[8:9]
	s_xor_b64 s[8:9], exec, s[74:75]
	s_cbranch_execz .LBB9_156
; %bb.155:                              ;   in Loop: Header=BB9_15 Depth=1
	ds_write_b32 v124, v147 offset:9856
.LBB9_156:                              ;   in Loop: Header=BB9_15 Depth=1
	s_andn2_saveexec_b64 s[8:9], s[8:9]
	s_cbranch_execz .LBB9_158
; %bb.157:                              ;   in Loop: Header=BB9_15 Depth=1
	v_mad_u64_u32 v[2:3], s[74:75], v159, s55, v[58:59]
	v_ashrrev_i32_e32 v3, 31, v2
	v_lshlrev_b64 v[2:3], 3, v[2:3]
	v_mov_b32_e32 v4, s80
	v_add_co_u32_e32 v2, vcc, s50, v2
	v_addc_co_u32_e32 v3, vcc, v4, v3, vcc
	global_load_dwordx2 v[2:3], v[2:3], off
	s_waitcnt vmcnt(0)
	v_cvt_f16_f32_e32 v2, v2
	v_cvt_f16_f32_e32 v3, v3
	v_pack_b32_f16 v2, v2, v3
	v_pk_mul_f16 v2, v49, v2
	ds_write_b32 v124, v2 offset:9856
.LBB9_158:                              ;   in Loop: Header=BB9_15 Depth=1
	s_or_b64 exec, exec, s[8:9]
	v_or_b32_e32 v2, s81, v48
	v_add_u32_e32 v158, s78, v121
	v_cmp_gt_i32_e32 vcc, s33, v2
	v_cmp_gt_i32_e64 s[8:9], s28, v158
	s_and_b64 s[74:75], s[8:9], vcc
	s_xor_b64 s[8:9], s[74:75], -1
	s_and_saveexec_b64 s[92:93], s[8:9]
	s_xor_b64 s[8:9], exec, s[92:93]
	s_cbranch_execz .LBB9_160
; %bb.159:                              ;   in Loop: Header=BB9_15 Depth=1
	ds_write_b32 v105, v147 offset:128
.LBB9_160:                              ;   in Loop: Header=BB9_15 Depth=1
	s_andn2_saveexec_b64 s[92:93], s[8:9]
	s_cbranch_execz .LBB9_162
; %bb.161:                              ;   in Loop: Header=BB9_15 Depth=1
	v_mad_u64_u32 v[2:3], s[8:9], v158, s55, v[50:51]
	v_ashrrev_i32_e32 v3, 31, v2
	v_lshlrev_b64 v[2:3], 3, v[2:3]
	v_mov_b32_e32 v4, s80
	v_add_co_u32_e64 v2, s[8:9], s50, v2
	v_addc_co_u32_e64 v3, s[8:9], v4, v3, s[8:9]
	global_load_dwordx2 v[2:3], v[2:3], off
	s_waitcnt vmcnt(0)
	v_cvt_f16_f32_e32 v2, v2
	v_cvt_f16_f32_e32 v3, v3
	v_pack_b32_f16 v2, v2, v3
	v_pk_mul_f16 v2, v49, v2
	ds_write_b32 v105, v2 offset:128
.LBB9_162:                              ;   in Loop: Header=BB9_15 Depth=1
	s_or_b64 exec, exec, s[92:93]
	v_add_u32_e32 v59, s78, v122
	v_cmp_gt_i32_e64 s[8:9], s28, v59
	s_and_b64 s[8:9], s[8:9], vcc
	s_xor_b64 s[76:77], s[8:9], -1
	s_and_saveexec_b64 s[92:93], s[76:77]
	s_xor_b64 s[92:93], exec, s[92:93]
	s_cbranch_execz .LBB9_164
; %bb.163:                              ;   in Loop: Header=BB9_15 Depth=1
	ds_write_b32 v106, v147 offset:128
.LBB9_164:                              ;   in Loop: Header=BB9_15 Depth=1
	s_andn2_saveexec_b64 s[92:93], s[92:93]
	s_cbranch_execz .LBB9_166
; %bb.165:                              ;   in Loop: Header=BB9_15 Depth=1
	v_mad_u64_u32 v[2:3], s[76:77], v59, s55, v[50:51]
	v_ashrrev_i32_e32 v3, 31, v2
	v_lshlrev_b64 v[2:3], 3, v[2:3]
	v_mov_b32_e32 v4, s80
	v_add_co_u32_e32 v2, vcc, s50, v2
	v_addc_co_u32_e32 v3, vcc, v4, v3, vcc
	global_load_dwordx2 v[2:3], v[2:3], off
	s_waitcnt vmcnt(0)
	v_cvt_f16_f32_e32 v2, v2
	v_cvt_f16_f32_e32 v3, v3
	v_pack_b32_f16 v2, v2, v3
	v_pk_mul_f16 v2, v49, v2
	ds_write_b32 v106, v2 offset:128
.LBB9_166:                              ;   in Loop: Header=BB9_15 Depth=1
	s_or_b64 exec, exec, s[92:93]
	s_waitcnt lgkmcnt(0)
	s_barrier
	ds_read2_b64 v[6:9], v146 offset1:4
	ds_read2_b64 v[2:5], v146 offset0:8 offset1:12
	ds_read_b64 v[66:67], v146 offset:128
	s_cmp_gt_i32 s53, 1
	s_waitcnt lgkmcnt(0)
	s_barrier
	s_cbranch_scc1 .LBB9_168
; %bb.167:                              ;   in Loop: Header=BB9_15 Depth=1
	v_add_u32_e32 v10, s78, v51
	v_mul_hi_u32 v11, s42, v10
	v_add_u32_e32 v11, v10, v11
	v_lshrrev_b32_e32 v11, s43, v11
	v_mul_lo_u32 v11, v11, s28
	v_sub_u32_e32 v10, v10, v11
	v_mad_i64_i32 v[68:69], s[76:77], v10, s44, 0
	v_add_u32_e32 v10, s78, v149
	v_mul_hi_u32 v11, s42, v10
	v_add_u32_e32 v11, v10, v11
	v_lshrrev_b32_e32 v11, s43, v11
	v_mul_lo_u32 v11, v11, s28
	v_sub_u32_e32 v10, v10, v11
	v_mad_i64_i32 v[70:71], s[76:77], v10, s44, 0
	s_mov_b64 s[92:93], 0
	s_mov_b32 s79, 0xfeffffff
	s_mov_b32 s80, 0
	;; [unrolled: 1-line block ×3, first 2 shown]
	s_branch .LBB9_169
.LBB9_168:                              ;   in Loop: Header=BB9_15 Depth=1
	s_mov_b64 s[92:93], -1
                                        ; implicit-def: $sgpr50
                                        ; implicit-def: $sgpr80
                                        ; implicit-def: $sgpr79
                                        ; implicit-def: $vgpr68_vgpr69
                                        ; implicit-def: $vgpr70_vgpr71
.LBB9_169:                              ;   in Loop: Header=BB9_15 Depth=1
	s_andn2_b64 vcc, exec, s[92:93]
	v_mov_b32_e32 v176, s50
	v_mov_b32_e32 v23, s80
	;; [unrolled: 1-line block ×12, first 2 shown]
	s_cbranch_vccnz .LBB9_177
; %bb.170:                              ;   in Loop: Header=BB9_15 Depth=1
	v_add_u32_e32 v10, s78, v51
	v_mul_hi_u32 v11, s42, v10
	v_add_u32_e32 v11, v10, v11
	v_lshrrev_b32_e32 v11, s43, v11
	v_mul_lo_u32 v11, v11, s28
	v_sub_u32_e32 v10, v10, v11
	v_add_u32_e32 v11, s78, v149
	v_mul_hi_u32 v12, s42, v11
	v_add_u32_e32 v12, v11, v12
	v_lshrrev_b32_e32 v12, s43, v12
	v_mul_lo_u32 v12, v12, s28
	v_sub_u32_e32 v11, v11, v12
	v_and_b32_e32 v12, 64, v155
	v_add_u32_e32 v12, 64, v12
	v_xor_b32_e32 v13, 32, v155
	v_cmp_lt_i32_e32 vcc, v13, v12
	v_cndmask_b32_e32 v13, v155, v13, vcc
	v_lshlrev_b32_e32 v170, 2, v13
	v_xor_b32_e32 v13, 16, v155
	v_cmp_lt_i32_e32 vcc, v13, v12
	v_cndmask_b32_e32 v12, v155, v13, vcc
	v_lshlrev_b32_e32 v171, 2, v12
	v_mov_b32_e32 v12, s19
	v_mad_i64_i32 v[68:69], s[76:77], v10, s44, 0
	v_mad_i64_i32 v[70:71], s[76:77], v11, s44, 0
	v_addc_co_u32_e64 v65, vcc, v12, v1, s[4:5]
	v_readlane_b32 s4, v192, 32
	v_readlane_b32 s5, v192, 33
	s_mov_b32 s76, s4
	s_add_i32 s50, s53, -1
	v_mad_i64_i32 v[72:73], s[4:5], s76, v10, v[64:65]
	v_mad_i64_i32 v[74:75], s[4:5], s76, v11, v[64:65]
	s_add_u32 s4, s60, s48
	s_addc_u32 s5, s47, s49
	v_mov_b32_e32 v1, s5
	v_add_co_u32_e32 v76, vcc, s4, v133
	v_addc_co_u32_e32 v77, vcc, v134, v1, vcc
	v_add_co_u32_e32 v78, vcc, s4, v135
	v_addc_co_u32_e32 v1, vcc, v136, v1, vcc
	v_mov_b32_e32 v10, s5
	v_add_co_u32_e32 v80, vcc, s4, v137
	s_add_u32 s2, s2, s3
	v_addc_co_u32_e32 v27, vcc, v138, v10, vcc
	s_addc_u32 s3, s38, s46
	v_mov_b32_e32 v10, s3
	v_add_co_u32_e32 v82, vcc, s2, v139
	v_addc_co_u32_e32 v83, vcc, v140, v10, vcc
	v_add_co_u32_e32 v84, vcc, s2, v141
	v_addc_co_u32_e32 v29, vcc, v142, v10, vcc
	v_add_co_u32_e32 v86, vcc, s2, v143
	v_mov_b32_e32 v168, 0
	v_addc_co_u32_e32 v31, vcc, v144, v10, vcc
	v_mov_b32_e32 v178, 0
	v_mov_b32_e32 v179, 0xfeffffff
	s_mov_b32 s2, s50
	v_mov_b32_e32 v169, 0
	v_mov_b32_e32 v167, 0
	;; [unrolled: 1-line block ×9, first 2 shown]
.LBB9_171:                              ;   Parent Loop BB9_15 Depth=1
                                        ; =>  This Inner Loop Header: Depth=2
	v_add_co_u32_e32 v10, vcc, v72, v60
	v_addc_co_u32_e32 v11, vcc, 0, v73, vcc
	global_load_dword v12, v[10:11], off
	v_add_co_u32_e32 v10, vcc, v74, v60
	v_addc_co_u32_e32 v11, vcc, 0, v75, vcc
	global_load_dword v10, v[10:11], off
	v_add_u32_e32 v11, v123, v148
	s_waitcnt vmcnt(1)
	ds_write_b32 v11, v12 offset:11264
	s_waitcnt vmcnt(0)
	ds_write_b32 v11, v10 offset:12416
	s_and_saveexec_b64 s[4:5], s[0:1]
	s_cbranch_execz .LBB9_173
; %bb.172:                              ;   in Loop: Header=BB9_171 Depth=2
	global_load_dwordx4 v[10:13], v[82:83], off
	s_waitcnt vmcnt(0)
	ds_write_b128 v61, v[10:13]
.LBB9_173:                              ;   in Loop: Header=BB9_171 Depth=2
	s_or_b64 exec, exec, s[4:5]
	v_add_co_u32_e32 v10, vcc, v84, v62
	v_addc_co_u32_e32 v11, vcc, 0, v29, vcc
	global_load_dwordx4 v[10:13], v[10:11], off
	v_add_u32_e32 v18, 0x800, v53
	v_add_u32_e32 v88, 0x1000, v53
	s_waitcnt vmcnt(0)
	ds_write_b128 v103, v[10:13]
	v_add_co_u32_e32 v10, vcc, v86, v62
	v_addc_co_u32_e32 v11, vcc, 0, v31, vcc
	global_load_dwordx4 v[10:13], v[10:11], off
	s_waitcnt vmcnt(0)
	ds_write_b128 v104, v[10:13]
	s_waitcnt lgkmcnt(0)
	s_barrier
	ds_read2_b64 v[10:13], v53 offset1:4
	s_waitcnt lgkmcnt(0)
	v_mfma_f32_16x16x16f16 v[14:17], v[10:11], v[6:7], 0
	v_mfma_f32_16x16x16f16 v[10:13], v[12:13], v[8:9], v[14:17]
	s_nop 7
	s_nop 1
	ds_read2_b64 v[14:17], v53 offset0:8 offset1:12
	s_waitcnt lgkmcnt(0)
	v_mfma_f32_16x16x16f16 v[10:13], v[14:15], v[2:3], v[10:13]
	ds_read_b64 v[14:15], v53 offset:128
	v_mfma_f32_16x16x16f16 v[10:13], v[16:17], v[4:5], v[10:13]
	s_waitcnt lgkmcnt(0)
	v_mfma_f32_16x16x16f16 v[22:25], v[14:15], v[66:67], v[10:13]
	s_nop 7
	s_nop 0
	ds_read2_b64 v[10:13], v18 offset0:96 offset1:100
	s_waitcnt lgkmcnt(0)
	v_mfma_f32_16x16x16f16 v[14:17], v[10:11], v[6:7], 0
	v_mfma_f32_16x16x16f16 v[10:13], v[12:13], v[8:9], v[14:17]
	s_nop 7
	s_nop 1
	ds_read2_b64 v[14:17], v18 offset0:104 offset1:108
	s_waitcnt lgkmcnt(0)
	v_mfma_f32_16x16x16f16 v[10:13], v[14:15], v[2:3], v[10:13]
	ds_read_b64 v[14:15], v53 offset:2944
	v_mfma_f32_16x16x16f16 v[10:13], v[16:17], v[4:5], v[10:13]
	s_waitcnt lgkmcnt(0)
	v_mfma_f32_16x16x16f16 v[18:21], v[14:15], v[66:67], v[10:13]
	s_nop 7
	s_nop 0
	ds_read2_b64 v[10:13], v88 offset0:192 offset1:196
	s_waitcnt lgkmcnt(0)
	v_mfma_f32_16x16x16f16 v[14:17], v[10:11], v[6:7], 0
	v_mfma_f32_16x16x16f16 v[10:13], v[12:13], v[8:9], v[14:17]
	s_nop 7
	s_nop 1
	ds_read2_b64 v[14:17], v88 offset0:200 offset1:204
	s_waitcnt lgkmcnt(0)
	v_mfma_f32_16x16x16f16 v[10:13], v[14:15], v[2:3], v[10:13]
	ds_read_b64 v[14:15], v53 offset:5760
	v_add_u32_e32 v88, 0x2000, v53
	v_mfma_f32_16x16x16f16 v[10:13], v[16:17], v[4:5], v[10:13]
	s_waitcnt lgkmcnt(0)
	v_mfma_f32_16x16x16f16 v[14:17], v[14:15], v[66:67], v[10:13]
	s_nop 7
	s_nop 0
	ds_read2_b64 v[10:13], v88 offset0:32 offset1:36
	s_waitcnt lgkmcnt(0)
	v_mfma_f32_16x16x16f16 v[180:183], v[10:11], v[6:7], 0
	v_mfma_f32_16x16x16f16 v[10:13], v[12:13], v[8:9], v[180:183]
	s_nop 7
	s_nop 1
	ds_read2_b64 v[180:183], v88 offset0:40 offset1:44
	s_waitcnt lgkmcnt(0)
	v_mfma_f32_16x16x16f16 v[10:13], v[180:181], v[2:3], v[10:13]
	ds_read_b64 v[88:89], v53 offset:8576
	s_waitcnt lgkmcnt(0)
	s_barrier
	v_mfma_f32_16x16x16f16 v[10:13], v[182:183], v[4:5], v[10:13]
	v_mfma_f32_16x16x16f16 v[10:13], v[88:89], v[66:67], v[10:13]
	ds_read_b32 v186, v63 offset:11264
	ds_read_b32 v88, v79 offset:11264
	v_add_u32_e32 v89, 0x2c00, v150
	ds_read2_b32 v[180:181], v89 offset1:1
	v_add_u32_e32 v89, 0x2c00, v151
	ds_read2_b32 v[182:183], v89 offset1:1
	;; [unrolled: 2-line block ×3, first 2 shown]
	s_waitcnt lgkmcnt(3)
	v_cvt_f32_f16_sdwa v89, v88 dst_sel:DWORD dst_unused:UNUSED_PAD src0_sel:WORD_1
	v_cvt_f32_f16_e32 v88, v88
	v_pk_add_f32 v[24:25], v[24:25], v[88:89]
	v_cvt_f32_f16_sdwa v89, v186 dst_sel:DWORD dst_unused:UNUSED_PAD src0_sel:WORD_1
	v_cvt_f32_f16_e32 v88, v186
	v_add_f32_e32 v187, 0x40051340, v24
	v_add_f32_e32 v188, 0x40051340, v25
	v_pk_add_f32 v[88:89], v[22:23], v[88:89]
	v_add_f32_e32 v22, 0x40051340, v88
	v_add_f32_e32 v23, 0x40051340, v89
	v_max3_f32 v22, v179, v22, v23
	v_max3_f32 v186, v22, v187, v188
	s_waitcnt lgkmcnt(2)
	v_cvt_f32_f16_e32 v22, v181
	v_cvt_f32_f16_sdwa v23, v181 dst_sel:DWORD dst_unused:UNUSED_PAD src0_sel:WORD_1
	v_pk_add_f32 v[20:21], v[20:21], v[22:23]
	v_cvt_f32_f16_e32 v22, v180
	v_cvt_f32_f16_sdwa v23, v180 dst_sel:DWORD dst_unused:UNUSED_PAD src0_sel:WORD_1
	v_add_f32_e32 v181, 0x40051340, v20
	v_add_f32_e32 v187, 0x40051340, v21
	v_pk_add_f32 v[18:19], v[18:19], v[22:23]
	v_add_f32_e32 v22, 0x40051340, v18
	v_add_f32_e32 v23, 0x40051340, v19
	v_max3_f32 v22, v186, v22, v23
	v_max3_f32 v180, v22, v181, v187
	s_waitcnt lgkmcnt(1)
	v_cvt_f32_f16_e32 v22, v183
	v_cvt_f32_f16_sdwa v23, v183 dst_sel:DWORD dst_unused:UNUSED_PAD src0_sel:WORD_1
	v_pk_add_f32 v[16:17], v[16:17], v[22:23]
	v_cvt_f32_f16_e32 v22, v182
	v_cvt_f32_f16_sdwa v23, v182 dst_sel:DWORD dst_unused:UNUSED_PAD src0_sel:WORD_1
	;; [unrolled: 13-line block ×3, first 2 shown]
	v_add_f32_e32 v181, 0x40051340, v12
	v_add_f32_e32 v182, 0x40051340, v13
	v_pk_add_f32 v[10:11], v[10:11], v[22:23]
	v_add_f32_e32 v22, 0x40051340, v10
	v_add_f32_e32 v23, 0x40051340, v11
	v_max3_f32 v22, v180, v22, v23
	v_max3_f32 v22, v22, v181, v182
	ds_bpermute_b32 v23, v170, v22
	s_waitcnt lgkmcnt(0)
	v_max_f32_e32 v23, v23, v23
	v_max_f32_e32 v22, v22, v23
	ds_bpermute_b32 v23, v171, v22
	s_and_saveexec_b64 s[4:5], s[0:1]
	s_cbranch_execz .LBB9_175
; %bb.174:                              ;   in Loop: Header=BB9_171 Depth=2
	global_load_dwordx4 v[180:183], v[76:77], off
	s_waitcnt vmcnt(0)
	ds_write_b128 v61, v[180:183]
.LBB9_175:                              ;   in Loop: Header=BB9_171 Depth=2
	s_or_b64 exec, exec, s[4:5]
	s_waitcnt lgkmcnt(0)
	v_max_f32_e32 v23, v23, v23
	v_max_f32_e32 v22, v22, v22
	;; [unrolled: 1-line block ×3, first 2 shown]
	v_pk_add_f32 v[88:89], v[88:89], v[22:23] op_sel_hi:[1,0] neg_lo:[0,1] neg_hi:[0,1]
	v_mul_f32_e32 v23, 0x3fb8aa3b, v89
	v_fma_f32 v180, v89, s45, -v23
	v_rndne_f32_e32 v181, v23
	v_fmac_f32_e32 v180, 0x32a5705f, v89
	v_sub_f32_e32 v23, v23, v181
	v_add_f32_e32 v23, v23, v180
	v_exp_f32_e32 v23, v23
	v_cvt_i32_f32_e32 v180, v181
	v_cmp_ngt_f32_e32 vcc, s63, v89
	s_add_i32 s2, s2, -1
	s_cmp_lg_u32 s2, 0
	v_ldexp_f32 v23, v23, v180
	v_cndmask_b32_e32 v23, 0, v23, vcc
	v_cmp_nlt_f32_e32 vcc, s64, v89
	v_cndmask_b32_e32 v180, v156, v23, vcc
	v_mul_f32_e32 v23, 0x3fb8aa3b, v88
	v_fma_f32 v89, v88, s45, -v23
	v_rndne_f32_e32 v181, v23
	v_fmac_f32_e32 v89, 0x32a5705f, v88
	v_sub_f32_e32 v23, v23, v181
	v_add_f32_e32 v23, v23, v89
	v_exp_f32_e32 v23, v23
	v_cvt_i32_f32_e32 v89, v181
	v_cmp_ngt_f32_e32 vcc, s63, v88
	v_ldexp_f32 v23, v23, v89
	v_cndmask_b32_e32 v23, 0, v23, vcc
	v_cmp_nlt_f32_e32 vcc, s64, v88
	v_pk_add_f32 v[24:25], v[24:25], v[22:23] op_sel_hi:[1,0] neg_lo:[0,1] neg_hi:[0,1]
	v_cndmask_b32_e32 v181, v156, v23, vcc
	v_mul_f32_e32 v23, 0x3fb8aa3b, v25
	v_fma_f32 v88, v25, s45, -v23
	v_rndne_f32_e32 v89, v23
	v_fmac_f32_e32 v88, 0x32a5705f, v25
	v_sub_f32_e32 v23, v23, v89
	v_add_f32_e32 v23, v23, v88
	v_exp_f32_e32 v23, v23
	v_cvt_i32_f32_e32 v88, v89
	v_cmp_ngt_f32_e32 vcc, s63, v25
	v_ldexp_f32 v23, v23, v88
	v_cndmask_b32_e32 v23, 0, v23, vcc
	v_cmp_nlt_f32_e32 vcc, s64, v25
	v_cndmask_b32_e32 v182, v156, v23, vcc
	v_mul_f32_e32 v23, 0x3fb8aa3b, v24
	v_fma_f32 v25, v24, s45, -v23
	v_rndne_f32_e32 v88, v23
	v_fmac_f32_e32 v25, 0x32a5705f, v24
	v_sub_f32_e32 v23, v23, v88
	v_add_f32_e32 v23, v23, v25
	v_exp_f32_e32 v23, v23
	v_cvt_i32_f32_e32 v25, v88
	v_cmp_ngt_f32_e32 vcc, s63, v24
	v_ldexp_f32 v23, v23, v25
	v_cndmask_b32_e32 v23, 0, v23, vcc
	v_cmp_nlt_f32_e32 vcc, s64, v24
	v_pk_add_f32 v[18:19], v[18:19], v[22:23] op_sel_hi:[1,0] neg_lo:[0,1] neg_hi:[0,1]
	v_cndmask_b32_e32 v183, v156, v23, vcc
	v_mul_f32_e32 v23, 0x3fb8aa3b, v19
	v_fma_f32 v24, v19, s45, -v23
	v_rndne_f32_e32 v25, v23
	v_fmac_f32_e32 v24, 0x32a5705f, v19
	v_sub_f32_e32 v23, v23, v25
	v_add_f32_e32 v23, v23, v24
	v_exp_f32_e32 v23, v23
	v_cvt_i32_f32_e32 v24, v25
	v_cmp_ngt_f32_e32 vcc, s63, v19
	v_ldexp_f32 v23, v23, v24
	v_cndmask_b32_e32 v23, 0, v23, vcc
	v_cmp_nlt_f32_e32 vcc, s64, v19
	v_mul_f32_e32 v19, 0x3fb8aa3b, v18
	v_cndmask_b32_e32 v184, v156, v23, vcc
	v_fma_f32 v23, v18, s45, -v19
	v_rndne_f32_e32 v24, v19
	v_fmac_f32_e32 v23, 0x32a5705f, v18
	v_sub_f32_e32 v19, v19, v24
	v_add_f32_e32 v19, v19, v23
	v_exp_f32_e32 v19, v19
	v_cvt_i32_f32_e32 v23, v24
	v_cmp_ngt_f32_e32 vcc, s63, v18
	v_ldexp_f32 v19, v19, v23
	v_cndmask_b32_e32 v19, 0, v19, vcc
	v_cmp_nlt_f32_e32 vcc, s64, v18
	v_cndmask_b32_e32 v185, v156, v19, vcc
	v_pk_add_f32 v[18:19], v[20:21], v[22:23] op_sel_hi:[1,0] neg_lo:[0,1] neg_hi:[0,1]
	v_mul_f32_e32 v20, 0x3fb8aa3b, v19
	v_fma_f32 v21, v19, s45, -v20
	v_rndne_f32_e32 v23, v20
	v_fmac_f32_e32 v21, 0x32a5705f, v19
	v_sub_f32_e32 v20, v20, v23
	v_add_f32_e32 v20, v20, v21
	v_exp_f32_e32 v20, v20
	v_cvt_i32_f32_e32 v21, v23
	v_cmp_ngt_f32_e32 vcc, s63, v19
	v_pk_add_f32 v[14:15], v[14:15], v[22:23] op_sel_hi:[1,0] neg_lo:[0,1] neg_hi:[0,1]
	v_pk_add_f32 v[10:11], v[10:11], v[22:23] op_sel_hi:[1,0] neg_lo:[0,1] neg_hi:[0,1]
	v_ldexp_f32 v20, v20, v21
	v_cndmask_b32_e32 v20, 0, v20, vcc
	v_cmp_nlt_f32_e32 vcc, s64, v19
	v_mul_f32_e32 v19, 0x3fb8aa3b, v18
	v_cndmask_b32_e32 v186, v156, v20, vcc
	v_fma_f32 v20, v18, s45, -v19
	v_rndne_f32_e32 v21, v19
	v_fmac_f32_e32 v20, 0x32a5705f, v18
	v_sub_f32_e32 v19, v19, v21
	v_add_f32_e32 v19, v19, v20
	v_exp_f32_e32 v19, v19
	v_cvt_i32_f32_e32 v20, v21
	v_cmp_ngt_f32_e32 vcc, s63, v18
	v_ldexp_f32 v19, v19, v20
	v_cndmask_b32_e32 v19, 0, v19, vcc
	v_cmp_nlt_f32_e32 vcc, s64, v18
	v_mul_f32_e32 v18, 0x3fb8aa3b, v15
	v_cndmask_b32_e32 v187, v156, v19, vcc
	v_fma_f32 v19, v15, s45, -v18
	v_rndne_f32_e32 v20, v18
	v_fmac_f32_e32 v19, 0x32a5705f, v15
	v_sub_f32_e32 v18, v18, v20
	v_add_f32_e32 v18, v18, v19
	v_exp_f32_e32 v18, v18
	v_cvt_i32_f32_e32 v19, v20
	v_cmp_ngt_f32_e32 vcc, s63, v15
	v_ldexp_f32 v18, v18, v19
	v_cndmask_b32_e32 v18, 0, v18, vcc
	v_cmp_nlt_f32_e32 vcc, s64, v15
	v_mul_f32_e32 v15, 0x3fb8aa3b, v14
	v_cndmask_b32_e32 v188, v156, v18, vcc
	v_fma_f32 v18, v14, s45, -v15
	v_rndne_f32_e32 v19, v15
	v_fmac_f32_e32 v18, 0x32a5705f, v14
	v_sub_f32_e32 v15, v15, v19
	v_add_f32_e32 v15, v15, v18
	v_exp_f32_e32 v15, v15
	v_cvt_i32_f32_e32 v18, v19
	v_cmp_ngt_f32_e32 vcc, s63, v14
	v_ldexp_f32 v15, v15, v18
	v_cndmask_b32_e32 v15, 0, v15, vcc
	v_cmp_nlt_f32_e32 vcc, s64, v14
	v_cndmask_b32_e32 v189, v156, v15, vcc
	v_pk_add_f32 v[14:15], v[16:17], v[22:23] op_sel_hi:[1,0] neg_lo:[0,1] neg_hi:[0,1]
	v_mul_f32_e32 v16, 0x3fb8aa3b, v15
	v_fma_f32 v17, v15, s45, -v16
	v_rndne_f32_e32 v18, v16
	v_fmac_f32_e32 v17, 0x32a5705f, v15
	v_sub_f32_e32 v16, v16, v18
	v_add_f32_e32 v16, v16, v17
	v_exp_f32_e32 v16, v16
	v_cvt_i32_f32_e32 v17, v18
	v_cmp_ngt_f32_e32 vcc, s63, v15
	v_ldexp_f32 v16, v16, v17
	v_cndmask_b32_e32 v16, 0, v16, vcc
	v_cmp_nlt_f32_e32 vcc, s64, v15
	v_cndmask_b32_e32 v15, v156, v16, vcc
	v_mul_f32_e32 v16, 0x3fb8aa3b, v14
	v_fma_f32 v17, v14, s45, -v16
	v_rndne_f32_e32 v18, v16
	v_fmac_f32_e32 v17, 0x32a5705f, v14
	v_sub_f32_e32 v16, v16, v18
	v_add_f32_e32 v16, v16, v17
	v_exp_f32_e32 v16, v16
	v_cvt_i32_f32_e32 v17, v18
	v_cmp_ngt_f32_e32 vcc, s63, v14
	v_ldexp_f32 v16, v16, v17
	v_cndmask_b32_e32 v16, 0, v16, vcc
	v_cmp_nlt_f32_e32 vcc, s64, v14
	v_cndmask_b32_e32 v14, v156, v16, vcc
	v_mul_f32_e32 v16, 0x3fb8aa3b, v11
	v_fma_f32 v17, v11, s45, -v16
	v_rndne_f32_e32 v18, v16
	v_fmac_f32_e32 v17, 0x32a5705f, v11
	v_sub_f32_e32 v16, v16, v18
	v_add_f32_e32 v16, v16, v17
	v_exp_f32_e32 v16, v16
	v_cvt_i32_f32_e32 v17, v18
	v_cmp_ngt_f32_e32 vcc, s63, v11
	v_ldexp_f32 v16, v16, v17
	v_cndmask_b32_e32 v16, 0, v16, vcc
	v_cmp_nlt_f32_e32 vcc, s64, v11
	v_mul_f32_e32 v11, 0x3fb8aa3b, v10
	v_fma_f32 v17, v10, s45, -v11
	v_rndne_f32_e32 v18, v11
	v_fmac_f32_e32 v17, 0x32a5705f, v10
	v_sub_f32_e32 v11, v11, v18
	v_add_f32_e32 v11, v11, v17
	v_exp_f32_e32 v11, v11
	v_cvt_i32_f32_e32 v17, v18
	v_cndmask_b32_e32 v16, v156, v16, vcc
	v_cmp_ngt_f32_e32 vcc, s63, v10
	v_ldexp_f32 v11, v11, v17
	v_cndmask_b32_e32 v11, 0, v11, vcc
	v_cmp_nlt_f32_e32 vcc, s64, v10
	v_cndmask_b32_e32 v17, v156, v11, vcc
	v_pk_add_f32 v[10:11], v[12:13], v[22:23] op_sel_hi:[1,0] neg_lo:[0,1] neg_hi:[0,1]
	v_mul_f32_e32 v12, 0x3fb8aa3b, v11
	v_fma_f32 v13, v11, s45, -v12
	v_rndne_f32_e32 v18, v12
	v_fmac_f32_e32 v13, 0x32a5705f, v11
	v_sub_f32_e32 v12, v12, v18
	v_add_f32_e32 v12, v12, v13
	v_exp_f32_e32 v12, v12
	v_cvt_i32_f32_e32 v13, v18
	v_cmp_ngt_f32_e32 vcc, s63, v11
	v_ldexp_f32 v12, v12, v13
	v_cndmask_b32_e32 v12, 0, v12, vcc
	v_cmp_nlt_f32_e32 vcc, s64, v11
	v_cndmask_b32_e32 v11, v156, v12, vcc
	v_mul_f32_e32 v12, 0x3fb8aa3b, v10
	v_fma_f32 v13, v10, s45, -v12
	v_rndne_f32_e32 v18, v12
	v_fmac_f32_e32 v13, 0x32a5705f, v10
	v_sub_f32_e32 v12, v12, v18
	v_add_f32_e32 v12, v12, v13
	v_exp_f32_e32 v12, v12
	v_cvt_i32_f32_e32 v13, v18
	v_cmp_ngt_f32_e32 vcc, s63, v10
	v_ldexp_f32 v12, v12, v13
	v_cndmask_b32_e32 v12, 0, v12, vcc
	v_cmp_nlt_f32_e32 vcc, s64, v10
	v_add_f32_e32 v10, v181, v180
	v_add_f32_e32 v10, v183, v10
	;; [unrolled: 1-line block ×12, first 2 shown]
	v_cndmask_b32_e32 v12, v156, v12, vcc
	v_add_f32_e32 v10, v16, v10
	v_add_f32_e32 v10, v12, v10
	;; [unrolled: 1-line block ×3, first 2 shown]
	v_sub_f32_e32 v10, v179, v22
	v_mul_f32_e32 v13, 0x3fb8aa3b, v10
	v_fma_f32 v18, v10, s45, -v13
	v_rndne_f32_e32 v19, v13
	v_fmac_f32_e32 v18, 0x32a5705f, v10
	v_sub_f32_e32 v13, v13, v19
	v_add_f32_e32 v13, v13, v18
	v_exp_f32_e32 v13, v13
	v_cvt_i32_f32_e32 v18, v19
	v_cmp_ngt_f32_e32 vcc, s63, v10
	v_cvt_f16_f32_e32 v11, v11
	v_cvt_f16_f32_e32 v12, v12
	v_ldexp_f32 v13, v13, v18
	v_cndmask_b32_e32 v13, 0, v13, vcc
	v_cmp_nlt_f32_e32 vcc, s64, v10
	v_cndmask_b32_e32 v13, v156, v13, vcc
	v_cmp_le_f32_e32 vcc, s65, v10
	v_cndmask_b32_e32 v10, 0, v13, vcc
	v_fmac_f32_e32 v23, v178, v10
	v_cvt_f16_f32_e32 v10, v10
	v_cvt_f16_f32_e32 v13, v17
	v_pack_b32_f16 v11, v12, v11
	v_cvt_f16_f32_e32 v12, v188
	v_pk_mul_f16 v167, v10, v167 op_sel_hi:[0,1]
	v_pk_mul_f16 v65, v10, v65 op_sel_hi:[0,1]
	;; [unrolled: 1-line block ×10, first 2 shown]
	v_cvt_f16_f32_e32 v10, v16
	v_cvt_f16_f32_e32 v14, v14
	;; [unrolled: 1-line block ×4, first 2 shown]
	v_pack_b32_f16 v10, v13, v10
	v_cvt_f16_f32_e32 v13, v189
	v_cvt_f16_f32_e32 v168, v183
	v_pack_b32_f16 v12, v13, v12
	v_cvt_f16_f32_e32 v13, v15
	v_cvt_f16_f32_e32 v15, v185
	v_pack_b32_f16 v13, v14, v13
	v_cvt_f16_f32_e32 v14, v184
	v_pack_b32_f16 v14, v15, v14
	;; [unrolled: 2-line block ×5, first 2 shown]
	v_add_co_u32_e32 v168, vcc, v78, v62
	v_addc_co_u32_e32 v169, vcc, 0, v1, vcc
	global_load_dwordx4 v[172:175], v[168:169], off
	v_add_co_u32_e32 v168, vcc, v80, v62
	v_addc_co_u32_e32 v169, vcc, 0, v27, vcc
	v_add_co_u32_e32 v72, vcc, s7, v72
	v_addc_co_u32_e32 v73, vcc, 0, v73, vcc
	;; [unrolled: 2-line block ×3, first 2 shown]
	v_add_co_u32_e32 v76, vcc, s68, v76
	s_waitcnt vmcnt(0)
	ds_write_b128 v103, v[172:175]
	global_load_dwordx4 v[172:175], v[168:169], off
	s_waitcnt vmcnt(0)
	ds_write_b128 v104, v[172:175]
	s_waitcnt lgkmcnt(0)
	s_barrier
	ds_read_u16 v168, v85 offset:352
	v_cvt_f32_f16_e32 v174, v65
	v_cvt_f32_f16_sdwa v175, v65 dst_sel:DWORD dst_unused:UNUSED_PAD src0_sel:WORD_1
	ds_read_u16 v65, v87
	ds_read_u16 v176, v87 offset:32
	v_cvt_f32_f16_e32 v172, v167
	v_cvt_f32_f16_sdwa v173, v167 dst_sel:DWORD dst_unused:UNUSED_PAD src0_sel:WORD_1
	s_waitcnt lgkmcnt(1)
	v_perm_b32 v169, v65, v168, s51
	ds_read_u16 v65, v81
	ds_read_u16 v177, v81 offset:32
	ds_read_u16 v167, v85 offset:176
	;; [unrolled: 1-line block ×7, first 2 shown]
	s_waitcnt lgkmcnt(5)
	v_perm_b32 v168, v167, v65, s51
	s_nop 1
	v_mfma_f32_16x16x16f16 v[172:175], v[168:169], v[16:17], v[172:175]
	s_nop 7
	s_nop 2
	v_cvt_f16_f32_e32 v168, v174
	v_cvt_f16_f32_e32 v169, v175
	;; [unrolled: 1-line block ×4, first 2 shown]
	v_cvt_f32_f16_e32 v174, v168
	v_cvt_f32_f16_e32 v175, v169
	s_waitcnt lgkmcnt(0)
	v_perm_b32 v169, v182, v181, s51
	v_perm_b32 v168, v180, v179, s51
	v_cvt_f32_f16_e32 v172, v65
	v_cvt_f32_f16_e32 v173, v167
	ds_read_u16 v179, v81 offset:5632
	ds_read_u16 v180, v85 offset:5808
	;; [unrolled: 1-line block ×4, first 2 shown]
	v_mfma_f32_16x16x16f16 v[172:175], v[168:169], v[14:15], v[172:175]
	s_nop 7
	s_nop 2
	v_cvt_f16_f32_e32 v168, v174
	v_cvt_f16_f32_e32 v169, v175
	;; [unrolled: 1-line block ×4, first 2 shown]
	v_cvt_f32_f16_e32 v174, v168
	v_cvt_f32_f16_e32 v175, v169
	s_waitcnt lgkmcnt(0)
	v_perm_b32 v169, v182, v181, s51
	v_perm_b32 v168, v180, v179, s51
	v_cvt_f32_f16_e32 v172, v65
	v_cvt_f32_f16_e32 v173, v167
	ds_read_u16 v179, v81 offset:8448
	ds_read_u16 v180, v85 offset:8624
	;; [unrolled: 1-line block ×4, first 2 shown]
	v_mfma_f32_16x16x16f16 v[172:175], v[168:169], v[12:13], v[172:175]
	s_nop 7
	s_nop 2
	v_cvt_f16_f32_e32 v168, v174
	v_cvt_f16_f32_e32 v169, v175
	;; [unrolled: 1-line block ×4, first 2 shown]
	v_cvt_f32_f16_e32 v174, v168
	v_cvt_f32_f16_e32 v175, v169
	s_waitcnt lgkmcnt(0)
	v_perm_b32 v169, v182, v181, s51
	v_perm_b32 v168, v180, v179, s51
	v_cvt_f32_f16_e32 v172, v65
	v_cvt_f32_f16_e32 v173, v167
	s_nop 1
	v_mfma_f32_16x16x16f16 v[172:175], v[168:169], v[10:11], v[172:175]
	s_nop 7
	s_nop 2
	v_cvt_f16_f32_e32 v65, v172
	v_cvt_f16_f32_e32 v167, v173
	;; [unrolled: 1-line block ×4, first 2 shown]
	v_cvt_f32_f16_e32 v172, v89
	v_pack_b32_f16 v167, v65, v167
	v_cvt_f32_f16_sdwa v173, v89 dst_sel:DWORD dst_unused:UNUSED_PAD src0_sel:WORD_1
	v_pack_b32_f16 v65, v168, v169
	ds_read_u16 v168, v93 offset:352
	v_cvt_f32_f16_e32 v174, v88
	v_cvt_f32_f16_sdwa v175, v88 dst_sel:DWORD dst_unused:UNUSED_PAD src0_sel:WORD_1
	v_perm_b32 v88, v178, v177, s51
	s_waitcnt lgkmcnt(0)
	v_perm_b32 v89, v176, v168, s51
	ds_read_u16 v176, v81 offset:2848
	ds_read_u16 v177, v85 offset:3024
	ds_read_u16 v178, v94 offset:352
	ds_read_u16 v179, v87 offset:2848
	v_mfma_f32_16x16x16f16 v[172:175], v[88:89], v[16:17], v[172:175]
	s_nop 7
	s_nop 2
	v_cvt_f16_f32_e32 v88, v172
	v_cvt_f16_f32_e32 v89, v173
	v_cvt_f16_f32_e32 v168, v174
	v_cvt_f16_f32_e32 v169, v175
	v_cvt_f32_f16_e32 v172, v88
	v_cvt_f32_f16_e32 v173, v89
	s_waitcnt lgkmcnt(0)
	v_perm_b32 v89, v179, v178, s51
	v_perm_b32 v88, v177, v176, s51
	v_cvt_f32_f16_e32 v174, v168
	v_cvt_f32_f16_e32 v175, v169
	ds_read_u16 v176, v81 offset:5664
	ds_read_u16 v177, v85 offset:5840
	ds_read_u16 v178, v95 offset:352
	ds_read_u16 v179, v87 offset:5664
	v_mfma_f32_16x16x16f16 v[172:175], v[88:89], v[14:15], v[172:175]
	s_nop 7
	s_nop 2
	v_cvt_f16_f32_e32 v88, v172
	v_cvt_f16_f32_e32 v89, v173
	v_cvt_f16_f32_e32 v168, v174
	v_cvt_f16_f32_e32 v169, v175
	v_cvt_f32_f16_e32 v172, v88
	v_cvt_f32_f16_e32 v173, v89
	s_waitcnt lgkmcnt(0)
	v_perm_b32 v89, v179, v178, s51
	v_perm_b32 v88, v177, v176, s51
	v_cvt_f32_f16_e32 v174, v168
	v_cvt_f32_f16_e32 v175, v169
	;; [unrolled: 18-line block ×3, first 2 shown]
	s_nop 1
	v_mfma_f32_16x16x16f16 v[172:175], v[88:89], v[10:11], v[172:175]
	s_nop 7
	s_nop 2
	v_cvt_f16_f32_e32 v88, v172
	v_cvt_f16_f32_e32 v89, v173
	;; [unrolled: 1-line block ×4, first 2 shown]
	v_cvt_f32_f16_sdwa v173, v25 dst_sel:DWORD dst_unused:UNUSED_PAD src0_sel:WORD_1
	v_pack_b32_f16 v168, v88, v89
	ds_read_u16 v88, v81 offset:64
	ds_read_u16 v89, v85 offset:240
	;; [unrolled: 1-line block ×4, first 2 shown]
	v_pack_b32_f16 v169, v169, v172
	v_cvt_f32_f16_e32 v172, v25
	v_cvt_f32_f16_e32 v174, v24
	v_cvt_f32_f16_sdwa v175, v24 dst_sel:DWORD dst_unused:UNUSED_PAD src0_sel:WORD_1
	s_waitcnt lgkmcnt(0)
	v_perm_b32 v25, v177, v176, s51
	v_perm_b32 v24, v89, v88, s51
	ds_read_u16 v176, v81 offset:2880
	ds_read_u16 v177, v85 offset:3056
	ds_read_u16 v178, v98 offset:352
	ds_read_u16 v179, v87 offset:2880
	v_mfma_f32_16x16x16f16 v[172:175], v[24:25], v[16:17], v[172:175]
	s_nop 7
	s_nop 2
	v_cvt_f16_f32_e32 v24, v172
	v_cvt_f16_f32_e32 v25, v173
	v_cvt_f16_f32_e32 v88, v174
	v_cvt_f16_f32_e32 v89, v175
	v_cvt_f32_f16_e32 v172, v24
	v_cvt_f32_f16_e32 v173, v25
	s_waitcnt lgkmcnt(0)
	v_perm_b32 v25, v179, v178, s51
	v_perm_b32 v24, v177, v176, s51
	v_cvt_f32_f16_e32 v174, v88
	v_cvt_f32_f16_e32 v175, v89
	ds_read_u16 v176, v81 offset:5696
	ds_read_u16 v177, v85 offset:5872
	ds_read_u16 v178, v99 offset:352
	ds_read_u16 v179, v87 offset:5696
	v_mfma_f32_16x16x16f16 v[172:175], v[24:25], v[14:15], v[172:175]
	s_nop 7
	s_nop 2
	v_cvt_f16_f32_e32 v24, v172
	v_cvt_f16_f32_e32 v25, v173
	v_cvt_f16_f32_e32 v88, v174
	v_cvt_f16_f32_e32 v89, v175
	v_cvt_f32_f16_e32 v172, v24
	v_cvt_f32_f16_e32 v173, v25
	s_waitcnt lgkmcnt(0)
	v_perm_b32 v25, v179, v178, s51
	v_perm_b32 v24, v177, v176, s51
	v_cvt_f32_f16_e32 v174, v88
	v_cvt_f32_f16_e32 v175, v89
	;; [unrolled: 18-line block ×3, first 2 shown]
	v_cvt_f32_f16_e32 v176, v20
	v_cvt_f32_f16_sdwa v177, v20 dst_sel:DWORD dst_unused:UNUSED_PAD src0_sel:WORD_1
	v_mfma_f32_16x16x16f16 v[172:175], v[24:25], v[10:11], v[172:175]
	s_nop 7
	s_nop 2
	v_cvt_f16_f32_e32 v24, v172
	v_cvt_f16_f32_e32 v25, v173
	;; [unrolled: 1-line block ×4, first 2 shown]
	v_cvt_f32_f16_e32 v174, v21
	v_pack_b32_f16 v173, v24, v25
	v_cvt_f32_f16_sdwa v175, v21 dst_sel:DWORD dst_unused:UNUSED_PAD src0_sel:WORD_1
	v_pack_b32_f16 v172, v88, v89
	ds_read_u16 v24, v81 offset:96
	ds_read_u16 v25, v85 offset:272
	;; [unrolled: 1-line block ×4, first 2 shown]
	s_waitcnt lgkmcnt(2)
	v_perm_b32 v20, v25, v24, s51
	s_waitcnt lgkmcnt(0)
	v_perm_b32 v21, v89, v88, s51
	ds_read_u16 v88, v81 offset:2912
	ds_read_u16 v89, v85 offset:3088
	ds_read_u16 v178, v102 offset:352
	ds_read_u16 v179, v87 offset:2912
	v_mfma_f32_16x16x16f16 v[174:177], v[20:21], v[16:17], v[174:177]
	s_nop 7
	s_nop 2
	v_cvt_f16_f32_e32 v20, v174
	v_cvt_f16_f32_e32 v21, v175
	v_cvt_f16_f32_e32 v24, v176
	v_cvt_f16_f32_e32 v25, v177
	v_cvt_f32_f16_e32 v174, v20
	v_cvt_f32_f16_e32 v175, v21
	s_waitcnt lgkmcnt(0)
	v_perm_b32 v21, v179, v178, s51
	v_perm_b32 v20, v89, v88, s51
	v_cvt_f32_f16_e32 v176, v24
	v_cvt_f32_f16_e32 v177, v25
	ds_read_u16 v88, v81 offset:5728
	ds_read_u16 v89, v85 offset:5904
	ds_read_u16 v178, v109 offset:352
	ds_read_u16 v179, v87 offset:5728
	v_mfma_f32_16x16x16f16 v[174:177], v[20:21], v[14:15], v[174:177]
	s_nop 7
	s_nop 2
	v_cvt_f16_f32_e32 v20, v174
	v_cvt_f16_f32_e32 v21, v175
	v_cvt_f16_f32_e32 v24, v176
	v_cvt_f16_f32_e32 v25, v177
	v_cvt_f32_f16_e32 v174, v20
	v_cvt_f32_f16_e32 v175, v21
	s_waitcnt lgkmcnt(0)
	v_perm_b32 v21, v179, v178, s51
	v_perm_b32 v20, v89, v88, s51
	v_cvt_f32_f16_e32 v176, v24
	v_cvt_f32_f16_e32 v177, v25
	;; [unrolled: 18-line block ×3, first 2 shown]
	v_cvt_f32_f16_e32 v178, v18
	v_cvt_f32_f16_sdwa v179, v18 dst_sel:DWORD dst_unused:UNUSED_PAD src0_sel:WORD_1
	v_mfma_f32_16x16x16f16 v[174:177], v[20:21], v[10:11], v[174:177]
	s_nop 7
	s_nop 2
	v_cvt_f16_f32_e32 v20, v174
	v_cvt_f16_f32_e32 v21, v175
	v_cvt_f16_f32_e32 v24, v176
	v_cvt_f16_f32_e32 v25, v177
	v_cvt_f32_f16_e32 v176, v19
	v_pack_b32_f16 v175, v20, v21
	v_cvt_f32_f16_sdwa v177, v19 dst_sel:DWORD dst_unused:UNUSED_PAD src0_sel:WORD_1
	v_pack_b32_f16 v174, v24, v25
	ds_read_u16 v20, v81 offset:128
	ds_read_u16 v21, v85 offset:304
	;; [unrolled: 1-line block ×4, first 2 shown]
	s_waitcnt lgkmcnt(2)
	v_perm_b32 v18, v21, v20, s51
	s_waitcnt lgkmcnt(0)
	v_perm_b32 v19, v25, v24, s51
	ds_read_u16 v20, v81 offset:2944
	ds_read_u16 v24, v85 offset:3120
	ds_read_u16 v21, v112 offset:352
	ds_read_u16 v25, v87 offset:2944
	v_mfma_f32_16x16x16f16 v[16:19], v[18:19], v[16:17], v[176:179]
	s_waitcnt lgkmcnt(0)
	v_perm_b32 v21, v25, v21, s51
	v_perm_b32 v20, v24, v20, s51
	s_nop 7
	v_cvt_f16_f32_e32 v16, v16
	v_cvt_f16_f32_e32 v17, v17
	;; [unrolled: 1-line block ×4, first 2 shown]
	v_cvt_f32_f16_e32 v16, v16
	v_cvt_f32_f16_e32 v17, v17
	;; [unrolled: 1-line block ×4, first 2 shown]
	s_nop 1
	v_mfma_f32_16x16x16f16 v[14:17], v[20:21], v[14:15], v[16:19]
	s_nop 6
	ds_read_u16 v18, v81 offset:5760
	ds_read_u16 v20, v85 offset:5936
	;; [unrolled: 1-line block ×4, first 2 shown]
	s_waitcnt lgkmcnt(2)
	v_perm_b32 v18, v20, v18, s51
	s_waitcnt lgkmcnt(0)
	v_perm_b32 v19, v21, v19, s51
	v_cvt_f16_f32_e32 v14, v14
	v_cvt_f16_f32_e32 v15, v15
	;; [unrolled: 1-line block ×4, first 2 shown]
	v_cvt_f32_f16_e32 v14, v14
	v_cvt_f32_f16_e32 v15, v15
	;; [unrolled: 1-line block ×4, first 2 shown]
	s_nop 1
	v_mfma_f32_16x16x16f16 v[14:17], v[18:19], v[12:13], v[14:17]
	s_nop 7
	s_nop 2
	v_cvt_f16_f32_e32 v13, v14
	v_cvt_f16_f32_e32 v14, v15
	;; [unrolled: 1-line block ×4, first 2 shown]
	ds_read_u16 v12, v81 offset:8576
	ds_read_u16 v17, v85 offset:8752
	;; [unrolled: 1-line block ×4, first 2 shown]
	v_cvt_f32_f16_e32 v176, v13
	v_cvt_f32_f16_e32 v177, v14
	s_waitcnt lgkmcnt(2)
	v_perm_b32 v12, v17, v12, s51
	v_cvt_f32_f16_e32 v178, v15
	s_waitcnt lgkmcnt(0)
	v_perm_b32 v13, v19, v18, s51
	v_cvt_f32_f16_e32 v179, v16
	s_barrier
	s_nop 0
	v_mfma_f32_16x16x16f16 v[10:13], v[12:13], v[10:11], v[176:179]
	s_nop 7
	s_nop 2
	v_cvt_f16_f32_e32 v10, v10
	v_cvt_f16_f32_e32 v11, v11
	;; [unrolled: 1-line block ×4, first 2 shown]
	v_pack_b32_f16 v177, v10, v11
	v_mov_b32_e32 v10, s69
	v_addc_co_u32_e32 v77, vcc, v77, v10, vcc
	v_add_co_u32_e32 v78, vcc, s68, v78
	v_addc_co_u32_e32 v1, vcc, v1, v10, vcc
	v_add_co_u32_e32 v80, vcc, s68, v80
	v_addc_co_u32_e32 v27, vcc, v27, v10, vcc
	v_add_co_u32_e32 v82, vcc, s70, v82
	v_mov_b32_e32 v10, s71
	v_addc_co_u32_e32 v83, vcc, v83, v10, vcc
	v_add_co_u32_e32 v84, vcc, s70, v84
	v_addc_co_u32_e32 v29, vcc, v29, v10, vcc
	v_add_co_u32_e32 v86, vcc, s70, v86
	v_pack_b32_f16 v176, v12, v13
	v_addc_co_u32_e32 v31, vcc, v31, v10, vcc
	s_cbranch_scc0 .LBB9_177
; %bb.176:                              ;   in Loop: Header=BB9_171 Depth=2
	v_mov_b32_e32 v178, v23
	v_mov_b32_e32 v179, v22
	s_branch .LBB9_171
.LBB9_177:                              ;   in Loop: Header=BB9_15 Depth=1
	s_lshl_b32 s60, s50, 6
	s_lshl_b64 s[2:3], s[60:61], 1
	v_mov_b32_e32 v1, s3
	v_add_co_u32_e32 v10, vcc, s2, v64
	v_addc_co_u32_e32 v1, vcc, v157, v1, vcc
	v_lshlrev_b32_e32 v11, 1, v38
	v_add_co_u32_e32 v14, vcc, v10, v11
	v_addc_co_u32_e32 v1, vcc, 0, v1, vcc
	v_lshlrev_b64 v[10:11], 1, v[68:69]
	v_add_co_u32_e32 v10, vcc, v14, v10
	v_addc_co_u32_e32 v11, vcc, v1, v11, vcc
	v_lshlrev_b64 v[12:13], 1, v[70:71]
	v_add_co_u32_e32 v12, vcc, v14, v12
	v_addc_co_u32_e32 v13, vcc, v1, v13, vcc
	global_load_dword v1, v[10:11], off
	s_nop 0
	global_load_dword v10, v[12:13], off
	s_mul_i32 s3, s41, s60
	s_mul_hi_u32 s4, s40, s60
	s_mul_i32 s2, s40, s60
	s_add_i32 s3, s4, s3
	s_lshl_b64 s[4:5], s[2:3], 2
	s_add_u32 s3, s52, s4
	v_add_u32_e32 v11, v123, v148
	s_addc_u32 s2, s62, s5
	s_waitcnt vmcnt(1)
	ds_write_b32 v11, v1 offset:11264
	s_waitcnt vmcnt(0)
	ds_write_b32 v11, v10 offset:12416
	s_and_saveexec_b64 s[4:5], s[0:1]
	s_cbranch_execz .LBB9_179
; %bb.178:                              ;   in Loop: Header=BB9_15 Depth=1
	v_mov_b32_e32 v1, s2
	v_add_co_u32_e32 v10, vcc, s3, v36
	v_addc_co_u32_e32 v1, vcc, v1, v37, vcc
	v_lshlrev_b32_e32 v11, 2, v28
	v_add_co_u32_e32 v10, vcc, v10, v11
	v_addc_co_u32_e32 v11, vcc, 0, v1, vcc
	global_load_dwordx4 v[10:13], v[10:11], off offset:128
	s_waitcnt vmcnt(0)
	ds_write_b128 v107, v[10:13]
.LBB9_179:                              ;   in Loop: Header=BB9_15 Depth=1
	s_or_b64 exec, exec, s[4:5]
	v_add_co_u32_e32 v1, vcc, s3, v44
	v_mov_b32_e32 v10, s2
	v_addc_co_u32_e32 v11, vcc, v10, v45, vcc
	v_lshlrev_b32_e32 v25, 2, v30
	v_add_co_u32_e32 v10, vcc, v1, v25
	v_addc_co_u32_e32 v11, vcc, 0, v11, vcc
	global_load_dwordx4 v[10:13], v[10:11], off
	v_add_co_u32_e32 v1, vcc, s3, v46
	v_xor_b32_e32 v24, 32, v155
	v_xor_b32_e32 v31, 16, v155
	s_mul_hi_u32 s3, s60, s30
	s_waitcnt vmcnt(0)
	ds_write_b128 v103, v[10:13]
	v_mov_b32_e32 v10, s2
	v_addc_co_u32_e32 v11, vcc, v10, v47, vcc
	v_add_co_u32_e32 v10, vcc, v1, v25
	v_addc_co_u32_e32 v11, vcc, 0, v11, vcc
	global_load_dwordx4 v[10:13], v[10:11], off
	v_add_u32_e32 v1, 0x800, v53
	s_mul_i32 s2, s60, s31
	s_add_i32 s3, s3, s2
	s_mul_i32 s2, s60, s30
	s_lshl_b64 s[4:5], s[2:3], 2
	s_add_u32 s3, s57, s4
	s_addc_u32 s2, s94, s5
	s_waitcnt vmcnt(0)
	ds_write_b128 v104, v[10:13]
	s_waitcnt lgkmcnt(0)
	s_barrier
	ds_read2_b64 v[10:13], v53 offset1:4
	s_waitcnt lgkmcnt(0)
	v_mfma_f32_16x16x16f16 v[14:17], v[10:11], v[6:7], 0
	v_mfma_f32_16x16x16f16 v[10:13], v[12:13], v[8:9], v[14:17]
	s_nop 7
	s_nop 1
	ds_read2_b64 v[14:17], v53 offset0:8 offset1:12
	s_waitcnt lgkmcnt(0)
	v_mfma_f32_16x16x16f16 v[10:13], v[14:15], v[2:3], v[10:13]
	ds_read_b64 v[14:15], v53 offset:128
	v_mfma_f32_16x16x16f16 v[10:13], v[16:17], v[4:5], v[10:13]
	s_waitcnt lgkmcnt(0)
	v_mfma_f32_16x16x16f16 v[18:21], v[14:15], v[66:67], v[10:13]
	s_nop 7
	s_nop 0
	ds_read2_b64 v[10:13], v1 offset0:96 offset1:100
	s_waitcnt lgkmcnt(0)
	v_mfma_f32_16x16x16f16 v[14:17], v[10:11], v[6:7], 0
	v_mfma_f32_16x16x16f16 v[10:13], v[12:13], v[8:9], v[14:17]
	s_nop 7
	s_nop 1
	ds_read2_b64 v[14:17], v1 offset0:104 offset1:108
	s_waitcnt lgkmcnt(0)
	v_mfma_f32_16x16x16f16 v[10:13], v[14:15], v[2:3], v[10:13]
	ds_read_b64 v[14:15], v53 offset:2944
	v_add_u32_e32 v1, 0x1000, v53
	v_mfma_f32_16x16x16f16 v[10:13], v[16:17], v[4:5], v[10:13]
	s_waitcnt lgkmcnt(0)
	v_mfma_f32_16x16x16f16 v[14:17], v[14:15], v[66:67], v[10:13]
	s_nop 7
	s_nop 0
	ds_read2_b64 v[10:13], v1 offset0:192 offset1:196
	s_waitcnt lgkmcnt(0)
	v_mfma_f32_16x16x16f16 v[68:71], v[10:11], v[6:7], 0
	v_mfma_f32_16x16x16f16 v[10:13], v[12:13], v[8:9], v[68:71]
	s_nop 7
	s_nop 1
	ds_read2_b64 v[68:71], v1 offset0:200 offset1:204
	s_waitcnt lgkmcnt(0)
	v_mfma_f32_16x16x16f16 v[10:13], v[68:69], v[2:3], v[10:13]
	ds_read_b64 v[68:69], v53 offset:5760
	v_add_u32_e32 v1, 0x2000, v53
	v_mfma_f32_16x16x16f16 v[10:13], v[70:71], v[4:5], v[10:13]
	s_waitcnt lgkmcnt(0)
	v_mfma_f32_16x16x16f16 v[10:13], v[68:69], v[66:67], v[10:13]
	ds_read2_b64 v[68:71], v1 offset0:32 offset1:36
	s_waitcnt lgkmcnt(0)
	v_mfma_f32_16x16x16f16 v[72:75], v[68:69], v[6:7], 0
	v_mfma_f32_16x16x16f16 v[6:9], v[70:71], v[8:9], v[72:75]
	ds_read2_b64 v[68:71], v1 offset0:40 offset1:44
	v_add_u32_e32 v1, 0x2c00, v150
	s_waitcnt lgkmcnt(0)
	v_mfma_f32_16x16x16f16 v[6:9], v[68:69], v[2:3], v[6:9]
	v_mfma_f32_16x16x16f16 v[2:5], v[70:71], v[4:5], v[6:9]
	s_nop 7
	s_nop 1
	ds_read_b64 v[6:7], v53 offset:8576
	s_waitcnt lgkmcnt(0)
	s_barrier
	ds_read_b32 v27, v63 offset:11264
	ds_read_b32 v29, v79 offset:11264
	v_mfma_f32_16x16x16f16 v[2:5], v[6:7], v[66:67], v[2:5]
	s_waitcnt lgkmcnt(0)
	v_cvt_f32_f16_sdwa v69, v29 dst_sel:DWORD dst_unused:UNUSED_PAD src0_sel:WORD_1
	v_cvt_f32_f16_e32 v68, v29
	ds_read2_b32 v[6:7], v1 offset1:1
	v_add_u32_e32 v1, 0x2c00, v151
	ds_read2_b32 v[66:67], v1 offset1:1
	v_pk_add_f32 v[20:21], v[20:21], v[68:69]
	v_cvt_f32_f16_sdwa v69, v27 dst_sel:DWORD dst_unused:UNUSED_PAD src0_sel:WORD_1
	v_cvt_f32_f16_e32 v68, v27
	v_add_u32_e32 v1, 0x2c00, v152
	ds_read2_b32 v[8:9], v1 offset1:1
	v_and_b32_e32 v1, 64, v155
	v_pk_add_f32 v[18:19], v[18:19], v[68:69]
	s_waitcnt lgkmcnt(2)
	v_cvt_f32_f16_e32 v68, v7
	v_cvt_f32_f16_sdwa v69, v7 dst_sel:DWORD dst_unused:UNUSED_PAD src0_sel:WORD_1
	v_add_u32_e32 v1, 64, v1
	v_cmp_lt_i32_e32 vcc, v24, v1
	v_cndmask_b32_e32 v24, v155, v24, vcc
	v_pk_add_f32 v[16:17], v[16:17], v[68:69]
	v_cvt_f32_f16_e32 v68, v6
	v_cvt_f32_f16_sdwa v69, v6 dst_sel:DWORD dst_unused:UNUSED_PAD src0_sel:WORD_1
	v_cmp_lt_i32_e32 vcc, v31, v1
	v_add_f32_e32 v27, 0x40051340, v18
	v_add_f32_e32 v64, 0x40051340, v19
	v_cndmask_b32_e32 v1, v155, v31, vcc
	v_add_f32_e32 v29, 0x40051340, v20
	v_add_f32_e32 v31, 0x40051340, v21
	v_max3_f32 v27, v22, v27, v64
	v_pk_add_f32 v[14:15], v[14:15], v[68:69]
	v_max3_f32 v27, v27, v29, v31
	v_add_f32_e32 v6, 0x40051340, v14
	v_add_f32_e32 v31, 0x40051340, v15
	;; [unrolled: 1-line block ×4, first 2 shown]
	v_max3_f32 v6, v27, v6, v31
	v_max3_f32 v27, v6, v7, v29
	s_waitcnt lgkmcnt(1)
	v_cvt_f32_f16_e32 v6, v67
	v_cvt_f32_f16_sdwa v7, v67 dst_sel:DWORD dst_unused:UNUSED_PAD src0_sel:WORD_1
	v_lshlrev_b32_e32 v24, 2, v24
	v_lshlrev_b32_e32 v1, 2, v1
	v_pk_add_f32 v[6:7], v[12:13], v[6:7]
	v_cvt_f32_f16_e32 v12, v66
	v_cvt_f32_f16_sdwa v13, v66 dst_sel:DWORD dst_unused:UNUSED_PAD src0_sel:WORD_1
	v_add_f32_e32 v29, 0x40051340, v6
	v_add_f32_e32 v31, 0x40051340, v7
	v_pk_add_f32 v[10:11], v[10:11], v[12:13]
	v_add_f32_e32 v12, 0x40051340, v10
	v_add_f32_e32 v13, 0x40051340, v11
	v_max3_f32 v12, v27, v12, v13
	v_max3_f32 v27, v12, v29, v31
	s_waitcnt lgkmcnt(0)
	v_cvt_f32_f16_e32 v12, v9
	v_cvt_f32_f16_sdwa v13, v9 dst_sel:DWORD dst_unused:UNUSED_PAD src0_sel:WORD_1
	v_pk_add_f32 v[4:5], v[4:5], v[12:13]
	v_cvt_f32_f16_e32 v12, v8
	v_cvt_f32_f16_sdwa v13, v8 dst_sel:DWORD dst_unused:UNUSED_PAD src0_sel:WORD_1
	v_add_f32_e32 v29, 0x40051340, v4
	v_add_f32_e32 v31, 0x40051340, v5
	v_pk_add_f32 v[8:9], v[2:3], v[12:13]
	v_add_f32_e32 v2, 0x40051340, v8
	v_add_f32_e32 v3, 0x40051340, v9
	v_max3_f32 v2, v27, v2, v3
	v_max3_f32 v2, v2, v29, v31
	ds_bpermute_b32 v3, v24, v2
	s_waitcnt lgkmcnt(0)
	v_max_f32_e32 v3, v3, v3
	v_max_f32_e32 v2, v2, v3
	ds_bpermute_b32 v3, v1, v2
	s_and_saveexec_b64 s[4:5], s[0:1]
	v_readlane_b32 s52, v192, 34
	s_cbranch_execz .LBB9_181
; %bb.180:                              ;   in Loop: Header=BB9_15 Depth=1
	v_mov_b32_e32 v12, s2
	v_add_co_u32_e32 v13, vcc, s3, v34
	v_addc_co_u32_e32 v27, vcc, v12, v35, vcc
	v_lshlrev_b32_e32 v12, 2, v28
	v_add_co_u32_e32 v12, vcc, v13, v12
	v_addc_co_u32_e32 v13, vcc, 0, v27, vcc
	global_load_dwordx4 v[66:69], v[12:13], off offset:128
	s_waitcnt vmcnt(0)
	ds_write_b128 v61, v[66:69]
.LBB9_181:                              ;   in Loop: Header=BB9_15 Depth=1
	s_or_b64 exec, exec, s[4:5]
	s_waitcnt lgkmcnt(0)
	v_max_f32_e32 v3, v3, v3
	v_max_f32_e32 v2, v2, v2
	;; [unrolled: 1-line block ×3, first 2 shown]
	v_pk_add_f32 v[12:13], v[18:19], v[2:3] op_sel_hi:[1,0] neg_lo:[0,1] neg_hi:[0,1]
	v_mul_f32_e32 v3, 0x3fb8aa3b, v13
	v_fma_f32 v18, v13, s45, -v3
	v_rndne_f32_e32 v19, v3
	v_fmac_f32_e32 v18, 0x32a5705f, v13
	v_sub_f32_e32 v3, v3, v19
	v_add_f32_e32 v3, v3, v18
	v_exp_f32_e32 v3, v3
	v_cvt_i32_f32_e32 v18, v19
	v_cmp_ngt_f32_e32 vcc, s63, v13
	s_cmp_lg_u64 s[72:73], 0
	v_ldexp_f32 v3, v3, v18
	v_cndmask_b32_e32 v3, 0, v3, vcc
	v_cmp_nlt_f32_e32 vcc, s64, v13
	v_cndmask_b32_e32 v27, v156, v3, vcc
	v_mul_f32_e32 v3, 0x3fb8aa3b, v12
	v_fma_f32 v13, v12, s45, -v3
	v_rndne_f32_e32 v18, v3
	v_fmac_f32_e32 v13, 0x32a5705f, v12
	v_sub_f32_e32 v3, v3, v18
	v_add_f32_e32 v3, v3, v13
	v_exp_f32_e32 v3, v3
	v_cvt_i32_f32_e32 v13, v18
	v_cmp_ngt_f32_e32 vcc, s63, v12
	v_ldexp_f32 v3, v3, v13
	v_cndmask_b32_e32 v3, 0, v3, vcc
	v_cmp_nlt_f32_e32 vcc, s64, v12
	v_pk_add_f32 v[12:13], v[20:21], v[2:3] op_sel_hi:[1,0] neg_lo:[0,1] neg_hi:[0,1]
	v_cndmask_b32_e32 v29, v156, v3, vcc
	v_mul_f32_e32 v3, 0x3fb8aa3b, v13
	v_fma_f32 v18, v13, s45, -v3
	v_rndne_f32_e32 v19, v3
	v_fmac_f32_e32 v18, 0x32a5705f, v13
	v_sub_f32_e32 v3, v3, v19
	v_add_f32_e32 v3, v3, v18
	v_exp_f32_e32 v3, v3
	v_cvt_i32_f32_e32 v18, v19
	v_cmp_ngt_f32_e32 vcc, s63, v13
	v_ldexp_f32 v3, v3, v18
	v_cndmask_b32_e32 v3, 0, v3, vcc
	v_cmp_nlt_f32_e32 vcc, s64, v13
	v_cndmask_b32_e32 v31, v156, v3, vcc
	v_mul_f32_e32 v3, 0x3fb8aa3b, v12
	v_fma_f32 v13, v12, s45, -v3
	v_rndne_f32_e32 v18, v3
	v_fmac_f32_e32 v13, 0x32a5705f, v12
	v_sub_f32_e32 v3, v3, v18
	v_add_f32_e32 v3, v3, v13
	v_exp_f32_e32 v3, v3
	v_cvt_i32_f32_e32 v13, v18
	v_cmp_ngt_f32_e32 vcc, s63, v12
	v_ldexp_f32 v3, v3, v13
	v_cndmask_b32_e32 v3, 0, v3, vcc
	v_cmp_nlt_f32_e32 vcc, s64, v12
	v_pk_add_f32 v[12:13], v[14:15], v[2:3] op_sel_hi:[1,0] neg_lo:[0,1] neg_hi:[0,1]
	v_cndmask_b32_e32 v64, v156, v3, vcc
	v_mul_f32_e32 v3, 0x3fb8aa3b, v13
	v_fma_f32 v14, v13, s45, -v3
	v_rndne_f32_e32 v15, v3
	v_fmac_f32_e32 v14, 0x32a5705f, v13
	v_sub_f32_e32 v3, v3, v15
	v_add_f32_e32 v3, v3, v14
	v_exp_f32_e32 v3, v3
	v_cvt_i32_f32_e32 v14, v15
	v_cmp_ngt_f32_e32 vcc, s63, v13
	;; [unrolled: 27-line block ×7, first 2 shown]
	v_ldexp_f32 v3, v3, v6
	v_cndmask_b32_e32 v3, 0, v3, vcc
	v_cmp_nlt_f32_e32 vcc, s64, v5
	v_cndmask_b32_e32 v5, v156, v3, vcc
	v_mul_f32_e32 v3, 0x3fb8aa3b, v4
	v_fma_f32 v6, v4, s45, -v3
	v_rndne_f32_e32 v7, v3
	v_fmac_f32_e32 v6, 0x32a5705f, v4
	v_sub_f32_e32 v3, v3, v7
	v_add_f32_e32 v3, v3, v6
	v_exp_f32_e32 v3, v3
	v_cvt_i32_f32_e32 v6, v7
	v_cmp_ngt_f32_e32 vcc, s63, v4
	v_ldexp_f32 v3, v3, v6
	v_cndmask_b32_e32 v3, 0, v3, vcc
	v_cmp_nlt_f32_e32 vcc, s64, v4
	v_cndmask_b32_e32 v70, v156, v3, vcc
	v_add_f32_e32 v3, v29, v27
	v_add_f32_e32 v3, v64, v3
	;; [unrolled: 1-line block ×3, first 2 shown]
	v_sub_f32_e32 v4, v22, v2
	v_add_f32_e32 v3, v67, v3
	v_mul_f32_e32 v6, 0x3fb8aa3b, v4
	v_add_f32_e32 v3, v66, v3
	v_fma_f32 v7, v4, s45, -v6
	v_rndne_f32_e32 v8, v6
	v_add_f32_e32 v3, v16, v3
	v_fmac_f32_e32 v7, 0x32a5705f, v4
	v_sub_f32_e32 v6, v6, v8
	v_add_f32_e32 v3, v13, v3
	v_add_f32_e32 v6, v6, v7
	;; [unrolled: 1-line block ×3, first 2 shown]
	v_exp_f32_e32 v6, v6
	v_cvt_i32_f32_e32 v7, v8
	v_add_f32_e32 v3, v11, v3
	v_add_f32_e32 v3, v17, v3
	;; [unrolled: 1-line block ×4, first 2 shown]
	v_ldexp_f32 v6, v6, v7
	v_cmp_ngt_f32_e32 vcc, s63, v4
	v_cvt_f16_f32_e32 v11, v11
	v_cvt_f16_f32_e32 v10, v10
	v_add_f32_e32 v3, v68, v3
	v_cndmask_b32_e32 v6, 0, v6, vcc
	v_cmp_nlt_f32_e32 vcc, s64, v4
	v_add_f32_e32 v3, v70, v3
	v_cndmask_b32_e32 v6, v156, v6, vcc
	v_cmp_le_f32_e32 vcc, s65, v4
	v_add_f32_e32 v3, v5, v3
	v_cndmask_b32_e32 v4, 0, v6, vcc
	v_fmac_f32_e32 v3, v23, v4
	v_cvt_f16_f32_e32 v4, v4
	v_pack_b32_f16 v10, v10, v11
	v_cvt_f16_f32_e32 v11, v12
	v_cvt_f16_f32_e32 v12, v17
	v_pk_mul_f16 v7, v4, v167 op_sel_hi:[0,1]
	v_pk_mul_f16 v6, v4, v65 op_sel_hi:[0,1]
	;; [unrolled: 1-line block ×10, first 2 shown]
	v_cvt_f16_f32_e32 v4, v68
	v_cvt_f16_f32_e32 v22, v69
	v_pack_b32_f16 v11, v12, v11
	v_cvt_f16_f32_e32 v12, v66
	v_cvt_f16_f32_e32 v17, v67
	;; [unrolled: 1-line block ×4, first 2 shown]
	v_pack_b32_f16 v4, v22, v4
	v_cvt_f16_f32_e32 v5, v5
	v_cvt_f16_f32_e32 v22, v70
	v_pack_b32_f16 v12, v17, v12
	v_pack_b32_f16 v13, v16, v13
	v_cvt_f16_f32_e32 v16, v27
	v_cvt_f16_f32_e32 v17, v29
	v_pack_b32_f16 v5, v22, v5
	v_cvt_f16_f32_e32 v22, v64
	v_mov_b32_e32 v23, s2
	v_pack_b32_f16 v16, v17, v16
	v_cvt_f16_f32_e32 v17, v31
	v_pack_b32_f16 v17, v22, v17
	v_add_co_u32_e32 v22, vcc, s3, v40
	v_addc_co_u32_e32 v23, vcc, v23, v41, vcc
	v_add_co_u32_e32 v22, vcc, v22, v25
	v_addc_co_u32_e32 v23, vcc, 0, v23, vcc
	global_load_dwordx4 v[64:67], v[22:23], off
	v_add_co_u32_e32 v22, vcc, s3, v42
	v_mov_b32_e32 v23, s2
	v_addc_co_u32_e32 v23, vcc, v23, v43, vcc
	v_add_co_u32_e32 v22, vcc, v22, v25
	v_addc_co_u32_e32 v23, vcc, 0, v23, vcc
	s_waitcnt vmcnt(0)
	ds_write_b128 v103, v[64:67]
	global_load_dwordx4 v[64:67], v[22:23], off
	s_waitcnt vmcnt(0)
	ds_write_b128 v104, v[64:67]
	s_waitcnt lgkmcnt(0)
	s_barrier
	ds_read_u16 v22, v85 offset:352
	v_cvt_f32_f16_e32 v66, v6
	v_cvt_f32_f16_sdwa v67, v6 dst_sel:DWORD dst_unused:UNUSED_PAD src0_sel:WORD_1
	ds_read_u16 v6, v87
	ds_read_u16 v23, v87 offset:32
	v_cvt_f32_f16_e32 v64, v7
	v_cvt_f32_f16_sdwa v65, v7 dst_sel:DWORD dst_unused:UNUSED_PAD src0_sel:WORD_1
	s_waitcnt lgkmcnt(1)
	v_perm_b32 v7, v6, v22, s51
	ds_read_u16 v6, v81
	ds_read_u16 v22, v81 offset:32
	ds_read_u16 v25, v85 offset:176
	;; [unrolled: 1-line block ×7, first 2 shown]
	s_waitcnt lgkmcnt(5)
	v_perm_b32 v6, v25, v6, s51
	s_nop 1
	v_mfma_f32_16x16x16f16 v[64:67], v[6:7], v[16:17], v[64:67]
	s_nop 7
	s_nop 2
	v_cvt_f16_f32_e32 v6, v64
	v_cvt_f16_f32_e32 v7, v65
	;; [unrolled: 1-line block ×4, first 2 shown]
	v_cvt_f32_f16_e32 v64, v6
	v_cvt_f32_f16_e32 v65, v7
	s_waitcnt lgkmcnt(0)
	v_perm_b32 v7, v70, v69, s51
	v_perm_b32 v6, v68, v31, s51
	v_cvt_f32_f16_e32 v66, v25
	v_cvt_f32_f16_e32 v67, v29
	ds_read_u16 v31, v81 offset:5632
	ds_read_u16 v68, v85 offset:5808
	;; [unrolled: 1-line block ×4, first 2 shown]
	v_mfma_f32_16x16x16f16 v[64:67], v[6:7], v[12:13], v[64:67]
	s_nop 7
	s_nop 2
	v_cvt_f16_f32_e32 v6, v64
	v_cvt_f16_f32_e32 v7, v65
	;; [unrolled: 1-line block ×4, first 2 shown]
	v_cvt_f32_f16_e32 v64, v6
	v_cvt_f32_f16_e32 v65, v7
	s_waitcnt lgkmcnt(0)
	v_perm_b32 v7, v70, v69, s51
	v_perm_b32 v6, v68, v31, s51
	v_cvt_f32_f16_e32 v66, v25
	v_cvt_f32_f16_e32 v67, v29
	ds_read_u16 v31, v81 offset:8448
	ds_read_u16 v68, v85 offset:8624
	;; [unrolled: 1-line block ×4, first 2 shown]
	v_mfma_f32_16x16x16f16 v[64:67], v[6:7], v[10:11], v[64:67]
	s_nop 7
	s_nop 2
	v_cvt_f16_f32_e32 v6, v64
	v_cvt_f16_f32_e32 v7, v65
	v_cvt_f16_f32_e32 v25, v66
	v_cvt_f16_f32_e32 v29, v67
	v_cvt_f32_f16_e32 v64, v6
	v_cvt_f32_f16_e32 v65, v7
	s_waitcnt lgkmcnt(0)
	v_perm_b32 v7, v70, v69, s51
	v_perm_b32 v6, v68, v31, s51
	v_cvt_f32_f16_e32 v66, v25
	v_cvt_f32_f16_e32 v67, v29
	s_nop 1
	v_mfma_f32_16x16x16f16 v[64:67], v[6:7], v[4:5], v[64:67]
	s_nop 7
	s_nop 2
	v_cvt_f16_f32_e32 v6, v64
	v_cvt_f16_f32_e32 v7, v65
	v_cvt_f16_f32_e32 v25, v66
	v_cvt_f16_f32_e32 v29, v67
	v_cvt_f32_f16_e32 v64, v9
	v_pack_b32_f16 v6, v6, v7
	v_cvt_f32_f16_sdwa v65, v9 dst_sel:DWORD dst_unused:UNUSED_PAD src0_sel:WORD_1
	v_pack_b32_f16 v7, v25, v29
	ds_read_u16 v25, v93 offset:352
	v_cvt_f32_f16_e32 v66, v8
	v_cvt_f32_f16_sdwa v67, v8 dst_sel:DWORD dst_unused:UNUSED_PAD src0_sel:WORD_1
	v_perm_b32 v8, v27, v22, s51
	s_waitcnt lgkmcnt(0)
	v_perm_b32 v9, v23, v25, s51
	ds_read_u16 v25, v81 offset:2848
	ds_read_u16 v27, v85 offset:3024
	ds_read_u16 v29, v94 offset:352
	ds_read_u16 v31, v87 offset:2848
	v_mfma_f32_16x16x16f16 v[64:67], v[8:9], v[16:17], v[64:67]
	s_nop 7
	s_nop 2
	v_cvt_f16_f32_e32 v8, v64
	v_cvt_f16_f32_e32 v9, v65
	v_cvt_f16_f32_e32 v22, v66
	v_cvt_f16_f32_e32 v23, v67
	v_cvt_f32_f16_e32 v64, v8
	v_cvt_f32_f16_e32 v65, v9
	s_waitcnt lgkmcnt(0)
	v_perm_b32 v9, v31, v29, s51
	v_perm_b32 v8, v27, v25, s51
	v_cvt_f32_f16_e32 v66, v22
	v_cvt_f32_f16_e32 v67, v23
	ds_read_u16 v25, v81 offset:5664
	ds_read_u16 v27, v85 offset:5840
	ds_read_u16 v29, v95 offset:352
	ds_read_u16 v31, v87 offset:5664
	v_mfma_f32_16x16x16f16 v[64:67], v[8:9], v[12:13], v[64:67]
	s_nop 7
	s_nop 2
	v_cvt_f16_f32_e32 v8, v64
	v_cvt_f16_f32_e32 v9, v65
	v_cvt_f16_f32_e32 v22, v66
	v_cvt_f16_f32_e32 v23, v67
	v_cvt_f32_f16_e32 v64, v8
	v_cvt_f32_f16_e32 v65, v9
	s_waitcnt lgkmcnt(0)
	v_perm_b32 v9, v31, v29, s51
	v_perm_b32 v8, v27, v25, s51
	v_cvt_f32_f16_e32 v66, v22
	v_cvt_f32_f16_e32 v67, v23
	;; [unrolled: 18-line block ×3, first 2 shown]
	s_nop 1
	v_mfma_f32_16x16x16f16 v[64:67], v[8:9], v[4:5], v[64:67]
	s_nop 7
	s_nop 2
	v_cvt_f16_f32_e32 v8, v64
	v_cvt_f16_f32_e32 v9, v65
	;; [unrolled: 1-line block ×4, first 2 shown]
	v_cvt_f32_f16_e32 v64, v15
	v_pack_b32_f16 v8, v8, v9
	v_cvt_f32_f16_sdwa v65, v15 dst_sel:DWORD dst_unused:UNUSED_PAD src0_sel:WORD_1
	v_pack_b32_f16 v9, v22, v23
	ds_read_u16 v22, v81 offset:64
	ds_read_u16 v23, v85 offset:240
	;; [unrolled: 1-line block ×4, first 2 shown]
	v_cvt_f32_f16_e32 v66, v14
	v_cvt_f32_f16_sdwa v67, v14 dst_sel:DWORD dst_unused:UNUSED_PAD src0_sel:WORD_1
	s_waitcnt lgkmcnt(2)
	v_perm_b32 v14, v23, v22, s51
	s_waitcnt lgkmcnt(0)
	v_perm_b32 v15, v27, v25, s51
	ds_read_u16 v25, v81 offset:2880
	ds_read_u16 v27, v85 offset:3056
	ds_read_u16 v29, v98 offset:352
	ds_read_u16 v31, v87 offset:2880
	v_mfma_f32_16x16x16f16 v[64:67], v[14:15], v[16:17], v[64:67]
	s_nop 7
	s_nop 2
	v_cvt_f16_f32_e32 v14, v64
	v_cvt_f16_f32_e32 v15, v65
	v_cvt_f16_f32_e32 v22, v66
	v_cvt_f16_f32_e32 v23, v67
	v_cvt_f32_f16_e32 v64, v14
	v_cvt_f32_f16_e32 v65, v15
	s_waitcnt lgkmcnt(0)
	v_perm_b32 v15, v31, v29, s51
	v_perm_b32 v14, v27, v25, s51
	v_cvt_f32_f16_e32 v66, v22
	v_cvt_f32_f16_e32 v67, v23
	ds_read_u16 v25, v81 offset:5696
	ds_read_u16 v27, v85 offset:5872
	ds_read_u16 v29, v99 offset:352
	ds_read_u16 v31, v87 offset:5696
	v_mfma_f32_16x16x16f16 v[64:67], v[14:15], v[12:13], v[64:67]
	s_nop 7
	s_nop 2
	v_cvt_f16_f32_e32 v14, v64
	v_cvt_f16_f32_e32 v15, v65
	v_cvt_f16_f32_e32 v22, v66
	v_cvt_f16_f32_e32 v23, v67
	v_cvt_f32_f16_e32 v64, v14
	v_cvt_f32_f16_e32 v65, v15
	s_waitcnt lgkmcnt(0)
	v_perm_b32 v15, v31, v29, s51
	v_perm_b32 v14, v27, v25, s51
	v_cvt_f32_f16_e32 v66, v22
	v_cvt_f32_f16_e32 v67, v23
	;; [unrolled: 18-line block ×3, first 2 shown]
	s_nop 1
	v_mfma_f32_16x16x16f16 v[64:67], v[14:15], v[4:5], v[64:67]
	s_nop 7
	s_nop 2
	v_cvt_f16_f32_e32 v14, v64
	v_cvt_f16_f32_e32 v15, v65
	;; [unrolled: 1-line block ×4, first 2 shown]
	v_cvt_f32_f16_e32 v64, v19
	v_pack_b32_f16 v14, v14, v15
	v_cvt_f32_f16_sdwa v65, v19 dst_sel:DWORD dst_unused:UNUSED_PAD src0_sel:WORD_1
	v_pack_b32_f16 v15, v22, v23
	ds_read_u16 v22, v81 offset:96
	ds_read_u16 v23, v85 offset:272
	;; [unrolled: 1-line block ×4, first 2 shown]
	v_cvt_f32_f16_e32 v66, v18
	v_cvt_f32_f16_sdwa v67, v18 dst_sel:DWORD dst_unused:UNUSED_PAD src0_sel:WORD_1
	s_waitcnt lgkmcnt(2)
	v_perm_b32 v18, v23, v22, s51
	s_waitcnt lgkmcnt(0)
	v_perm_b32 v19, v27, v25, s51
	ds_read_u16 v25, v81 offset:2912
	ds_read_u16 v27, v85 offset:3088
	ds_read_u16 v29, v102 offset:352
	ds_read_u16 v31, v87 offset:2912
	v_mfma_f32_16x16x16f16 v[64:67], v[18:19], v[16:17], v[64:67]
	s_nop 7
	s_nop 2
	v_cvt_f16_f32_e32 v18, v64
	v_cvt_f16_f32_e32 v19, v65
	v_cvt_f16_f32_e32 v22, v66
	v_cvt_f16_f32_e32 v23, v67
	v_cvt_f32_f16_e32 v64, v18
	v_cvt_f32_f16_e32 v65, v19
	s_waitcnt lgkmcnt(0)
	v_perm_b32 v19, v31, v29, s51
	v_perm_b32 v18, v27, v25, s51
	v_cvt_f32_f16_e32 v66, v22
	v_cvt_f32_f16_e32 v67, v23
	ds_read_u16 v25, v81 offset:5728
	ds_read_u16 v27, v85 offset:5904
	ds_read_u16 v29, v109 offset:352
	ds_read_u16 v31, v87 offset:5728
	v_mfma_f32_16x16x16f16 v[64:67], v[18:19], v[12:13], v[64:67]
	s_nop 7
	s_nop 2
	v_cvt_f16_f32_e32 v18, v64
	v_cvt_f16_f32_e32 v19, v65
	v_cvt_f16_f32_e32 v22, v66
	v_cvt_f16_f32_e32 v23, v67
	v_cvt_f32_f16_e32 v64, v18
	v_cvt_f32_f16_e32 v65, v19
	s_waitcnt lgkmcnt(0)
	v_perm_b32 v19, v31, v29, s51
	v_perm_b32 v18, v27, v25, s51
	v_cvt_f32_f16_e32 v66, v22
	v_cvt_f32_f16_e32 v67, v23
	;; [unrolled: 18-line block ×3, first 2 shown]
	s_nop 1
	v_mfma_f32_16x16x16f16 v[64:67], v[18:19], v[4:5], v[64:67]
	s_nop 7
	s_nop 2
	v_cvt_f16_f32_e32 v18, v64
	v_cvt_f16_f32_e32 v19, v65
	v_cvt_f16_f32_e32 v22, v66
	v_cvt_f16_f32_e32 v23, v67
	v_cvt_f32_f16_e32 v64, v21
	v_pack_b32_f16 v18, v18, v19
	v_cvt_f32_f16_sdwa v65, v21 dst_sel:DWORD dst_unused:UNUSED_PAD src0_sel:WORD_1
	v_pack_b32_f16 v19, v22, v23
	ds_read_u16 v22, v81 offset:128
	ds_read_u16 v23, v85 offset:304
	;; [unrolled: 1-line block ×4, first 2 shown]
	v_cvt_f32_f16_e32 v66, v20
	v_cvt_f32_f16_sdwa v67, v20 dst_sel:DWORD dst_unused:UNUSED_PAD src0_sel:WORD_1
	s_waitcnt lgkmcnt(2)
	v_perm_b32 v20, v23, v22, s51
	s_waitcnt lgkmcnt(0)
	v_perm_b32 v21, v27, v25, s51
	ds_read_u16 v25, v81 offset:2944
	ds_read_u16 v27, v85 offset:3120
	;; [unrolled: 1-line block ×4, first 2 shown]
	v_mfma_f32_16x16x16f16 v[20:23], v[20:21], v[16:17], v[64:67]
	s_nop 7
	s_nop 2
	v_cvt_f16_f32_e32 v16, v20
	v_cvt_f16_f32_e32 v17, v21
	;; [unrolled: 1-line block ×4, first 2 shown]
	v_cvt_f32_f16_e32 v20, v16
	v_cvt_f32_f16_e32 v21, v17
	s_waitcnt lgkmcnt(0)
	v_perm_b32 v17, v31, v29, s51
	v_perm_b32 v16, v27, v25, s51
	v_cvt_f32_f16_e32 v22, v22
	v_cvt_f32_f16_e32 v23, v23
	ds_read_u16 v25, v81 offset:5760
	ds_read_u16 v27, v85 offset:5936
	;; [unrolled: 1-line block ×4, first 2 shown]
	v_mfma_f32_16x16x16f16 v[20:23], v[16:17], v[12:13], v[20:23]
	s_nop 7
	s_nop 2
	v_cvt_f16_f32_e32 v12, v20
	v_cvt_f16_f32_e32 v13, v21
	;; [unrolled: 1-line block ×4, first 2 shown]
	v_cvt_f32_f16_e32 v20, v12
	v_cvt_f32_f16_e32 v21, v13
	s_waitcnt lgkmcnt(0)
	v_perm_b32 v13, v31, v29, s51
	v_perm_b32 v12, v27, v25, s51
	v_cvt_f32_f16_e32 v22, v16
	v_cvt_f32_f16_e32 v23, v17
	s_nop 1
	v_mfma_f32_16x16x16f16 v[20:23], v[12:13], v[10:11], v[20:23]
	s_nop 7
	s_nop 2
	v_cvt_f16_f32_e32 v11, v20
	v_cvt_f16_f32_e32 v12, v21
	ds_read_u16 v10, v81 offset:8576
	ds_read_u16 v17, v85 offset:8752
	;; [unrolled: 1-line block ×4, first 2 shown]
	v_cvt_f16_f32_e32 v13, v22
	v_cvt_f16_f32_e32 v16, v23
	v_cvt_f32_f16_e32 v64, v11
	s_waitcnt lgkmcnt(2)
	v_perm_b32 v10, v17, v10, s51
	s_waitcnt lgkmcnt(0)
	v_perm_b32 v11, v21, v20, s51
	v_cvt_f32_f16_e32 v65, v12
	v_cvt_f32_f16_e32 v66, v13
	;; [unrolled: 1-line block ×3, first 2 shown]
	s_barrier
	s_nop 0
	v_mfma_f32_16x16x16f16 v[10:13], v[10:11], v[4:5], v[64:67]
	s_nop 7
	s_nop 2
	v_cvt_f16_f32_e32 v4, v10
	v_cvt_f16_f32_e32 v5, v11
	;; [unrolled: 1-line block ×4, first 2 shown]
	v_pack_b32_f16 v4, v4, v5
	v_pack_b32_f16 v5, v10, v11
	ds_bpermute_b32 v10, v24, v3
	s_waitcnt lgkmcnt(0)
	v_add_f32_e32 v3, v3, v10
	ds_bpermute_b32 v1, v1, v3
	s_waitcnt lgkmcnt(0)
	v_add_f32_e32 v3, v3, v1
	s_cbranch_scc0 .LBB9_234
; %bb.182:                              ;   in Loop: Header=BB9_15 Depth=1
	v_lshlrev_b32_e32 v1, 2, v54
	global_load_dword v1, v1, s[72:73]
	v_max_f32_e32 v10, v2, v2
	s_waitcnt vmcnt(0)
	v_max_f32_e32 v11, v1, v1
	v_max_f32_e32 v10, v10, v11
	v_sub_f32_e32 v11, v2, v10
	v_sub_f32_e32 v1, v1, v10
	v_mul_f32_e32 v12, 0x3fb8aa3b, v11
	v_mul_f32_e32 v13, 0x3fb8aa3b, v1
	v_fma_f32 v16, v11, s45, -v12
	v_rndne_f32_e32 v17, v12
	v_fma_f32 v20, v1, s45, -v13
	v_rndne_f32_e32 v21, v13
	v_fmac_f32_e32 v16, 0x32a5705f, v11
	v_sub_f32_e32 v12, v12, v17
	v_fmac_f32_e32 v20, 0x32a5705f, v1
	v_sub_f32_e32 v13, v13, v21
	v_add_f32_e32 v12, v12, v16
	v_cvt_i32_f32_e32 v17, v17
	v_add_f32_e32 v13, v13, v20
	v_exp_f32_e32 v12, v12
	v_cvt_i32_f32_e32 v21, v21
	v_exp_f32_e32 v13, v13
	v_cmp_ngt_f32_e32 vcc, s63, v11
	v_ldexp_f32 v12, v12, v17
	v_cndmask_b32_e32 v12, 0, v12, vcc
	v_ldexp_f32 v13, v13, v21
	v_cmp_ngt_f32_e32 vcc, s63, v1
	v_cndmask_b32_e32 v13, 0, v13, vcc
	v_cmp_nlt_f32_e32 vcc, s64, v11
	v_cndmask_b32_e32 v12, v156, v12, vcc
	v_cmp_le_f32_e32 vcc, s65, v11
	v_cndmask_b32_e32 v12, 0, v12, vcc
	v_cvt_f16_f32_e32 v25, v12
	v_cmp_nlt_f32_e32 vcc, s64, v1
	v_cndmask_b32_e32 v11, v156, v13, vcc
	v_fmac_f32_e32 v11, v3, v12
	v_pk_mul_f16 v12, v25, v6 op_sel_hi:[0,1]
	v_pk_mul_f16 v13, v25, v7 op_sel_hi:[0,1]
	;; [unrolled: 1-line block ×10, first 2 shown]
	s_cbranch_execnz .LBB9_184
.LBB9_183:                              ;   in Loop: Header=BB9_15 Depth=1
	v_pk_mov_b32 v[16:17], v[8:9], v[8:9] op_sel:[0,1]
	v_pk_mov_b32 v[12:13], v[6:7], v[6:7] op_sel:[0,1]
	;; [unrolled: 1-line block ×6, first 2 shown]
.LBB9_184:                              ;   in Loop: Header=BB9_15 Depth=1
	s_mov_b64 s[4:5], exec
	v_readlane_b32 s2, v192, 24
	v_readlane_b32 s3, v192, 25
	s_and_b64 s[2:3], s[4:5], s[2:3]
	s_mov_b64 exec, s[2:3]
	s_cbranch_execz .LBB9_186
; %bb.185:                              ;   in Loop: Header=BB9_15 Depth=1
	ds_write2_b32 v145, v10, v11 offset0:40 offset1:41
.LBB9_186:                              ;   in Loop: Header=BB9_15 Depth=1
	s_or_b64 exec, exec, s[4:5]
	v_mov_b32_e32 v1, 50
	s_waitcnt lgkmcnt(0)
	s_barrier
	ds_write2_b32 v146, v12, v13 offset1:1
	ds_write2_b32 v146, v16, v17 offset0:8 offset1:9
	ds_write2_b32 v146, v20, v21 offset0:16 offset1:17
	;; [unrolled: 1-line block ×4, first 2 shown]
	s_waitcnt lgkmcnt(0)
	s_barrier
	s_and_saveexec_b64 s[4:5], s[90:91]
	s_cbranch_execz .LBB9_188
; %bb.187:                              ;   in Loop: Header=BB9_15 Depth=1
	ds_read_b32 v1, v125 offset:164
	ds_read_b32 v4, v124
	v_mad_u64_u32 v[2:3], s[2:3], v166, s29, v[56:57]
	v_mad_u64_u32 v[2:3], s[2:3], v2, 40, v[52:53]
	v_ashrrev_i32_e32 v3, 31, v2
	v_lshlrev_b64 v[2:3], 3, v[2:3]
	v_add_co_u32_e32 v2, vcc, s95, v2
	v_mov_b32_e32 v5, s56
	v_addc_co_u32_e32 v3, vcc, v5, v3, vcc
	s_waitcnt lgkmcnt(0)
	v_cvt_f32_f16_sdwa v5, v4 dst_sel:DWORD dst_unused:UNUSED_PAD src0_sel:WORD_1
	v_cvt_f32_f16_e32 v4, v4
	v_pk_add_f32 v[4:5], v[4:5], 0 op_sel_hi:[1,0]
	v_div_scale_f32 v6, s[2:3], v1, v1, v5
	v_rcp_f32_e32 v7, v6
	v_fma_f32 v8, -v6, v7, 1.0
	v_fmac_f32_e32 v7, v8, v7
	v_div_scale_f32 v8, vcc, v5, v1, v5
	v_mul_f32_e32 v9, v8, v7
	v_fma_f32 v10, -v6, v9, v8
	v_fmac_f32_e32 v9, v10, v7
	v_fma_f32 v6, -v6, v9, v8
	v_div_fmas_f32 v6, v6, v7, v9
	v_div_fixup_f32 v5, v6, v1, v5
	v_div_scale_f32 v6, s[2:3], v1, v1, v4
	v_rcp_f32_e32 v7, v6
	v_fma_f32 v8, -v6, v7, 1.0
	v_fmac_f32_e32 v7, v8, v7
	v_div_scale_f32 v8, vcc, v4, v1, v4
	v_mul_f32_e32 v9, v8, v7
	v_fma_f32 v10, -v6, v9, v8
	v_fmac_f32_e32 v9, v10, v7
	v_fma_f32 v6, -v6, v9, v8
	v_div_fmas_f32 v6, v6, v7, v9
	v_div_fixup_f32 v4, v6, v1, v4
	v_mov_b32_e32 v1, 0
	global_store_dwordx2 v[2:3], v[4:5], off
.LBB9_188:                              ;   in Loop: Header=BB9_15 Depth=1
	s_or_b64 exec, exec, s[4:5]
	v_cmp_gt_i32_e32 vcc, 50, v1
	s_mov_b64 s[72:73], -1
	s_and_saveexec_b64 s[4:5], vcc
; %bb.189:                              ;   in Loop: Header=BB9_15 Depth=1
	v_cmp_eq_u32_e32 vcc, 0, v1
	s_orn2_b64 s[72:73], vcc, exec
; %bb.190:                              ;   in Loop: Header=BB9_15 Depth=1
	s_or_b64 exec, exec, s[4:5]
	s_and_saveexec_b64 s[4:5], s[72:73]
	s_cbranch_execz .LBB9_223
; %bb.191:                              ;   in Loop: Header=BB9_15 Depth=1
	v_mov_b32_e32 v1, 50
	s_and_saveexec_b64 s[72:73], s[88:89]
	s_cbranch_execz .LBB9_193
; %bb.192:                              ;   in Loop: Header=BB9_15 Depth=1
	ds_read_b32 v1, v125 offset:1572
	ds_read_b32 v4, v124 offset:1408
	v_mad_u64_u32 v[2:3], s[2:3], v165, s29, v[56:57]
	v_mad_u64_u32 v[2:3], s[2:3], v2, 40, v[52:53]
	v_ashrrev_i32_e32 v3, 31, v2
	v_lshlrev_b64 v[2:3], 3, v[2:3]
	v_add_co_u32_e32 v2, vcc, s95, v2
	v_mov_b32_e32 v5, s56
	v_addc_co_u32_e32 v3, vcc, v5, v3, vcc
	s_waitcnt lgkmcnt(0)
	v_cvt_f32_f16_sdwa v5, v4 dst_sel:DWORD dst_unused:UNUSED_PAD src0_sel:WORD_1
	v_cvt_f32_f16_e32 v4, v4
	v_pk_add_f32 v[4:5], v[4:5], 0 op_sel_hi:[1,0]
	v_div_scale_f32 v6, s[2:3], v1, v1, v5
	v_rcp_f32_e32 v7, v6
	v_fma_f32 v8, -v6, v7, 1.0
	v_fmac_f32_e32 v7, v8, v7
	v_div_scale_f32 v8, vcc, v5, v1, v5
	v_mul_f32_e32 v9, v8, v7
	v_fma_f32 v10, -v6, v9, v8
	v_fmac_f32_e32 v9, v10, v7
	v_fma_f32 v6, -v6, v9, v8
	v_div_fmas_f32 v6, v6, v7, v9
	v_div_fixup_f32 v5, v6, v1, v5
	v_div_scale_f32 v6, s[2:3], v1, v1, v4
	v_rcp_f32_e32 v7, v6
	v_fma_f32 v8, -v6, v7, 1.0
	v_fmac_f32_e32 v7, v8, v7
	v_div_scale_f32 v8, vcc, v4, v1, v4
	v_mul_f32_e32 v9, v8, v7
	v_fma_f32 v10, -v6, v9, v8
	v_fmac_f32_e32 v9, v10, v7
	v_fma_f32 v6, -v6, v9, v8
	v_div_fmas_f32 v6, v6, v7, v9
	v_div_fixup_f32 v4, v6, v1, v4
	v_mov_b32_e32 v1, 0
	global_store_dwordx2 v[2:3], v[4:5], off
.LBB9_193:                              ;   in Loop: Header=BB9_15 Depth=1
	s_or_b64 exec, exec, s[72:73]
	v_cmp_gt_i32_e32 vcc, 50, v1
	s_mov_b64 s[72:73], -1
	s_and_saveexec_b64 s[88:89], vcc
; %bb.194:                              ;   in Loop: Header=BB9_15 Depth=1
	v_cmp_eq_u32_e32 vcc, 0, v1
	s_orn2_b64 s[72:73], vcc, exec
; %bb.195:                              ;   in Loop: Header=BB9_15 Depth=1
	s_or_b64 exec, exec, s[88:89]
	s_and_b64 exec, exec, s[72:73]
	s_cbranch_execz .LBB9_223
; %bb.196:                              ;   in Loop: Header=BB9_15 Depth=1
	v_mov_b32_e32 v1, 50
	s_and_saveexec_b64 s[72:73], s[86:87]
	s_cbranch_execz .LBB9_198
; %bb.197:                              ;   in Loop: Header=BB9_15 Depth=1
	ds_read_b32 v1, v127 offset:164
	ds_read_b32 v4, v126
	v_mad_u64_u32 v[2:3], s[2:3], v164, s29, v[56:57]
	v_mad_u64_u32 v[2:3], s[2:3], v2, 40, v[52:53]
	v_ashrrev_i32_e32 v3, 31, v2
	v_lshlrev_b64 v[2:3], 3, v[2:3]
	v_add_co_u32_e32 v2, vcc, s95, v2
	v_mov_b32_e32 v5, s56
	v_addc_co_u32_e32 v3, vcc, v5, v3, vcc
	s_waitcnt lgkmcnt(0)
	v_cvt_f32_f16_sdwa v5, v4 dst_sel:DWORD dst_unused:UNUSED_PAD src0_sel:WORD_1
	v_cvt_f32_f16_e32 v4, v4
	v_pk_add_f32 v[4:5], v[4:5], 0 op_sel_hi:[1,0]
	v_div_scale_f32 v6, s[2:3], v1, v1, v5
	v_rcp_f32_e32 v7, v6
	v_fma_f32 v8, -v6, v7, 1.0
	v_fmac_f32_e32 v7, v8, v7
	v_div_scale_f32 v8, vcc, v5, v1, v5
	v_mul_f32_e32 v9, v8, v7
	v_fma_f32 v10, -v6, v9, v8
	v_fmac_f32_e32 v9, v10, v7
	v_fma_f32 v6, -v6, v9, v8
	v_div_fmas_f32 v6, v6, v7, v9
	v_div_fixup_f32 v5, v6, v1, v5
	v_div_scale_f32 v6, s[2:3], v1, v1, v4
	v_rcp_f32_e32 v7, v6
	v_fma_f32 v8, -v6, v7, 1.0
	v_fmac_f32_e32 v7, v8, v7
	v_div_scale_f32 v8, vcc, v4, v1, v4
	v_mul_f32_e32 v9, v8, v7
	v_fma_f32 v10, -v6, v9, v8
	v_fmac_f32_e32 v9, v10, v7
	v_fma_f32 v6, -v6, v9, v8
	v_div_fmas_f32 v6, v6, v7, v9
	v_div_fixup_f32 v4, v6, v1, v4
	v_mov_b32_e32 v1, 0
	global_store_dwordx2 v[2:3], v[4:5], off
.LBB9_198:                              ;   in Loop: Header=BB9_15 Depth=1
	s_or_b64 exec, exec, s[72:73]
	v_cmp_gt_i32_e32 vcc, 50, v1
	s_mov_b64 s[72:73], -1
	s_and_saveexec_b64 s[86:87], vcc
; %bb.199:                              ;   in Loop: Header=BB9_15 Depth=1
	v_cmp_eq_u32_e32 vcc, 0, v1
	s_orn2_b64 s[72:73], vcc, exec
; %bb.200:                              ;   in Loop: Header=BB9_15 Depth=1
	s_or_b64 exec, exec, s[86:87]
	s_and_b64 exec, exec, s[72:73]
	s_cbranch_execz .LBB9_223
; %bb.201:                              ;   in Loop: Header=BB9_15 Depth=1
	v_mov_b32_e32 v1, 50
	s_and_saveexec_b64 s[72:73], s[84:85]
	s_cbranch_execz .LBB9_203
; %bb.202:                              ;   in Loop: Header=BB9_15 Depth=1
	ds_read_b32 v1, v125 offset:4388
	ds_read_b32 v4, v124 offset:4224
	v_mad_u64_u32 v[2:3], s[2:3], v163, s29, v[56:57]
	v_mad_u64_u32 v[2:3], s[2:3], v2, 40, v[52:53]
	v_ashrrev_i32_e32 v3, 31, v2
	v_lshlrev_b64 v[2:3], 3, v[2:3]
	v_add_co_u32_e32 v2, vcc, s95, v2
	v_mov_b32_e32 v5, s56
	v_addc_co_u32_e32 v3, vcc, v5, v3, vcc
	s_waitcnt lgkmcnt(0)
	v_cvt_f32_f16_sdwa v5, v4 dst_sel:DWORD dst_unused:UNUSED_PAD src0_sel:WORD_1
	v_cvt_f32_f16_e32 v4, v4
	v_pk_add_f32 v[4:5], v[4:5], 0 op_sel_hi:[1,0]
	v_div_scale_f32 v6, s[2:3], v1, v1, v5
	v_rcp_f32_e32 v7, v6
	v_fma_f32 v8, -v6, v7, 1.0
	v_fmac_f32_e32 v7, v8, v7
	v_div_scale_f32 v8, vcc, v5, v1, v5
	v_mul_f32_e32 v9, v8, v7
	v_fma_f32 v10, -v6, v9, v8
	v_fmac_f32_e32 v9, v10, v7
	v_fma_f32 v6, -v6, v9, v8
	v_div_fmas_f32 v6, v6, v7, v9
	v_div_fixup_f32 v5, v6, v1, v5
	v_div_scale_f32 v6, s[2:3], v1, v1, v4
	v_rcp_f32_e32 v7, v6
	v_fma_f32 v8, -v6, v7, 1.0
	v_fmac_f32_e32 v7, v8, v7
	v_div_scale_f32 v8, vcc, v4, v1, v4
	v_mul_f32_e32 v9, v8, v7
	v_fma_f32 v10, -v6, v9, v8
	v_fmac_f32_e32 v9, v10, v7
	v_fma_f32 v6, -v6, v9, v8
	v_div_fmas_f32 v6, v6, v7, v9
	v_div_fixup_f32 v4, v6, v1, v4
	v_mov_b32_e32 v1, 0
	global_store_dwordx2 v[2:3], v[4:5], off
.LBB9_203:                              ;   in Loop: Header=BB9_15 Depth=1
	s_or_b64 exec, exec, s[72:73]
	v_cmp_gt_i32_e32 vcc, 50, v1
	s_mov_b64 s[72:73], -1
	s_and_saveexec_b64 s[84:85], vcc
; %bb.204:                              ;   in Loop: Header=BB9_15 Depth=1
	v_cmp_eq_u32_e32 vcc, 0, v1
	s_orn2_b64 s[72:73], vcc, exec
; %bb.205:                              ;   in Loop: Header=BB9_15 Depth=1
	s_or_b64 exec, exec, s[84:85]
	s_and_b64 exec, exec, s[72:73]
	s_cbranch_execz .LBB9_223
; %bb.206:                              ;   in Loop: Header=BB9_15 Depth=1
	v_mov_b32_e32 v1, 50
	s_and_saveexec_b64 s[72:73], s[82:83]
	s_cbranch_execz .LBB9_208
; %bb.207:                              ;   in Loop: Header=BB9_15 Depth=1
	ds_read_b32 v1, v129 offset:164
	ds_read_b32 v4, v128
	v_mad_u64_u32 v[2:3], s[2:3], v162, s29, v[56:57]
	v_mad_u64_u32 v[2:3], s[2:3], v2, 40, v[52:53]
	v_ashrrev_i32_e32 v3, 31, v2
	v_lshlrev_b64 v[2:3], 3, v[2:3]
	v_add_co_u32_e32 v2, vcc, s95, v2
	v_mov_b32_e32 v5, s56
	v_addc_co_u32_e32 v3, vcc, v5, v3, vcc
	s_waitcnt lgkmcnt(0)
	v_cvt_f32_f16_sdwa v5, v4 dst_sel:DWORD dst_unused:UNUSED_PAD src0_sel:WORD_1
	v_cvt_f32_f16_e32 v4, v4
	v_pk_add_f32 v[4:5], v[4:5], 0 op_sel_hi:[1,0]
	v_div_scale_f32 v6, s[2:3], v1, v1, v5
	v_rcp_f32_e32 v7, v6
	v_fma_f32 v8, -v6, v7, 1.0
	v_fmac_f32_e32 v7, v8, v7
	v_div_scale_f32 v8, vcc, v5, v1, v5
	v_mul_f32_e32 v9, v8, v7
	v_fma_f32 v10, -v6, v9, v8
	v_fmac_f32_e32 v9, v10, v7
	v_fma_f32 v6, -v6, v9, v8
	v_div_fmas_f32 v6, v6, v7, v9
	v_div_fixup_f32 v5, v6, v1, v5
	v_div_scale_f32 v6, s[2:3], v1, v1, v4
	v_rcp_f32_e32 v7, v6
	v_fma_f32 v8, -v6, v7, 1.0
	v_fmac_f32_e32 v7, v8, v7
	v_div_scale_f32 v8, vcc, v4, v1, v4
	v_mul_f32_e32 v9, v8, v7
	v_fma_f32 v10, -v6, v9, v8
	v_fmac_f32_e32 v9, v10, v7
	v_fma_f32 v6, -v6, v9, v8
	v_div_fmas_f32 v6, v6, v7, v9
	v_div_fixup_f32 v4, v6, v1, v4
	v_mov_b32_e32 v1, 0
	global_store_dwordx2 v[2:3], v[4:5], off
.LBB9_208:                              ;   in Loop: Header=BB9_15 Depth=1
	s_or_b64 exec, exec, s[72:73]
	v_cmp_gt_i32_e32 vcc, 50, v1
	s_mov_b64 s[72:73], -1
	s_and_saveexec_b64 s[82:83], vcc
; %bb.209:                              ;   in Loop: Header=BB9_15 Depth=1
	v_cmp_eq_u32_e32 vcc, 0, v1
	s_orn2_b64 s[72:73], vcc, exec
; %bb.210:                              ;   in Loop: Header=BB9_15 Depth=1
	s_or_b64 exec, exec, s[82:83]
	s_and_b64 exec, exec, s[72:73]
	s_cbranch_execz .LBB9_223
; %bb.211:                              ;   in Loop: Header=BB9_15 Depth=1
	v_mov_b32_e32 v1, 50
	s_mov_b64 s[72:73], exec
	v_readlane_b32 s2, v192, 35
	v_readlane_b32 s3, v192, 36
	s_and_b64 s[2:3], s[72:73], s[2:3]
	s_mov_b64 exec, s[2:3]
	s_cbranch_execz .LBB9_213
; %bb.212:                              ;   in Loop: Header=BB9_15 Depth=1
	ds_read_b32 v1, v125 offset:7204
	ds_read_b32 v4, v124 offset:7040
	v_mad_u64_u32 v[2:3], s[2:3], v161, s29, v[56:57]
	v_mad_u64_u32 v[2:3], s[2:3], v2, 40, v[52:53]
	v_ashrrev_i32_e32 v3, 31, v2
	v_lshlrev_b64 v[2:3], 3, v[2:3]
	v_add_co_u32_e32 v2, vcc, s95, v2
	v_mov_b32_e32 v5, s56
	v_addc_co_u32_e32 v3, vcc, v5, v3, vcc
	s_waitcnt lgkmcnt(0)
	v_cvt_f32_f16_sdwa v5, v4 dst_sel:DWORD dst_unused:UNUSED_PAD src0_sel:WORD_1
	v_cvt_f32_f16_e32 v4, v4
	v_pk_add_f32 v[4:5], v[4:5], 0 op_sel_hi:[1,0]
	v_div_scale_f32 v6, s[2:3], v1, v1, v5
	v_rcp_f32_e32 v7, v6
	v_fma_f32 v8, -v6, v7, 1.0
	v_fmac_f32_e32 v7, v8, v7
	v_div_scale_f32 v8, vcc, v5, v1, v5
	v_mul_f32_e32 v9, v8, v7
	v_fma_f32 v10, -v6, v9, v8
	v_fmac_f32_e32 v9, v10, v7
	v_fma_f32 v6, -v6, v9, v8
	v_div_fmas_f32 v6, v6, v7, v9
	v_div_fixup_f32 v5, v6, v1, v5
	v_div_scale_f32 v6, s[2:3], v1, v1, v4
	v_rcp_f32_e32 v7, v6
	v_fma_f32 v8, -v6, v7, 1.0
	v_fmac_f32_e32 v7, v8, v7
	v_div_scale_f32 v8, vcc, v4, v1, v4
	v_mul_f32_e32 v9, v8, v7
	v_fma_f32 v10, -v6, v9, v8
	v_fmac_f32_e32 v9, v10, v7
	v_fma_f32 v6, -v6, v9, v8
	v_div_fmas_f32 v6, v6, v7, v9
	v_div_fixup_f32 v4, v6, v1, v4
	v_mov_b32_e32 v1, 0
	global_store_dwordx2 v[2:3], v[4:5], off
.LBB9_213:                              ;   in Loop: Header=BB9_15 Depth=1
	s_or_b64 exec, exec, s[72:73]
	v_cmp_gt_i32_e32 vcc, 50, v1
	s_mov_b64 s[72:73], -1
	s_and_saveexec_b64 s[80:81], vcc
; %bb.214:                              ;   in Loop: Header=BB9_15 Depth=1
	v_cmp_eq_u32_e32 vcc, 0, v1
	s_orn2_b64 s[72:73], vcc, exec
; %bb.215:                              ;   in Loop: Header=BB9_15 Depth=1
	s_or_b64 exec, exec, s[80:81]
	s_and_b64 exec, exec, s[72:73]
	s_cbranch_execz .LBB9_223
; %bb.216:                              ;   in Loop: Header=BB9_15 Depth=1
	v_mov_b32_e32 v1, 50
	s_mov_b64 s[72:73], exec
	v_readlane_b32 s2, v192, 37
	v_readlane_b32 s3, v192, 38
	s_and_b64 s[2:3], s[72:73], s[2:3]
	s_mov_b64 exec, s[2:3]
	s_cbranch_execz .LBB9_218
; %bb.217:                              ;   in Loop: Header=BB9_15 Depth=1
	ds_read_b32 v1, v131 offset:164
	ds_read_b32 v4, v130
	v_mad_u64_u32 v[2:3], s[2:3], v160, s29, v[56:57]
	v_mad_u64_u32 v[2:3], s[2:3], v2, 40, v[52:53]
	s_waitcnt lgkmcnt(0)
	v_cvt_f32_f16_sdwa v5, v4 dst_sel:DWORD dst_unused:UNUSED_PAD src0_sel:WORD_1
	v_cvt_f32_f16_e32 v4, v4
	v_ashrrev_i32_e32 v3, 31, v2
	v_lshlrev_b64 v[2:3], 3, v[2:3]
	v_mov_b32_e32 v6, s56
	v_pk_add_f32 v[4:5], v[4:5], 0 op_sel_hi:[1,0]
	v_div_scale_f32 v7, s[2:3], v1, v1, v5
	v_rcp_f32_e32 v8, v7
	v_add_co_u32_e32 v2, vcc, s95, v2
	v_addc_co_u32_e32 v3, vcc, v6, v3, vcc
	v_fma_f32 v6, -v7, v8, 1.0
	v_fmac_f32_e32 v8, v6, v8
	v_div_scale_f32 v6, vcc, v5, v1, v5
	v_mul_f32_e32 v9, v6, v8
	v_fma_f32 v10, -v7, v9, v6
	v_fmac_f32_e32 v9, v10, v8
	v_fma_f32 v6, -v7, v9, v6
	v_div_scale_f32 v7, s[2:3], v1, v1, v4
	v_rcp_f32_e32 v10, v7
	v_div_fmas_f32 v6, v6, v8, v9
	v_div_fixup_f32 v5, v6, v1, v5
	v_fma_f32 v6, -v7, v10, 1.0
	v_fmac_f32_e32 v10, v6, v10
	v_div_scale_f32 v6, vcc, v4, v1, v4
	v_mul_f32_e32 v8, v6, v10
	v_fma_f32 v9, -v7, v8, v6
	v_fmac_f32_e32 v8, v9, v10
	v_fma_f32 v6, -v7, v8, v6
	v_div_fmas_f32 v6, v6, v10, v8
	v_div_fixup_f32 v4, v6, v1, v4
	v_mov_b32_e32 v1, 0
	global_store_dwordx2 v[2:3], v[4:5], off
.LBB9_218:                              ;   in Loop: Header=BB9_15 Depth=1
	s_or_b64 exec, exec, s[72:73]
	v_cmp_gt_i32_e32 vcc, 50, v1
	s_mov_b64 s[72:73], -1
	s_and_saveexec_b64 s[78:79], vcc
; %bb.219:                              ;   in Loop: Header=BB9_15 Depth=1
	v_cmp_eq_u32_e32 vcc, 0, v1
	s_orn2_b64 s[72:73], vcc, exec
; %bb.220:                              ;   in Loop: Header=BB9_15 Depth=1
	s_or_b64 exec, exec, s[78:79]
	s_and_b64 exec, exec, s[72:73]
	s_cbranch_execz .LBB9_223
; %bb.221:                              ;   in Loop: Header=BB9_15 Depth=1
	v_readlane_b32 s2, v192, 39
	v_readlane_b32 s3, v192, 40
	s_and_b64 exec, exec, s[2:3]
	s_cbranch_execz .LBB9_223
; %bb.222:                              ;   in Loop: Header=BB9_15 Depth=1
	ds_read_b32 v1, v125 offset:10020
	ds_read_b32 v4, v124 offset:9856
	v_mad_u64_u32 v[2:3], s[2:3], v159, s29, v[56:57]
	v_mad_u64_u32 v[2:3], s[2:3], v2, 40, v[52:53]
	s_waitcnt lgkmcnt(0)
	v_cvt_f32_f16_sdwa v5, v4 dst_sel:DWORD dst_unused:UNUSED_PAD src0_sel:WORD_1
	v_cvt_f32_f16_e32 v4, v4
	v_ashrrev_i32_e32 v3, 31, v2
	v_lshlrev_b64 v[2:3], 3, v[2:3]
	v_mov_b32_e32 v6, s56
	v_pk_add_f32 v[4:5], v[4:5], 0 op_sel_hi:[1,0]
	v_div_scale_f32 v7, s[2:3], v1, v1, v5
	v_rcp_f32_e32 v8, v7
	v_add_co_u32_e32 v2, vcc, s95, v2
	v_addc_co_u32_e32 v3, vcc, v6, v3, vcc
	v_fma_f32 v6, -v7, v8, 1.0
	v_fmac_f32_e32 v8, v6, v8
	v_div_scale_f32 v6, vcc, v5, v1, v5
	v_mul_f32_e32 v9, v6, v8
	v_fma_f32 v10, -v7, v9, v6
	v_fmac_f32_e32 v9, v10, v8
	v_fma_f32 v6, -v7, v9, v6
	v_div_scale_f32 v7, s[2:3], v1, v1, v4
	v_rcp_f32_e32 v10, v7
	v_div_fmas_f32 v6, v6, v8, v9
	v_div_fixup_f32 v5, v6, v1, v5
	v_fma_f32 v6, -v7, v10, 1.0
	v_fmac_f32_e32 v10, v6, v10
	v_div_scale_f32 v6, vcc, v4, v1, v4
	v_mul_f32_e32 v8, v6, v10
	v_fma_f32 v9, -v7, v8, v6
	v_fmac_f32_e32 v8, v9, v10
	v_fma_f32 v6, -v7, v8, v6
	v_div_fmas_f32 v6, v6, v10, v8
	v_div_fixup_f32 v4, v6, v1, v4
	global_store_dwordx2 v[2:3], v[4:5], off
.LBB9_223:                              ;   in Loop: Header=BB9_15 Depth=1
	s_or_b64 exec, exec, s[4:5]
	v_mov_b32_e32 v1, 50
	s_and_saveexec_b64 s[4:5], s[74:75]
	s_cbranch_execz .LBB9_225
; %bb.224:                              ;   in Loop: Header=BB9_15 Depth=1
	ds_read_b32 v1, v132 offset:164
	ds_read_b32 v4, v105 offset:128
	v_mad_u64_u32 v[2:3], s[2:3], v158, s29, v[48:49]
	v_mul_lo_u32 v2, v2, 40
	v_ashrrev_i32_e32 v3, 31, v2
	s_waitcnt lgkmcnt(0)
	v_cvt_f32_f16_sdwa v5, v4 dst_sel:DWORD dst_unused:UNUSED_PAD src0_sel:WORD_1
	v_cvt_f32_f16_e32 v4, v4
	v_or_b32_e32 v3, 0, v3
	v_or_b32_e32 v2, v2, v26
	v_lshlrev_b64 v[2:3], 3, v[2:3]
	v_pk_add_f32 v[4:5], v[4:5], 0 op_sel_hi:[1,0]
	v_div_scale_f32 v7, s[2:3], v1, v1, v5
	v_rcp_f32_e32 v8, v7
	v_mov_b32_e32 v6, s56
	v_add_co_u32_e32 v2, vcc, s95, v2
	v_addc_co_u32_e32 v3, vcc, v6, v3, vcc
	v_fma_f32 v6, -v7, v8, 1.0
	v_fmac_f32_e32 v8, v6, v8
	v_div_scale_f32 v6, vcc, v5, v1, v5
	v_mul_f32_e32 v9, v6, v8
	v_fma_f32 v10, -v7, v9, v6
	v_fmac_f32_e32 v9, v10, v8
	v_fma_f32 v6, -v7, v9, v6
	v_div_scale_f32 v7, s[2:3], v1, v1, v4
	v_rcp_f32_e32 v10, v7
	v_div_fmas_f32 v6, v6, v8, v9
	v_div_fixup_f32 v5, v6, v1, v5
	v_fma_f32 v6, -v7, v10, 1.0
	v_fmac_f32_e32 v10, v6, v10
	v_div_scale_f32 v6, vcc, v4, v1, v4
	v_mul_f32_e32 v8, v6, v10
	v_fma_f32 v9, -v7, v8, v6
	v_fmac_f32_e32 v8, v9, v10
	v_fma_f32 v6, -v7, v8, v6
	v_div_fmas_f32 v6, v6, v10, v8
	v_div_fixup_f32 v4, v6, v1, v4
	v_mov_b32_e32 v1, 0
	global_store_dwordx2 v[2:3], v[4:5], off offset:256
.LBB9_225:                              ;   in Loop: Header=BB9_15 Depth=1
	s_or_b64 exec, exec, s[4:5]
	v_cmp_gt_i32_e32 vcc, 50, v1
	s_mov_b64 s[72:73], -1
	s_and_saveexec_b64 s[4:5], vcc
; %bb.226:                              ;   in Loop: Header=BB9_15 Depth=1
	v_cmp_eq_u32_e32 vcc, 0, v1
	s_orn2_b64 s[72:73], vcc, exec
; %bb.227:                              ;   in Loop: Header=BB9_15 Depth=1
	s_or_b64 exec, exec, s[4:5]
                                        ; implicit-def: $vgpr2_vgpr3
	s_and_saveexec_b64 s[4:5], s[72:73]
	s_cbranch_execz .LBB9_231
; %bb.228:                              ;   in Loop: Header=BB9_15 Depth=1
	s_mov_b64 s[74:75], s[10:11]
                                        ; implicit-def: $vgpr2_vgpr3
	s_and_saveexec_b64 s[72:73], s[8:9]
	s_cbranch_execz .LBB9_230
; %bb.229:                              ;   in Loop: Header=BB9_15 Depth=1
	ds_read_b32 v1, v106 offset:128
	s_or_b64 s[74:75], s[10:11], exec
	s_waitcnt lgkmcnt(0)
	v_cvt_f32_f16_sdwa v3, v1 dst_sel:DWORD dst_unused:UNUSED_PAD src0_sel:WORD_1
	v_cvt_f32_f16_e32 v2, v1
	ds_read_b32 v1, v132 offset:5796
	v_pk_add_f32 v[2:3], v[2:3], 0 op_sel_hi:[1,0]
	s_waitcnt lgkmcnt(0)
	v_div_scale_f32 v4, s[2:3], v1, v1, v3
	v_rcp_f32_e32 v6, v4
	v_div_scale_f32 v5, s[2:3], v1, v1, v2
	v_div_scale_f32 v8, vcc, v3, v1, v3
	v_fma_f32 v9, -v4, v6, 1.0
	v_fmac_f32_e32 v6, v9, v6
	v_rcp_f32_e32 v7, v5
	v_mul_f32_e32 v9, v8, v6
	v_fma_f32 v11, -v4, v9, v8
	v_fmac_f32_e32 v9, v11, v6
	v_fma_f32 v4, -v4, v9, v8
	v_fma_f32 v10, -v5, v7, 1.0
	v_div_fmas_f32 v4, v4, v6, v9
	v_div_fixup_f32 v3, v4, v1, v3
	v_fmac_f32_e32 v7, v10, v7
	v_div_scale_f32 v4, vcc, v2, v1, v2
	v_mul_f32_e32 v6, v4, v7
	v_fma_f32 v8, -v5, v6, v4
	v_fmac_f32_e32 v6, v8, v7
	v_fma_f32 v4, -v5, v6, v4
	v_div_fmas_f32 v4, v4, v7, v6
	v_div_fixup_f32 v2, v4, v1, v2
.LBB9_230:                              ;   in Loop: Header=BB9_15 Depth=1
	s_or_b64 exec, exec, s[72:73]
	s_andn2_b64 s[2:3], s[10:11], exec
	s_and_b64 s[8:9], s[74:75], exec
	s_or_b64 s[10:11], s[2:3], s[8:9]
.LBB9_231:                              ;   in Loop: Header=BB9_15 Depth=1
	s_or_b64 exec, exec, s[4:5]
	s_and_saveexec_b64 s[4:5], s[10:11]
	s_cbranch_execz .LBB9_14
.LBB9_232:                              ;   in Loop: Header=BB9_15 Depth=1
	v_mad_u64_u32 v[4:5], s[2:3], v59, s29, v[48:49]
	v_mul_lo_u32 v1, v4, 40
	v_ashrrev_i32_e32 v4, 31, v1
	v_or_b32_e32 v5, 0, v4
	v_or_b32_e32 v4, v1, v26
	v_lshlrev_b64 v[4:5], 3, v[4:5]
	v_mov_b32_e32 v1, s56
	v_add_co_u32_e32 v4, vcc, s95, v4
	v_addc_co_u32_e32 v5, vcc, v1, v5, vcc
	global_store_dwordx2 v[4:5], v[2:3], off offset:256
	s_branch .LBB9_14
.LBB9_233:                              ;   in Loop: Header=BB9_15 Depth=1
                                        ; implicit-def: $vgpr10_vgpr11
                                        ; implicit-def: $vgpr24_vgpr25
                                        ; implicit-def: $vgpr22_vgpr23
                                        ; implicit-def: $vgpr20_vgpr21
                                        ; implicit-def: $vgpr12_vgpr13
                                        ; implicit-def: $vgpr16_vgpr17
	s_branch .LBB9_77
.LBB9_234:                              ;   in Loop: Header=BB9_15 Depth=1
                                        ; implicit-def: $vgpr10_vgpr11
                                        ; implicit-def: $vgpr24_vgpr25
                                        ; implicit-def: $vgpr22_vgpr23
                                        ; implicit-def: $vgpr20_vgpr21
                                        ; implicit-def: $vgpr12_vgpr13
                                        ; implicit-def: $vgpr16_vgpr17
	s_branch .LBB9_183
.LBB9_235:
	v_readlane_b32 s10, v192, 22
	v_readlane_b32 s11, v192, 23
	s_andn2_b64 vcc, exec, s[4:5]
	s_cbranch_vccnz .LBB9_12
.LBB9_236:
	v_readlane_b32 s6, v192, 3
	s_abs_i32 s0, s6
	v_cvt_f32_u32_e32 v1, s0
	s_sub_i32 s3, 0, s0
	s_abs_i32 s2, s54
	s_xor_b32 s1, s54, s6
	v_rcp_iflag_f32_e32 v1, v1
	s_ashr_i32 s1, s1, 31
	v_readlane_b32 s8, v192, 2
	v_readlane_b32 s9, v192, 1
	v_mul_f32_e32 v1, 0x4f7ffffe, v1
	v_cvt_u32_f32_e32 v1, v1
	v_mov_b32_e32 v8, s53
	v_readfirstlane_b32 s4, v1
	s_mul_i32 s3, s3, s4
	s_mul_hi_u32 s3, s4, s3
	s_add_i32 s4, s4, s3
	s_mul_hi_u32 s3, s2, s4
	s_mul_i32 s4, s3, s0
	s_sub_i32 s2, s2, s4
	s_add_i32 s5, s3, 1
	s_sub_i32 s4, s2, s0
	s_cmp_ge_u32 s2, s0
	s_cselect_b32 s3, s5, s3
	s_cselect_b32 s2, s4, s2
	s_add_i32 s4, s3, 1
	s_cmp_ge_u32 s2, s0
	s_cselect_b32 s0, s4, s3
	s_abs_i32 s2, s8
	v_cvt_f32_u32_e32 v1, s2
	s_xor_b32 s0, s0, s1
	s_sub_i32 s5, s0, s1
	s_sub_i32 s3, 0, s2
	v_rcp_iflag_f32_e32 v1, v1
	s_mul_i32 s0, s5, s6
	s_sub_i32 s0, s54, s0
	s_abs_i32 s4, s0
	v_mul_f32_e32 v1, 0x4f7ffffe, v1
	v_cvt_u32_f32_e32 v1, v1
	s_xor_b32 s1, s0, s8
	s_ashr_i32 s1, s1, 31
	v_readfirstlane_b32 s6, v1
	s_mul_i32 s3, s3, s6
	s_mul_hi_u32 s3, s6, s3
	s_add_i32 s6, s6, s3
	s_mul_hi_u32 s3, s4, s6
	s_mul_i32 s6, s3, s2
	s_sub_i32 s4, s4, s6
	s_add_i32 s7, s3, 1
	s_sub_i32 s6, s4, s2
	s_cmp_ge_u32 s4, s2
	s_cselect_b32 s3, s7, s3
	s_cselect_b32 s4, s6, s4
	s_add_i32 s6, s3, 1
	s_cmp_ge_u32 s4, s2
	s_cselect_b32 s2, s6, s3
	s_abs_i32 s3, s9
	v_cvt_f32_u32_e32 v1, s3
	s_xor_b32 s2, s2, s1
	s_sub_i32 s4, 0, s3
	s_sub_i32 s6, s2, s1
	v_rcp_iflag_f32_e32 v1, v1
	s_mul_i32 s1, s6, s8
	s_sub_i32 s1, s0, s1
	s_abs_i32 s2, s1
	v_mul_f32_e32 v1, 0x4f7ffffe, v1
	v_cvt_u32_f32_e32 v1, v1
	s_xor_b32 s0, s1, s9
	s_ashr_i32 s0, s0, 31
	v_readfirstlane_b32 s7, v1
	s_mul_i32 s4, s4, s7
	s_mul_hi_u32 s4, s7, s4
	s_add_i32 s7, s7, s4
	s_mul_hi_u32 s4, s2, s7
	s_mul_i32 s7, s4, s3
	s_sub_i32 s2, s2, s7
	s_add_i32 s8, s4, 1
	s_sub_i32 s7, s2, s3
	s_cmp_ge_u32 s2, s3
	s_cselect_b32 s4, s8, s4
	s_cselect_b32 s2, s7, s2
	s_add_i32 s7, s4, 1
	s_cmp_ge_u32 s2, s3
	s_cselect_b32 s2, s7, s4
	s_xor_b32 s2, s2, s0
	s_sub_i32 s0, s2, s0
	s_mul_i32 s2, s0, s9
	s_sub_i32 s1, s1, s2
	s_ashr_i32 s2, s1, 31
	v_readlane_b32 s3, v192, 16
	s_abs_i32 s1, s1
	s_xor_b32 s2, s2, s3
	s_mul_hi_u32 s3, s1, s52
	s_mul_i32 s4, s3, s35
	s_sub_i32 s1, s1, s4
	s_add_i32 s4, s3, 1
	s_sub_i32 s7, s1, s35
	s_cmp_ge_u32 s1, s35
	s_cselect_b32 s3, s4, s3
	s_cselect_b32 s1, s7, s1
	s_add_i32 s4, s3, 1
	s_cmp_ge_u32 s1, s35
	s_cselect_b32 s1, s4, s3
	s_abs_i32 s7, s10
	v_cvt_f32_u32_e32 v1, s7
	s_xor_b32 s1, s1, s2
	s_sub_i32 s1, s1, s2
	s_cmp_eq_u64 s[22:23], 0
	v_rcp_iflag_f32_e32 v1, v1
	v_mul_f32_e32 v1, 0x4f7ffffe, v1
	v_cvt_u32_f32_e32 v1, v1
	v_readfirstlane_b32 s10, v1
	s_cbranch_scc1 .LBB9_238
; %bb.237:
	v_readlane_b32 s2, v192, 0
	s_mul_i32 s2, s5, s2
	s_add_i32 s2, s1, s2
	s_ashr_i32 s3, s2, 31
	s_lshl_b64 s[2:3], s[2:3], 2
	s_add_u32 s2, s22, s2
	s_addc_u32 s3, s23, s3
	v_mov_b32_e32 v1, 0
	global_load_dword v1, v1, s[2:3]
	s_waitcnt vmcnt(0)
	v_ashrrev_i32_e32 v2, 31, v1
	v_lshrrev_b32_e32 v2, 26, v2
	v_add_u32_e32 v1, v1, v2
	v_ashrrev_i32_e32 v1, 6, v1
	v_min_i32_e32 v8, s53, v1
.LBB9_238:
	v_readlane_b32 s8, v192, 6
	s_mul_i32 s2, s6, s33
	s_lshl_b32 s11, s0, 2
	v_readlane_b32 s9, v192, 7
	s_add_i32 s0, s11, s2
	s_mul_i32 s2, s5, s9
	s_ashr_i32 s3, s2, 31
	v_and_b32_e32 v61, 0x3ff, v0
	s_add_u32 s2, s12, s2
	s_mul_i32 s0, s0, s8
	v_lshrrev_b32_e32 v0, 5, v61
	s_addc_u32 s3, s13, s3
	s_ashr_i32 s4, s0, 31
	v_lshl_add_u32 v58, v39, 1, v0
	s_add_u32 s8, s2, s0
	v_and_b32_e32 v0, 3, v58
	s_addc_u32 s9, s3, s4
	s_lshl_b32 s4, s1, 4
	v_lshrrev_b32_e32 v1, 2, v58
	v_or_b32_e32 v2, s11, v0
	v_add_u32_e32 v1, s4, v1
	v_cmp_gt_i32_e64 s[0:1], s33, v2
	v_and_b32_e32 v54, 31, v61
	v_cmp_le_i32_e32 vcc, s28, v1
	s_xor_b64 s[0:1], s[0:1], -1
	s_or_b64 s[2:3], vcc, s[0:1]
	v_mad_u32_u24 v29, v58, 44, v54
	s_and_saveexec_b64 s[12:13], s[2:3]
	s_xor_b64 s[2:3], exec, s[12:13]
	v_readlane_b32 s24, v192, 8
	s_cbranch_execz .LBB9_240
; %bb.239:
	v_lshl_add_u32 v1, v29, 2, 0
	v_mov_b32_e32 v2, 0
	ds_write_b32 v1, v2
                                        ; implicit-def: $vgpr1
.LBB9_240:
	s_or_saveexec_b64 s[2:3], s[2:3]
	v_readlane_b32 s22, v192, 17
	s_xor_b64 exec, exec, s[2:3]
	s_cbranch_execz .LBB9_242
; %bb.241:
	v_mul_lo_u32 v1, v1, s55
	v_mul_lo_u32 v2, v0, s22
	v_add3_u32 v2, v2, v54, v1
	v_ashrrev_i32_e32 v3, 31, v2
	v_lshlrev_b64 v[2:3], 3, v[2:3]
	v_mov_b32_e32 v1, s9
	v_add_co_u32_e32 v2, vcc, s8, v2
	v_addc_co_u32_e32 v3, vcc, v1, v3, vcc
	global_load_dwordx2 v[2:3], v[2:3], off
	s_waitcnt vmcnt(0)
	v_cvt_f16_f32_e32 v1, v2
	v_cvt_f16_f32_e32 v2, v3
	v_pack_b32_f16 v1, v1, v2
	v_pk_mul_f16 v1, v49, v1
	v_lshl_add_u32 v2, v29, 2, 0
	ds_write_b32 v2, v1
.LBB9_242:
	s_or_b64 exec, exec, s[2:3]
	v_add_u32_e32 v56, 8, v58
	v_lshrrev_b32_e32 v1, 2, v56
	v_add_u32_e32 v1, s4, v1
	v_cmp_le_i32_e32 vcc, s28, v1
	s_or_b64 s[2:3], vcc, s[0:1]
	s_and_saveexec_b64 s[12:13], s[2:3]
	s_xor_b64 s[2:3], exec, s[12:13]
	s_cbranch_execz .LBB9_244
; %bb.243:
	v_mad_u32_u24 v1, v56, 44, v54
	v_lshl_add_u32 v1, v1, 2, 0
	v_mov_b32_e32 v2, 0
	ds_write_b32 v1, v2
                                        ; implicit-def: $vgpr1
.LBB9_244:
	s_andn2_saveexec_b64 s[2:3], s[2:3]
	s_cbranch_execz .LBB9_246
; %bb.245:
	v_mul_lo_u32 v1, v1, s55
	v_mul_lo_u32 v2, v0, s22
	v_add3_u32 v2, v2, v54, v1
	v_ashrrev_i32_e32 v3, 31, v2
	v_lshlrev_b64 v[2:3], 3, v[2:3]
	v_mov_b32_e32 v1, s9
	v_add_co_u32_e32 v2, vcc, s8, v2
	v_addc_co_u32_e32 v3, vcc, v1, v3, vcc
	global_load_dwordx2 v[2:3], v[2:3], off
	s_waitcnt vmcnt(0)
	v_cvt_f16_f32_e32 v1, v2
	v_cvt_f16_f32_e32 v2, v3
	v_mad_u32_u24 v3, v56, 44, v54
	v_pack_b32_f16 v1, v1, v2
	v_pk_mul_f16 v1, v49, v1
	v_lshl_add_u32 v2, v3, 2, 0
	ds_write_b32 v2, v1
.LBB9_246:
	s_or_b64 exec, exec, s[2:3]
	v_add_u32_e32 v60, 16, v58
	v_lshrrev_b32_e32 v1, 2, v60
	v_add_u32_e32 v1, s4, v1
	v_cmp_le_i32_e32 vcc, s28, v1
	s_or_b64 s[2:3], vcc, s[0:1]
	s_and_saveexec_b64 s[12:13], s[2:3]
	s_xor_b64 s[2:3], exec, s[12:13]
	s_cbranch_execz .LBB9_248
; %bb.247:
	v_mad_u32_u24 v1, v60, 44, v54
	v_lshl_add_u32 v1, v1, 2, 0
	v_mov_b32_e32 v2, 0
	ds_write_b32 v1, v2
                                        ; implicit-def: $vgpr1
.LBB9_248:
	s_andn2_saveexec_b64 s[2:3], s[2:3]
	s_cbranch_execz .LBB9_250
; %bb.249:
	v_mul_lo_u32 v1, v1, s55
	v_mul_lo_u32 v2, v0, s22
	v_add3_u32 v2, v2, v54, v1
	v_ashrrev_i32_e32 v3, 31, v2
	v_lshlrev_b64 v[2:3], 3, v[2:3]
	v_mov_b32_e32 v1, s9
	v_add_co_u32_e32 v2, vcc, s8, v2
	v_addc_co_u32_e32 v3, vcc, v1, v3, vcc
	global_load_dwordx2 v[2:3], v[2:3], off
	s_waitcnt vmcnt(0)
	v_cvt_f16_f32_e32 v1, v2
	v_cvt_f16_f32_e32 v2, v3
	v_mad_u32_u24 v3, v60, 44, v54
	v_pack_b32_f16 v1, v1, v2
	v_pk_mul_f16 v1, v49, v1
	v_lshl_add_u32 v2, v3, 2, 0
	ds_write_b32 v2, v1
.LBB9_250:
	;; [unrolled: 37-line block ×6, first 2 shown]
	s_or_b64 exec, exec, s[2:3]
	v_add_u32_e32 v64, 56, v58
	v_lshrrev_b32_e32 v1, 2, v64
	v_add_u32_e32 v1, s4, v1
	v_cmp_le_i32_e32 vcc, s28, v1
	s_sub_i32 s2, 0, s7
	s_or_b64 s[0:1], vcc, s[0:1]
	s_and_saveexec_b64 s[12:13], s[0:1]
	s_xor_b64 s[0:1], exec, s[12:13]
	s_cbranch_execz .LBB9_268
; %bb.267:
	v_mad_u32_u24 v0, v64, 44, v54
	v_lshl_add_u32 v0, v0, 2, 0
	v_mov_b32_e32 v1, 0
	ds_write_b32 v0, v1
                                        ; implicit-def: $vgpr1
                                        ; implicit-def: $vgpr0
.LBB9_268:
	s_or_saveexec_b64 s[0:1], s[0:1]
	s_mul_i32 s2, s2, s10
	s_xor_b64 exec, exec, s[0:1]
	s_cbranch_execz .LBB9_270
; %bb.269:
	v_mul_lo_u32 v1, v1, s55
	v_mul_lo_u32 v0, v0, s22
	v_add3_u32 v0, v0, v54, v1
	v_ashrrev_i32_e32 v1, 31, v0
	v_lshlrev_b64 v[0:1], 3, v[0:1]
	v_mov_b32_e32 v2, s9
	v_add_co_u32_e32 v0, vcc, s8, v0
	v_addc_co_u32_e32 v1, vcc, v2, v1, vcc
	global_load_dwordx2 v[0:1], v[0:1], off
	v_mad_u32_u24 v2, v64, 44, v54
	s_waitcnt vmcnt(0)
	v_cvt_f16_f32_e32 v0, v0
	v_cvt_f16_f32_e32 v1, v1
	v_pack_b32_f16 v0, v0, v1
	v_pk_mul_f16 v0, v49, v0
	v_lshl_add_u32 v1, v2, 2, 0
	ds_write_b32 v1, v0
.LBB9_270:
	s_or_b64 exec, exec, s[0:1]
	v_lshrrev_b32_e32 v9, 3, v61
	v_bfe_u32 v0, v61, 3, 2
	v_lshl_add_u32 v67, v39, 3, v9
	v_or_b32_e32 v1, s11, v0
	v_cmp_gt_i32_e32 vcc, s33, v1
	v_lshrrev_b32_e32 v1, 2, v67
	v_add_u32_e32 v1, s4, v1
	s_xor_b64 s[0:1], vcc, -1
	v_cmp_le_i32_e32 vcc, s28, v1
	s_mul_hi_u32 s13, s10, s2
	v_and_b32_e32 v66, 7, v61
	v_mul_lo_u32 v0, s22, v0
	s_or_b64 s[2:3], vcc, s[0:1]
	s_and_saveexec_b64 s[20:21], s[2:3]
	s_xor_b64 s[2:3], exec, s[20:21]
	s_cbranch_execz .LBB9_272
; %bb.271:
	v_mad_u32_u24 v1, v67, 44, v66
	v_lshl_add_u32 v1, v1, 2, 0
	v_mov_b32_e32 v2, 0
	ds_write_b32 v1, v2 offset:128
                                        ; implicit-def: $vgpr1
.LBB9_272:
	s_or_saveexec_b64 s[2:3], s[2:3]
	s_abs_i32 s12, s5
	s_add_i32 s10, s10, s13
	v_add3_u32 v0, v0, v66, 32
	s_xor_b64 exec, exec, s[2:3]
	s_cbranch_execz .LBB9_274
; %bb.273:
	v_mad_u64_u32 v[2:3], s[20:21], v1, s55, v[0:1]
	v_ashrrev_i32_e32 v3, 31, v2
	v_lshlrev_b64 v[2:3], 3, v[2:3]
	v_mov_b32_e32 v1, s9
	v_add_co_u32_e32 v2, vcc, s8, v2
	v_addc_co_u32_e32 v3, vcc, v1, v3, vcc
	global_load_dwordx2 v[2:3], v[2:3], off
	s_waitcnt vmcnt(0)
	v_cvt_f16_f32_e32 v1, v2
	v_cvt_f16_f32_e32 v2, v3
	v_mad_u32_u24 v3, v67, 44, v66
	v_pack_b32_f16 v1, v1, v2
	v_pk_mul_f16 v1, v49, v1
	v_lshl_add_u32 v2, v3, 2, 0
	ds_write_b32 v2, v1 offset:128
.LBB9_274:
	s_or_b64 exec, exec, s[2:3]
	v_add_u32_e32 v10, 32, v67
	v_lshrrev_b32_e32 v1, 2, v10
	v_add_u32_e32 v1, s4, v1
	v_cmp_le_i32_e32 vcc, s28, v1
	s_mul_hi_u32 s2, s12, s10
	s_or_b64 s[0:1], vcc, s[0:1]
	s_and_saveexec_b64 s[10:11], s[0:1]
	s_xor_b64 s[0:1], exec, s[10:11]
	s_cbranch_execz .LBB9_276
; %bb.275:
	v_mad_u32_u24 v0, v10, 44, v66
	v_lshl_add_u32 v0, v0, 2, 0
	v_mov_b32_e32 v1, 0
	ds_write_b32 v0, v1 offset:128
                                        ; implicit-def: $vgpr0
                                        ; implicit-def: $vgpr1
                                        ; implicit-def: $vgpr49
.LBB9_276:
	s_or_saveexec_b64 s[0:1], s[0:1]
	s_ashr_i32 s3, s5, 31
	s_xor_b64 exec, exec, s[0:1]
	s_cbranch_execz .LBB9_278
; %bb.277:
	v_mad_u64_u32 v[0:1], s[10:11], v1, s55, v[0:1]
	v_ashrrev_i32_e32 v1, 31, v0
	v_lshlrev_b64 v[0:1], 3, v[0:1]
	v_mov_b32_e32 v2, s9
	v_add_co_u32_e32 v0, vcc, s8, v0
	v_addc_co_u32_e32 v1, vcc, v2, v1, vcc
	global_load_dwordx2 v[0:1], v[0:1], off
	v_mad_u32_u24 v2, v10, 44, v66
	s_waitcnt vmcnt(0)
	v_cvt_f16_f32_e32 v0, v0
	v_cvt_f16_f32_e32 v1, v1
	v_pack_b32_f16 v0, v0, v1
	v_pk_mul_f16 v0, v49, v0
	v_lshl_add_u32 v1, v2, 2, 0
	ds_write_b32 v1, v0 offset:128
.LBB9_278:
	s_or_b64 exec, exec, s[0:1]
	s_mul_i32 s0, s5, s37
	s_mul_hi_u32 s1, s5, s36
	s_add_i32 s0, s1, s0
	s_mul_i32 s1, s3, s36
	v_readlane_b32 s8, v192, 14
	s_add_i32 s0, s0, s1
	s_mul_i32 s1, s5, s36
	v_readlane_b32 s9, v192, 15
	s_add_u32 s1, s14, s1
	s_mul_i32 s8, s6, s9
	s_addc_u32 s0, s15, s0
	s_ashr_i32 s9, s8, 31
	s_add_u32 s10, s1, s8
	s_mul_i32 s2, s2, s7
	s_addc_u32 s11, s0, s9
	s_sub_i32 s0, s12, s2
	s_sub_i32 s1, s0, s7
	s_cmp_ge_u32 s0, s7
	s_cselect_b32 s0, s1, s0
	s_sub_i32 s1, s0, s7
	s_cmp_ge_u32 s0, s7
	s_cselect_b32 s0, s1, s0
	s_xor_b32 s0, s0, s3
	v_readlane_b32 s8, v192, 12
	s_sub_i32 s0, s0, s3
	v_readlane_b32 s9, v192, 13
	s_ashr_i32 s1, s0, 31
	s_mul_i32 s2, s0, s9
	s_mul_hi_u32 s7, s0, s8
	s_add_i32 s2, s7, s2
	s_mul_i32 s1, s1, s8
	s_mul_i32 s0, s0, s8
	v_readlane_b32 s8, v192, 10
	s_add_i32 s2, s2, s1
	v_readlane_b32 s9, v192, 11
	s_add_u32 s12, s18, s0
	s_mul_i32 s0, s5, s9
	s_mul_hi_u32 s1, s5, s8
	s_addc_u32 s13, s19, s2
	s_add_i32 s0, s1, s0
	s_mul_i32 s3, s3, s8
	s_add_i32 s0, s0, s3
	s_mul_i32 s5, s5, s8
	s_add_u32 s1, s16, s5
	s_mul_i32 s6, s6, s39
	s_addc_u32 s0, s17, s0
	s_ashr_i32 s2, s6, 31
	s_add_u32 s6, s1, s6
	s_addc_u32 s7, s0, s2
	s_movk_i32 s0, 0xb00
	v_and_b32_e32 v75, 15, v61
	v_and_b32_e32 v1, 0x7e, v9
	v_mad_u32_u24 v0, v39, s0, 0
	v_mul_u32_u24_e32 v79, 0xb0, v75
	v_lshlrev_b32_e32 v80, 2, v1
	v_add3_u32 v68, v0, v79, v80
	s_waitcnt lgkmcnt(0)
	s_barrier
	ds_read2_b64 v[4:7], v68 offset1:4
	ds_read2_b64 v[0:3], v68 offset0:8 offset1:12
	ds_read_b64 v[16:17], v68 offset:128
	v_add_u32_e32 v84, -1, v8
	v_cmp_lt_i32_e32 vcc, s74, v84
	v_lshlrev_b32_e32 v8, 1, v61
	s_mov_b32 s5, 0
	v_and_b32_e32 v8, 62, v8
	s_waitcnt lgkmcnt(0)
	s_barrier
	s_cbranch_vccnz .LBB9_280
; %bb.279:
	v_add_u32_e32 v11, s4, v58
	v_mul_hi_u32 v12, s42, v11
	v_add_u32_e32 v12, v11, v12
	v_lshrrev_b32_e32 v12, s43, v12
	v_mul_lo_u32 v12, v12, s28
	v_sub_u32_e32 v11, v11, v12
	v_mad_i64_i32 v[24:25], s[0:1], v11, s44, 0
	v_add_u32_e32 v11, s4, v56
	v_mul_hi_u32 v12, s42, v11
	v_add_u32_e32 v12, v11, v12
	v_lshrrev_b32_e32 v12, s43, v12
	v_mul_lo_u32 v12, v12, s28
	v_sub_u32_e32 v11, v11, v12
	s_movk_i32 s2, 0x90
	v_mov_b32_e32 v12, 0x480
	v_mad_i64_i32 v[26:27], s[0:1], v11, s44, 0
	v_lshrrev_b32_e32 v11, 1, v61
	v_mul_u32_u24_e32 v82, 0x90, v58
	v_mad_u32_u24 v83, v58, s2, v12
	s_ashr_i32 s3, s40, 31
	v_lshl_add_u32 v78, v39, 5, v11
	s_mov_b64 s[0:1], 0
	s_mov_b32 s9, 0xfeffffff
	s_mov_b32 s8, 0
	s_branch .LBB9_281
.LBB9_280:
	s_mov_b64 s[0:1], -1
                                        ; implicit-def: $sgpr8
                                        ; implicit-def: $sgpr5
                                        ; implicit-def: $sgpr9
                                        ; implicit-def: $vgpr82
                                        ; implicit-def: $vgpr24_vgpr25
                                        ; implicit-def: $vgpr83
                                        ; implicit-def: $vgpr26_vgpr27
                                        ; implicit-def: $vgpr78
                                        ; implicit-def: $sgpr2_sgpr3
.LBB9_281:
	v_mul_lo_u32 v22, s40, v67
	v_mul_lo_u32 v12, s30, v10
	;; [unrolled: 1-line block ×3, first 2 shown]
	s_andn2_b64 vcc, exec, s[0:1]
	v_mov_b32_e32 v19, s8
	v_mov_b32_e32 v44, s5
	;; [unrolled: 1-line block ×3, first 2 shown]
	v_lshlrev_b32_e32 v85, 1, v8
	v_ashrrev_i32_e32 v23, 31, v22
	v_lshl_add_u32 v20, s40, 5, v22
	v_lshrrev_b32_e32 v77, 2, v61
	v_lshl_or_b32 v81, v9, 2, 4
	v_ashrrev_i32_e32 v13, 31, v12
	v_ashrrev_i32_e32 v15, 31, v14
	v_lshlrev_b32_e32 v76, 1, v75
	v_mov_b32_e32 v69, s8
	v_mov_b32_e32 v70, s8
	v_mov_b32_e32 v71, s8
	v_mov_b32_e32 v72, s8
	v_mov_b32_e32 v73, s8
	v_mov_b32_e32 v86, s8
	v_mov_b32_e32 v87, s8
	v_mov_b32_e32 v74, s8
	v_mov_b32_e32 v88, s8
	s_cbranch_vccnz .LBB9_289
; %bb.282:
	v_mov_b32_e32 v8, s13
	v_add_co_u32_e32 v89, vcc, s12, v85
	v_addc_co_u32_e32 v90, vcc, 0, v8, vcc
	v_add_u32_e32 v8, s4, v58
	v_mul_hi_u32 v9, s42, v8
	v_add_u32_e32 v9, v8, v9
	v_lshrrev_b32_e32 v9, s43, v9
	v_mul_lo_u32 v9, v9, s28
	v_sub_u32_e32 v8, v8, v9
	v_mad_i64_i32 v[24:25], s[0:1], v8, s44, 0
	v_add_u32_e32 v8, s4, v56
	v_mul_hi_u32 v9, s42, v8
	v_add_u32_e32 v9, v8, v9
	v_lshrrev_b32_e32 v9, s43, v9
	v_mul_lo_u32 v9, v9, s28
	v_sub_u32_e32 v8, v8, v9
	v_mad_i64_i32 v[26:27], s[0:1], v8, s44, 0
	v_lshrrev_b32_e32 v8, 1, v61
	v_lshlrev_b32_e32 v18, 2, v61
	v_lshl_add_u32 v78, v39, 5, v8
	s_movk_i32 s4, 0xb0
	v_and_b32_e32 v28, 4, v18
	v_mad_u32_u24 v10, v78, s4, 0
	v_lshlrev_b32_e32 v11, 2, v28
	s_movk_i32 s4, 0x80
	v_add3_u32 v91, v10, v11, s4
	v_and_b32_e32 v31, 0xfc, v77
	v_and_b32_e32 v10, 12, v61
	v_lshl_or_b32 v10, v39, 4, v10
	v_mul_u32_u24_e32 v33, 0x58, v31
	s_movk_i32 s2, 0x90
	v_mov_b32_e32 v9, 0x480
	v_lshrrev_b32_e32 v10, 2, v10
	v_or_b32_e32 v33, v33, v75
	v_mad_u32_u24 v83, v58, s2, v9
	v_mad_u32_u24 v10, v10, s2, 0
	v_lshlrev_b32_e32 v33, 1, v33
	s_add_i32 s2, 0, 0xb00
	v_add_u32_e32 v100, s2, v33
	s_add_i32 s2, 0, 0x1600
	v_add_u32_e32 v101, s2, v33
	;; [unrolled: 2-line block ×6, first 2 shown]
	s_add_i32 s2, 0, 0xb40
	v_lshl_add_u32 v93, v31, 1, v10
	v_add_u32_e32 v94, v10, v81
	v_mbcnt_hi_u32_b32 v10, -1, v57
	v_add_u32_e32 v108, s2, v33
	s_add_i32 s2, 0, 0x1640
	v_and_b32_e32 v11, 64, v10
	v_add_u32_e32 v109, s2, v33
	s_add_i32 s2, 0, 0x2140
	v_add_u32_e32 v11, 64, v11
	v_xor_b32_e32 v32, 32, v10
	v_add_u32_e32 v110, s2, v33
	s_add_i32 s2, 0, 0x60
	v_cmp_lt_i32_e32 vcc, v32, v11
	v_add_u32_e32 v111, s2, v33
	s_add_i32 s2, 0, 0xb60
	v_cndmask_b32_e32 v32, v10, v32, vcc
	v_add_u32_e32 v112, s2, v33
	s_add_i32 s2, 0, 0x1660
	v_lshlrev_b32_e32 v95, 2, v32
	v_xor_b32_e32 v32, 16, v10
	v_add_u32_e32 v113, s2, v33
	s_add_i32 s2, 0, 0x2160
	v_cmp_lt_i32_e32 vcc, v32, v11
	v_add_u32_e32 v114, s2, v33
	s_add_i32 s2, 0, 0x80
	v_cndmask_b32_e32 v10, v10, v32, vcc
	v_mul_u32_u24_e32 v31, 0xb0, v31
	v_add_u32_e32 v115, s2, v33
	s_add_i32 s2, 0, 0xb80
	v_and_b32_e32 v18, 28, v18
	v_mul_lo_u32 v8, s40, v78
	v_mul_u32_u24_e32 v30, 0xb0, v67
	v_lshlrev_b32_e32 v96, 2, v10
	v_mul_lo_u32 v10, s30, v78
	v_or_b32_e32 v32, 3, v77
	v_add3_u32 v98, 0, v31, v76
	v_add_u32_e32 v116, s2, v33
	s_add_i32 s2, 0, 0x1680
	v_lshlrev_b32_e32 v31, 2, v18
	v_add_u32_e32 v19, 0, v85
	v_mul_u32_u24_e32 v82, 0x90, v58
	v_ashrrev_i32_e32 v9, 31, v8
	v_ashrrev_i32_e32 v21, 31, v20
	v_add_u32_e32 v36, 32, v93
	v_add_u32_e32 v37, 64, v93
	v_add_u32_e32 v38, 0x60, v93
	v_ashrrev_i32_e32 v11, 31, v10
	v_mul_u32_u24_e32 v32, 0xb0, v32
	v_add_u32_e32 v117, s2, v33
	s_add_i32 s2, 0, 0x2180
	v_add3_u32 v119, 0, v30, v31
	v_mov_b32_e32 v124, 0
	s_ashr_i32 s3, s40, 31
	v_cmp_gt_u32_e64 s[0:1], 64, v78
	v_add3_u32 v92, 0, v79, v80
	v_add_u32_e32 v97, 0, v33
	v_add3_u32 v99, 0, v32, v76
	v_add3_u32 v103, 0, 32, v33
	;; [unrolled: 1-line block ×3, first 2 shown]
	v_add_u32_e32 v118, s2, v33
	v_add_u32_e32 v120, 0x1600, v119
	s_lshl_b32 s4, s74, 6
	v_mov_b32_e32 v129, 0xfeffffff
	v_add_u32_e32 v121, v19, v82
	v_lshlrev_b64 v[30:31], 2, v[8:9]
	v_lshlrev_b64 v[32:33], 2, v[22:23]
	v_lshlrev_b32_e32 v122, 2, v18
	v_lshlrev_b64 v[34:35], 2, v[20:21]
	v_add_u32_e32 v21, 0x2c00, v36
	v_add_u32_e32 v123, 0x2c00, v37
	;; [unrolled: 1-line block ×3, first 2 shown]
	v_lshlrev_b64 v[36:37], 2, v[10:11]
	s_mov_b32 s2, 0x3fb8aa3b
	s_mov_b32 s14, 0xc2ce8ed0
	;; [unrolled: 1-line block ×4, first 2 shown]
	v_lshlrev_b64 v[38:39], 2, v[14:15]
	v_lshlrev_b64 v[40:41], 2, v[12:13]
	s_mov_b32 s17, 0x5040100
	v_mov_b32_e32 v126, 0x7f800000
	v_mov_b32_e32 v88, 0
	;; [unrolled: 1-line block ×11, first 2 shown]
.LBB9_283:                              ; =>This Inner Loop Header: Depth=1
	s_ashr_i32 s5, s4, 31
	s_lshl_b64 s[8:9], s[4:5], 1
	v_mov_b32_e32 v8, s9
	v_add_co_u32_e32 v18, vcc, s8, v89
	v_addc_co_u32_e32 v42, vcc, v90, v8, vcc
	v_lshlrev_b64 v[8:9], 1, v[24:25]
	v_add_co_u32_e32 v8, vcc, v18, v8
	v_addc_co_u32_e32 v9, vcc, v42, v9, vcc
	v_lshlrev_b64 v[10:11], 1, v[26:27]
	v_add_co_u32_e32 v10, vcc, v18, v10
	v_addc_co_u32_e32 v11, vcc, v42, v11, vcc
	global_load_dword v18, v[8:9], off
	global_load_dword v42, v[10:11], off
	s_mul_hi_i32 s9, s4, s40
	s_mul_i32 s8, s4, s40
	s_lshl_b64 s[8:9], s[8:9], 2
	s_add_u32 s5, s10, s8
	s_addc_u32 s18, s11, s9
	s_waitcnt vmcnt(1)
	ds_write_b32 v121, v18 offset:11264
	s_waitcnt vmcnt(0)
	ds_write_b32 v121, v42 offset:12416
	s_and_saveexec_b64 s[8:9], s[0:1]
	s_cbranch_execz .LBB9_285
; %bb.284:                              ;   in Loop: Header=BB9_283 Depth=1
	v_mov_b32_e32 v8, s18
	v_add_co_u32_e32 v9, vcc, s5, v30
	v_addc_co_u32_e32 v10, vcc, v8, v31, vcc
	v_lshlrev_b32_e32 v8, 2, v28
	v_add_co_u32_e32 v8, vcc, v9, v8
	v_addc_co_u32_e32 v9, vcc, 0, v10, vcc
	global_load_dwordx4 v[8:11], v[8:9], off offset:128
	s_waitcnt vmcnt(0)
	ds_write_b128 v91, v[8:11]
.LBB9_285:                              ;   in Loop: Header=BB9_283 Depth=1
	s_or_b64 exec, exec, s[8:9]
	v_mov_b32_e32 v8, s18
	v_add_co_u32_e32 v9, vcc, s5, v32
	v_addc_co_u32_e32 v8, vcc, v8, v33, vcc
	v_add_co_u32_e32 v46, vcc, v9, v122
	v_addc_co_u32_e32 v47, vcc, 0, v8, vcc
	v_mov_b32_e32 v8, s18
	v_add_co_u32_e32 v9, vcc, s5, v34
	v_addc_co_u32_e32 v8, vcc, v8, v35, vcc
	v_add_co_u32_e32 v48, vcc, v9, v122
	v_addc_co_u32_e32 v49, vcc, 0, v8, vcc
	global_load_dwordx4 v[8:11], v[46:47], off
	global_load_dwordx4 v[42:45], v[48:49], off
	v_add_u32_e32 v18, 0x800, v92
	v_add_u32_e32 v127, 0x1000, v92
	;; [unrolled: 1-line block ×3, first 2 shown]
	s_mul_hi_i32 s9, s4, s30
	s_mul_i32 s8, s4, s30
	s_lshl_b64 s[8:9], s[8:9], 2
	s_add_u32 s5, s6, s8
	s_addc_u32 s18, s7, s9
	s_waitcnt vmcnt(1)
	ds_write_b128 v119, v[8:11]
	s_waitcnt vmcnt(0)
	ds_write_b128 v120, v[42:45]
	s_waitcnt lgkmcnt(0)
	s_barrier
	ds_read2_b64 v[8:11], v92 offset1:4
	ds_read2_b64 v[46:49], v18 offset0:96 offset1:100
	ds_read2_b64 v[130:133], v127 offset0:192 offset1:196
	s_waitcnt lgkmcnt(2)
	v_mfma_f32_16x16x16f16 v[42:45], v[8:9], v[4:5], 0
	ds_read2_b64 v[138:141], v128 offset0:32 offset1:36
	s_waitcnt lgkmcnt(2)
	v_mfma_f32_16x16x16f16 v[50:53], v[46:47], v[4:5], 0
	s_waitcnt lgkmcnt(1)
	v_mfma_f32_16x16x16f16 v[134:137], v[130:131], v[4:5], 0
	v_mfma_f32_16x16x16f16 v[8:11], v[10:11], v[6:7], v[42:45]
	;; [unrolled: 1-line block ×3, first 2 shown]
	s_nop 6
	ds_read2_b64 v[50:53], v92 offset0:8 offset1:12
	v_mfma_f32_16x16x16f16 v[46:49], v[132:133], v[6:7], v[134:137]
	ds_read2_b64 v[130:133], v18 offset0:104 offset1:108
	s_waitcnt lgkmcnt(1)
	v_mfma_f32_16x16x16f16 v[8:11], v[50:51], v[0:1], v[8:11]
	s_nop 3
	ds_read2_b64 v[134:137], v127 offset0:200 offset1:204
	s_waitcnt lgkmcnt(1)
	v_mfma_f32_16x16x16f16 v[42:45], v[130:131], v[0:1], v[42:45]
	v_mfma_f32_16x16x16f16 v[8:11], v[52:53], v[2:3], v[8:11]
	;; [unrolled: 1-line block ×4, first 2 shown]
	s_waitcnt lgkmcnt(0)
	v_mfma_f32_16x16x16f16 v[46:49], v[134:135], v[0:1], v[46:49]
	ds_read_b64 v[50:51], v92 offset:128
	ds_read2_b64 v[130:133], v128 offset0:40 offset1:44
	ds_read_b64 v[52:53], v92 offset:2944
	ds_read_b64 v[134:135], v92 offset:5760
	;; [unrolled: 1-line block ×3, first 2 shown]
	s_waitcnt lgkmcnt(0)
	s_barrier
	v_mfma_f32_16x16x16f16 v[8:11], v[50:51], v[16:17], v[8:11]
	ds_read_b32 v18, v94 offset:11264
	ds_read_b32 v127, v93 offset:11264
	ds_read2_b32 v[50:51], v21 offset1:1
	ds_read2_b32 v[146:147], v123 offset1:1
	;; [unrolled: 1-line block ×3, first 2 shown]
	s_waitcnt lgkmcnt(4)
	v_cvt_f32_f16_sdwa v151, v18 dst_sel:DWORD dst_unused:UNUSED_PAD src0_sel:WORD_1
	v_cvt_f32_f16_e32 v150, v18
	s_waitcnt lgkmcnt(2)
	v_cvt_f32_f16_e32 v152, v51
	v_cvt_f32_f16_sdwa v153, v51 dst_sel:DWORD dst_unused:UNUSED_PAD src0_sel:WORD_1
	v_cvt_f32_f16_e32 v154, v50
	v_cvt_f32_f16_sdwa v155, v50 dst_sel:DWORD dst_unused:UNUSED_PAD src0_sel:WORD_1
	v_mfma_f32_16x16x16f16 v[42:45], v[52:53], v[16:17], v[42:45]
	v_cvt_f32_f16_sdwa v53, v127 dst_sel:DWORD dst_unused:UNUSED_PAD src0_sel:WORD_1
	v_cvt_f32_f16_e32 v52, v127
	v_pk_add_f32 v[50:51], v[10:11], v[150:151]
	v_add_f32_e32 v18, 0x40051340, v50
	v_pk_add_f32 v[52:53], v[8:9], v[52:53]
	v_add_f32_e32 v8, 0x40051340, v52
	v_add_f32_e32 v9, 0x40051340, v53
	v_max3_f32 v128, v129, v8, v9
	v_mfma_f32_16x16x16f16 v[8:11], v[140:141], v[6:7], v[142:145]
	v_mfma_f32_16x16x16f16 v[46:49], v[136:137], v[2:3], v[46:49]
	v_mfma_f32_16x16x16f16 v[8:11], v[130:131], v[0:1], v[8:11]
	v_mfma_f32_16x16x16f16 v[134:137], v[134:135], v[16:17], v[46:49]
	s_nop 7
	s_nop 0
	v_pk_add_f32 v[46:47], v[44:45], v[152:153]
	v_pk_add_f32 v[48:49], v[42:43], v[154:155]
	v_add_f32_e32 v44, 0x40051340, v51
	v_add_f32_e32 v140, 0x40051340, v48
	;; [unrolled: 1-line block ×3, first 2 shown]
	v_max3_f32 v18, v128, v18, v44
	v_mfma_f32_16x16x16f16 v[8:11], v[132:133], v[2:3], v[8:11]
	v_add_f32_e32 v45, 0x40051340, v46
	v_add_f32_e32 v127, 0x40051340, v47
	v_max3_f32 v18, v18, v140, v141
	v_max3_f32 v18, v18, v45, v127
	s_waitcnt lgkmcnt(1)
	v_cvt_f32_f16_e32 v44, v146
	v_cvt_f32_f16_sdwa v45, v146 dst_sel:DWORD dst_unused:UNUSED_PAD src0_sel:WORD_1
	v_cvt_f32_f16_e32 v42, v147
	v_cvt_f32_f16_sdwa v43, v147 dst_sel:DWORD dst_unused:UNUSED_PAD src0_sel:WORD_1
	v_pk_add_f32 v[44:45], v[134:135], v[44:45]
	v_add_f32_e32 v130, 0x40051340, v44
	v_add_f32_e32 v131, 0x40051340, v45
	v_max3_f32 v18, v18, v130, v131
	v_mfma_f32_16x16x16f16 v[130:133], v[138:139], v[16:17], v[8:11]
	v_pk_add_f32 v[42:43], v[136:137], v[42:43]
	s_waitcnt lgkmcnt(0)
	v_cvt_f32_f16_e32 v136, v148
	v_cvt_f32_f16_sdwa v137, v148 dst_sel:DWORD dst_unused:UNUSED_PAD src0_sel:WORD_1
	v_cvt_f32_f16_e32 v134, v149
	v_cvt_f32_f16_sdwa v135, v149 dst_sel:DWORD dst_unused:UNUSED_PAD src0_sel:WORD_1
	v_add_f32_e32 v127, 0x40051340, v42
	v_add_f32_e32 v128, 0x40051340, v43
	s_nop 2
	v_pk_add_f32 v[10:11], v[130:131], v[136:137]
	v_max3_f32 v18, v18, v127, v128
	v_pk_add_f32 v[8:9], v[132:133], v[134:135]
	v_add_f32_e32 v130, 0x40051340, v10
	v_add_f32_e32 v131, 0x40051340, v11
	;; [unrolled: 1-line block ×4, first 2 shown]
	v_max3_f32 v18, v18, v130, v131
	v_max3_f32 v18, v18, v127, v128
	ds_bpermute_b32 v127, v95, v18
	s_waitcnt lgkmcnt(0)
	v_max_f32_e32 v127, v127, v127
	v_max_f32_e32 v18, v18, v127
	ds_bpermute_b32 v127, v96, v18
	s_and_saveexec_b64 s[8:9], s[0:1]
	s_cbranch_execz .LBB9_287
; %bb.286:                              ;   in Loop: Header=BB9_283 Depth=1
	v_mov_b32_e32 v128, s18
	v_add_co_u32_e32 v130, vcc, s5, v36
	v_addc_co_u32_e32 v128, vcc, v128, v37, vcc
	v_lshlrev_b32_e32 v131, 2, v28
	v_add_co_u32_e32 v130, vcc, v130, v131
	v_addc_co_u32_e32 v131, vcc, 0, v128, vcc
	global_load_dwordx4 v[130:133], v[130:131], off offset:128
	s_waitcnt vmcnt(0)
	ds_write_b128 v91, v[130:133]
.LBB9_287:                              ;   in Loop: Header=BB9_283 Depth=1
	s_or_b64 exec, exec, s[8:9]
	s_waitcnt lgkmcnt(0)
	v_max_f32_e32 v127, v127, v127
	v_max_f32_e32 v18, v18, v18
	;; [unrolled: 1-line block ×3, first 2 shown]
	v_pk_add_f32 v[130:131], v[52:53], v[18:19] op_sel_hi:[1,0] neg_lo:[0,1] neg_hi:[0,1]
	v_mul_f32_e32 v52, 0x3fb8aa3b, v131
	v_fma_f32 v53, v131, s2, -v52
	v_rndne_f32_e32 v127, v52
	v_fmac_f32_e32 v53, 0x32a5705f, v131
	v_sub_f32_e32 v52, v52, v127
	v_add_f32_e32 v52, v52, v53
	v_exp_f32_e32 v52, v52
	v_cvt_i32_f32_e32 v53, v127
	v_pk_add_f32 v[132:133], v[50:51], v[18:19] op_sel_hi:[1,0] neg_lo:[0,1] neg_hi:[0,1]
	v_mul_f32_e32 v50, 0x3fb8aa3b, v133
	v_fma_f32 v51, v133, s2, -v50
	v_ldexp_f32 v52, v52, v53
	v_mul_f32_e32 v53, 0x3fb8aa3b, v130
	v_fma_f32 v127, v130, s2, -v53
	v_rndne_f32_e32 v128, v53
	v_fmac_f32_e32 v127, 0x32a5705f, v130
	v_sub_f32_e32 v53, v53, v128
	v_add_f32_e32 v53, v53, v127
	v_exp_f32_e32 v53, v53
	v_cvt_i32_f32_e32 v127, v128
	v_fmac_f32_e32 v51, 0x32a5705f, v133
	v_cmp_ngt_f32_e32 vcc, s14, v131
	v_cndmask_b32_e32 v52, 0, v52, vcc
	v_ldexp_f32 v53, v53, v127
	v_rndne_f32_e32 v127, v50
	v_sub_f32_e32 v50, v50, v127
	v_add_f32_e32 v50, v50, v51
	v_exp_f32_e32 v51, v50
	v_cvt_i32_f32_e32 v127, v127
	v_cmp_nlt_f32_e32 vcc, s15, v131
	v_cndmask_b32_e32 v52, v126, v52, vcc
	v_cmp_ngt_f32_e32 vcc, s14, v130
	v_cndmask_b32_e32 v50, 0, v53, vcc
	v_mul_f32_e32 v53, 0x3fb8aa3b, v132
	v_ldexp_f32 v51, v51, v127
	v_fma_f32 v127, v132, s2, -v53
	v_rndne_f32_e32 v128, v53
	v_fmac_f32_e32 v127, 0x32a5705f, v132
	v_sub_f32_e32 v53, v53, v128
	v_add_f32_e32 v53, v53, v127
	v_exp_f32_e32 v53, v53
	v_cvt_i32_f32_e32 v127, v128
	v_cmp_nlt_f32_e32 vcc, s15, v130
	v_pk_add_f32 v[130:131], v[48:49], v[18:19] op_sel_hi:[1,0] neg_lo:[0,1] neg_hi:[0,1]
	v_mul_f32_e32 v48, 0x3fb8aa3b, v131
	v_ldexp_f32 v53, v53, v127
	v_fma_f32 v49, v131, s2, -v48
	v_rndne_f32_e32 v127, v48
	v_fmac_f32_e32 v49, 0x32a5705f, v131
	v_sub_f32_e32 v48, v48, v127
	v_add_f32_e32 v48, v48, v49
	v_cndmask_b32_e32 v50, v126, v50, vcc
	v_cmp_ngt_f32_e32 vcc, s14, v133
	v_exp_f32_e32 v49, v48
	v_cvt_i32_f32_e32 v127, v127
	v_cndmask_b32_e32 v51, 0, v51, vcc
	v_cmp_nlt_f32_e32 vcc, s15, v133
	v_cndmask_b32_e32 v51, v126, v51, vcc
	v_cmp_ngt_f32_e32 vcc, s14, v132
	v_cndmask_b32_e32 v48, 0, v53, vcc
	v_mul_f32_e32 v53, 0x3fb8aa3b, v130
	v_ldexp_f32 v49, v49, v127
	v_fma_f32 v127, v130, s2, -v53
	v_rndne_f32_e32 v128, v53
	v_fmac_f32_e32 v127, 0x32a5705f, v130
	v_sub_f32_e32 v53, v53, v128
	v_add_f32_e32 v53, v53, v127
	v_exp_f32_e32 v53, v53
	v_cvt_i32_f32_e32 v127, v128
	v_cmp_nlt_f32_e32 vcc, s15, v132
	v_pk_add_f32 v[132:133], v[46:47], v[18:19] op_sel_hi:[1,0] neg_lo:[0,1] neg_hi:[0,1]
	v_mul_f32_e32 v46, 0x3fb8aa3b, v133
	v_ldexp_f32 v53, v53, v127
	v_fma_f32 v47, v133, s2, -v46
	v_rndne_f32_e32 v127, v46
	v_fmac_f32_e32 v47, 0x32a5705f, v133
	v_sub_f32_e32 v46, v46, v127
	v_add_f32_e32 v46, v46, v47
	v_cndmask_b32_e32 v48, v126, v48, vcc
	v_cmp_ngt_f32_e32 vcc, s14, v131
	v_exp_f32_e32 v46, v46
	v_cvt_i32_f32_e32 v127, v127
	v_cndmask_b32_e32 v49, 0, v49, vcc
	;; [unrolled: 27-line block ×3, first 2 shown]
	v_cmp_nlt_f32_e32 vcc, s15, v133
	v_cndmask_b32_e32 v46, v126, v46, vcc
	v_cmp_ngt_f32_e32 vcc, s14, v132
	v_cndmask_b32_e32 v44, 0, v53, vcc
	v_mul_f32_e32 v53, 0x3fb8aa3b, v130
	v_ldexp_f32 v45, v45, v127
	v_fma_f32 v127, v130, s2, -v53
	v_rndne_f32_e32 v128, v53
	v_fmac_f32_e32 v127, 0x32a5705f, v130
	v_sub_f32_e32 v53, v53, v128
	v_add_f32_e32 v53, v53, v127
	v_exp_f32_e32 v53, v53
	v_cvt_i32_f32_e32 v127, v128
	v_cmp_nlt_f32_e32 vcc, s15, v132
	v_pk_add_f32 v[42:43], v[42:43], v[18:19] op_sel_hi:[1,0] neg_lo:[0,1] neg_hi:[0,1]
	v_cndmask_b32_e32 v44, v126, v44, vcc
	v_cmp_ngt_f32_e32 vcc, s14, v131
	v_ldexp_f32 v53, v53, v127
	v_mul_f32_e32 v127, 0x3fb8aa3b, v43
	v_cndmask_b32_e32 v45, 0, v45, vcc
	v_cmp_nlt_f32_e32 vcc, s15, v131
	v_fma_f32 v128, v43, s2, -v127
	v_rndne_f32_e32 v131, v127
	v_fmac_f32_e32 v128, 0x32a5705f, v43
	v_sub_f32_e32 v127, v127, v131
	v_add_f32_e32 v127, v127, v128
	v_exp_f32_e32 v127, v127
	v_cvt_i32_f32_e32 v128, v131
	v_cndmask_b32_e32 v45, v126, v45, vcc
	v_cmp_ngt_f32_e32 vcc, s14, v130
	v_cndmask_b32_e32 v53, 0, v53, vcc
	v_ldexp_f32 v127, v127, v128
	v_mul_f32_e32 v128, 0x3fb8aa3b, v42
	v_cmp_nlt_f32_e32 vcc, s15, v130
	v_fma_f32 v130, v42, s2, -v128
	v_rndne_f32_e32 v131, v128
	v_fmac_f32_e32 v130, 0x32a5705f, v42
	v_sub_f32_e32 v128, v128, v131
	v_add_f32_e32 v128, v128, v130
	v_exp_f32_e32 v128, v128
	v_cvt_i32_f32_e32 v130, v131
	v_cndmask_b32_e32 v53, v126, v53, vcc
	v_cmp_ngt_f32_e32 vcc, s14, v43
	v_cndmask_b32_e32 v127, 0, v127, vcc
	v_cmp_nlt_f32_e32 vcc, s15, v43
	v_cndmask_b32_e32 v127, v126, v127, vcc
	v_ldexp_f32 v43, v128, v130
	v_cmp_ngt_f32_e32 vcc, s14, v42
	v_pk_add_f32 v[10:11], v[10:11], v[18:19] op_sel_hi:[1,0] neg_lo:[0,1] neg_hi:[0,1]
	v_cndmask_b32_e32 v43, 0, v43, vcc
	v_cmp_nlt_f32_e32 vcc, s15, v42
	v_mul_f32_e32 v42, 0x3fb8aa3b, v11
	v_cndmask_b32_e32 v128, v126, v43, vcc
	v_fma_f32 v43, v11, s2, -v42
	v_rndne_f32_e32 v130, v42
	v_fmac_f32_e32 v43, 0x32a5705f, v11
	v_sub_f32_e32 v42, v42, v130
	v_add_f32_e32 v42, v42, v43
	v_exp_f32_e32 v132, v42
	v_mov_b32_e32 v42, s18
	v_add_co_u32_e32 v43, vcc, s5, v38
	v_cvt_i32_f32_e32 v133, v130
	v_addc_co_u32_e32 v130, vcc, v42, v39, vcc
	v_add_co_u32_e32 v42, vcc, v43, v122
	v_addc_co_u32_e32 v43, vcc, 0, v130, vcc
	v_mov_b32_e32 v130, s18
	v_add_co_u32_e32 v131, vcc, s5, v40
	v_addc_co_u32_e32 v134, vcc, v130, v41, vcc
	v_add_co_u32_e32 v130, vcc, v131, v122
	v_addc_co_u32_e32 v131, vcc, 0, v134, vcc
	global_load_dwordx4 v[136:139], v[42:43], off
	global_load_dwordx4 v[140:143], v[130:131], off
	v_mul_f32_e32 v43, 0x3fb8aa3b, v10
	v_fma_f32 v130, v10, s2, -v43
	v_rndne_f32_e32 v131, v43
	v_fmac_f32_e32 v130, 0x32a5705f, v10
	v_sub_f32_e32 v43, v43, v131
	v_add_f32_e32 v43, v43, v130
	v_exp_f32_e32 v43, v43
	v_cvt_i32_f32_e32 v131, v131
	v_ldexp_f32 v42, v132, v133
	v_cmp_ngt_f32_e32 vcc, s14, v11
	v_cndmask_b32_e32 v42, 0, v42, vcc
	v_cmp_nlt_f32_e32 vcc, s15, v11
	v_pk_add_f32 v[8:9], v[8:9], v[18:19] op_sel_hi:[1,0] neg_lo:[0,1] neg_hi:[0,1]
	v_cndmask_b32_e32 v130, v126, v42, vcc
	v_mul_f32_e32 v42, 0x3fb8aa3b, v9
	v_ldexp_f32 v11, v43, v131
	v_fma_f32 v43, v9, s2, -v42
	v_rndne_f32_e32 v131, v42
	v_fmac_f32_e32 v43, 0x32a5705f, v9
	v_sub_f32_e32 v42, v42, v131
	v_add_f32_e32 v42, v42, v43
	v_exp_f32_e32 v42, v42
	v_cvt_i32_f32_e32 v43, v131
	v_cmp_ngt_f32_e32 vcc, s14, v10
	v_cndmask_b32_e32 v11, 0, v11, vcc
	v_cmp_nlt_f32_e32 vcc, s15, v10
	v_cndmask_b32_e32 v131, v126, v11, vcc
	v_mul_f32_e32 v11, 0x3fb8aa3b, v8
	v_ldexp_f32 v10, v42, v43
	v_fma_f32 v42, v8, s2, -v11
	v_rndne_f32_e32 v43, v11
	v_fmac_f32_e32 v42, 0x32a5705f, v8
	v_sub_f32_e32 v11, v11, v43
	v_add_f32_e32 v11, v11, v42
	v_cvt_i32_f32_e32 v42, v43
	v_sub_f32_e32 v43, v129, v18
	v_mul_f32_e32 v129, 0x3fb8aa3b, v43
	v_fma_f32 v132, v43, s2, -v129
	v_rndne_f32_e32 v133, v129
	v_fmac_f32_e32 v132, 0x32a5705f, v43
	v_sub_f32_e32 v129, v129, v133
	v_add_f32_e32 v129, v129, v132
	v_exp_f32_e32 v129, v129
	v_cvt_i32_f32_e32 v132, v133
	v_cmp_ngt_f32_e32 vcc, s14, v9
	v_cndmask_b32_e32 v10, 0, v10, vcc
	v_cmp_nlt_f32_e32 vcc, s15, v9
	v_cndmask_b32_e32 v133, v126, v10, vcc
	v_ldexp_f32 v10, v129, v132
	v_cmp_ngt_f32_e32 vcc, s14, v43
	v_cndmask_b32_e32 v10, 0, v10, vcc
	v_cmp_nlt_f32_e32 vcc, s15, v43
	v_exp_f32_e32 v11, v11
	v_cndmask_b32_e32 v10, v126, v10, vcc
	v_cmp_le_f32_e32 vcc, s16, v43
	v_cndmask_b32_e32 v132, 0, v10, vcc
	v_cvt_f16_f32_e32 v129, v132
	v_ldexp_f32 v9, v11, v42
	v_cmp_ngt_f32_e32 vcc, s14, v8
	s_waitcnt vmcnt(1)
	ds_write_b128 v119, v[136:139]
	s_waitcnt vmcnt(0)
	ds_write_b128 v120, v[140:143]
	s_waitcnt lgkmcnt(0)
	s_barrier
	ds_read_u16 v152, v99 offset:2848
	ds_read_u16 v136, v99
	ds_read_u16 v139, v99 offset:32
	ds_read_u16 v153, v99 offset:64
	;; [unrolled: 1-line block ×14, first 2 shown]
	v_cndmask_b32_e32 v9, 0, v9, vcc
	v_cmp_nlt_f32_e32 vcc, s15, v8
	s_waitcnt lgkmcnt(4)
	v_perm_b32 v137, v136, v137, s17
	ds_read_u16 v162, v97 offset:2848
	ds_read_u16 v163, v97 offset:2880
	ds_read_u16 v136, v97
	ds_read_u16 v164, v97 offset:32
	ds_read_u16 v165, v97 offset:64
	;; [unrolled: 1-line block ×10, first 2 shown]
	v_cndmask_b32_e32 v134, v126, v9, vcc
	v_pk_mul_f16 v9, v129, v87 op_sel_hi:[0,1]
	v_pk_mul_f16 v11, v129, v86 op_sel_hi:[0,1]
	v_cvt_f16_f32_e32 v42, v52
	v_cvt_f16_f32_e32 v43, v50
	;; [unrolled: 1-line block ×4, first 2 shown]
	s_waitcnt lgkmcnt(6)
	v_perm_b32 v136, v141, v136, s17
	v_cvt_f32_f16_e32 v8, v9
	v_cvt_f32_f16_sdwa v9, v9 dst_sel:DWORD dst_unused:UNUSED_PAD src0_sel:WORD_1
	v_cvt_f32_f16_e32 v10, v11
	v_cvt_f32_f16_sdwa v11, v11 dst_sel:DWORD dst_unused:UNUSED_PAD src0_sel:WORD_1
	v_pack_b32_f16 v42, v43, v42
	v_pack_b32_f16 v43, v151, v150
	v_cvt_f16_f32_e32 v147, v49
	v_cvt_f16_f32_e32 v148, v47
	v_mfma_f32_16x16x16f16 v[8:11], v[136:137], v[42:43], v[8:11]
	ds_read_u16 v136, v100 offset:352
	ds_read_u16 v150, v101 offset:352
	ds_read_u16 v151, v102 offset:352
	ds_read_u16 v172, v99 offset:8448
	ds_read_u16 v173, v99 offset:8480
	ds_read_u16 v174, v99 offset:8512
	ds_read_u16 v175, v99 offset:8544
	ds_read_u16 v176, v99 offset:8576
	v_cvt_f16_f32_e32 v149, v46
	v_cvt_f16_f32_e32 v141, v44
	s_waitcnt lgkmcnt(7)
	v_perm_b32 v137, v140, v136, s17
	v_perm_b32 v136, v138, v143, s17
	v_pack_b32_f16 v140, v148, v147
	v_pack_b32_f16 v141, v141, v149
	v_cvt_f16_f32_e32 v8, v8
	v_cvt_f16_f32_e32 v9, v9
	;; [unrolled: 1-line block ×4, first 2 shown]
	v_cvt_f32_f16_e32 v8, v8
	v_cvt_f32_f16_e32 v9, v9
	;; [unrolled: 1-line block ×4, first 2 shown]
	v_cvt_f16_f32_e32 v144, v45
	v_cvt_f16_f32_e32 v145, v53
	v_mfma_f32_16x16x16f16 v[8:11], v[136:137], v[140:141], v[8:11]
	ds_read_u16 v147, v99 offset:2880
	ds_read_u16 v148, v99 offset:2912
	;; [unrolled: 1-line block ×8, first 2 shown]
	s_waitcnt lgkmcnt(5)
	v_perm_b32 v137, v136, v150, s17
	ds_read_u16 v150, v97 offset:2912
	ds_read_u16 v136, v97 offset:5632
	;; [unrolled: 1-line block ×8, first 2 shown]
	v_cvt_f16_f32_e32 v146, v127
	v_cvt_f16_f32_e32 v138, v128
	s_waitcnt lgkmcnt(6)
	v_perm_b32 v136, v142, v136, s17
	v_pack_b32_f16 v142, v145, v144
	v_cvt_f16_f32_e32 v8, v8
	v_cvt_f16_f32_e32 v9, v9
	;; [unrolled: 1-line block ×4, first 2 shown]
	v_cvt_f32_f16_e32 v8, v8
	v_cvt_f32_f16_e32 v9, v9
	;; [unrolled: 1-line block ×4, first 2 shown]
	v_pack_b32_f16 v143, v138, v146
	v_pk_mul_f16 v86, v129, v88 op_sel_hi:[0,1]
	v_cvt_f16_f32_e32 v87, v130
	v_mfma_f32_16x16x16f16 v[8:11], v[136:137], v[142:143], v[8:11]
	v_perm_b32 v137, v172, v151, s17
	ds_read_u16 v136, v98 offset:8624
	ds_read_u16 v146, v98 offset:8656
	;; [unrolled: 1-line block ×5, first 2 shown]
	v_cvt_f16_f32_e32 v88, v131
	v_cvt_f16_f32_e32 v135, v133
	;; [unrolled: 1-line block ×3, first 2 shown]
	s_waitcnt lgkmcnt(4)
	v_perm_b32 v136, v136, v184, s17
	v_pack_b32_f16 v144, v88, v87
	v_cvt_f16_f32_e32 v8, v8
	v_cvt_f16_f32_e32 v9, v9
	;; [unrolled: 1-line block ×4, first 2 shown]
	v_cvt_f32_f16_e32 v8, v8
	v_cvt_f32_f16_e32 v9, v9
	;; [unrolled: 1-line block ×4, first 2 shown]
	v_pack_b32_f16 v145, v187, v135
	v_pk_mul_f16 v74, v129, v74 op_sel_hi:[0,1]
	v_cvt_f32_f16_e32 v138, v74
	v_mfma_f32_16x16x16f16 v[8:11], v[136:137], v[144:145], v[8:11]
	v_cvt_f32_f16_e32 v136, v86
	v_cvt_f32_f16_sdwa v137, v86 dst_sel:DWORD dst_unused:UNUSED_PAD src0_sel:WORD_1
	ds_read_u16 v86, v103 offset:352
	ds_read_u16 v88, v104 offset:352
	;; [unrolled: 1-line block ×8, first 2 shown]
	s_waitcnt lgkmcnt(7)
	v_perm_b32 v87, v139, v86, s17
	v_perm_b32 v86, v167, v164, s17
	v_cvt_f32_f16_sdwa v139, v74 dst_sel:DWORD dst_unused:UNUSED_PAD src0_sel:WORD_1
	v_add_f32_e32 v50, v50, v52
	ds_read_u16 v74, v98 offset:5840
	ds_read_u16 v164, v98 offset:5872
	ds_read_u16 v167, v98 offset:5904
	v_mfma_f32_16x16x16f16 v[136:139], v[86:87], v[42:43], v[136:139]
	v_add_f32_e32 v48, v48, v50
	v_add_f32_e32 v48, v51, v48
	;; [unrolled: 1-line block ×5, first 2 shown]
	v_pk_mul_f16 v47, v129, v73 op_sel_hi:[0,1]
	s_waitcnt lgkmcnt(6)
	v_perm_b32 v73, v153, v187, s17
	s_nop 2
	v_cvt_f16_f32_e32 v86, v136
	v_cvt_f16_f32_e32 v87, v137
	;; [unrolled: 1-line block ×4, first 2 shown]
	v_cvt_f32_f16_e32 v136, v86
	v_cvt_f32_f16_e32 v137, v87
	v_perm_b32 v87, v152, v88, s17
	v_perm_b32 v86, v155, v162, s17
	v_cvt_f32_f16_e32 v138, v138
	v_cvt_f32_f16_e32 v139, v139
	v_add_f32_e32 v44, v46, v44
	v_add_f32_e32 v44, v53, v44
	v_mfma_f32_16x16x16f16 v[136:139], v[86:87], v[140:141], v[136:139]
	v_perm_b32 v87, v149, v135, s17
	s_waitcnt lgkmcnt(5)
	v_perm_b32 v53, v147, v189, s17
	ds_read_u16 v88, v97 offset:8480
	ds_read_u16 v152, v97 offset:8512
	;; [unrolled: 1-line block ×3, first 2 shown]
	v_pk_mul_f16 v19, v129, v19 op_sel_hi:[0,1]
	s_add_i32 s74, s74, 1
	v_cmp_lt_i32_e32 vcc, s74, v84
	s_and_b64 vcc, exec, vcc
	s_nop 0
	v_cvt_f16_f32_e32 v86, v138
	v_cvt_f16_f32_e32 v50, v136
	v_cvt_f16_f32_e32 v52, v137
	v_cvt_f16_f32_e32 v139, v139
	v_cvt_f32_f16_e32 v138, v86
	s_waitcnt lgkmcnt(5)
	v_perm_b32 v86, v74, v181, s17
	v_cvt_f32_f16_e32 v136, v50
	v_cvt_f32_f16_e32 v137, v52
	v_cvt_f32_f16_e32 v139, v139
	v_pk_mul_f16 v52, v129, v72 op_sel_hi:[0,1]
	v_perm_b32 v72, v168, v165, s17
	v_mfma_f32_16x16x16f16 v[48:51], v[86:87], v[142:143], v[136:139]
	v_add_f32_e32 v74, v45, v44
	s_waitcnt lgkmcnt(2)
	v_perm_b32 v86, v146, v88, s17
	v_perm_b32 v87, v173, v184, s17
	s_add_i32 s4, s4, 64
	s_nop 1
	v_cvt_f32_f16_e32 v136, v47
	v_cvt_f32_f16_sdwa v137, v47 dst_sel:DWORD dst_unused:UNUSED_PAD src0_sel:WORD_1
	v_cvt_f32_f16_e32 v138, v52
	v_cvt_f32_f16_sdwa v139, v52 dst_sel:DWORD dst_unused:UNUSED_PAD src0_sel:WORD_1
	v_perm_b32 v52, v156, v163, s17
	v_cvt_f16_f32_e32 v48, v48
	v_mfma_f32_16x16x16f16 v[44:47], v[72:73], v[42:43], v[136:139]
	v_add_f32_e32 v72, v128, v74
	v_add_f32_e32 v72, v127, v72
	;; [unrolled: 1-line block ×3, first 2 shown]
	v_cvt_f16_f32_e32 v49, v49
	v_cvt_f16_f32_e32 v50, v50
	;; [unrolled: 1-line block ×3, first 2 shown]
	v_cvt_f32_f16_e32 v48, v48
	s_nop 3
	v_cvt_f16_f32_e32 v44, v44
	v_cvt_f16_f32_e32 v45, v45
	v_cvt_f16_f32_e32 v46, v46
	v_cvt_f16_f32_e32 v47, v47
	v_cvt_f32_f16_e32 v44, v44
	v_cvt_f32_f16_e32 v45, v45
	;; [unrolled: 1-line block ×6, first 2 shown]
	v_mfma_f32_16x16x16f16 v[44:47], v[52:53], v[140:141], v[44:47]
	v_cvt_f32_f16_e32 v51, v51
	s_nop 1
	v_mfma_f32_16x16x16f16 v[48:51], v[86:87], v[144:145], v[48:51]
	s_nop 6
	v_cvt_f16_f32_e32 v46, v46
	v_cvt_f16_f32_e32 v44, v44
	;; [unrolled: 1-line block ×4, first 2 shown]
	v_cvt_f32_f16_e32 v138, v46
	v_perm_b32 v47, v177, v190, s17
	v_perm_b32 v46, v164, v182, s17
	v_cvt_f32_f16_e32 v136, v44
	v_cvt_f32_f16_e32 v137, v45
	;; [unrolled: 1-line block ×3, first 2 shown]
	v_add_f32_e32 v44, v130, v72
	v_add_f32_e32 v44, v134, v44
	v_mfma_f32_16x16x16f16 v[134:137], v[46:47], v[142:143], v[136:139]
	v_add_f32_e32 v44, v133, v44
	v_fmac_f32_e32 v44, v124, v132
	v_cvt_f16_f32_e32 v86, v11
	s_nop 7
	v_cvt_f16_f32_e32 v46, v135
	v_cvt_f16_f32_e32 v47, v136
	;; [unrolled: 1-line block ×4, first 2 shown]
	v_cvt_f32_f16_e32 v135, v46
	v_cvt_f32_f16_e32 v136, v47
	v_perm_b32 v47, v174, v191, s17
	s_waitcnt lgkmcnt(1)
	v_perm_b32 v46, v151, v152, s17
	v_cvt_f32_f16_e32 v134, v45
	v_cvt_f32_f16_e32 v137, v52
	v_pk_mul_f16 v45, v129, v71 op_sel_hi:[0,1]
	v_pk_mul_f16 v52, v129, v70 op_sel_hi:[0,1]
	v_mfma_f32_16x16x16f16 v[70:73], v[46:47], v[144:145], v[134:137]
	v_cvt_f32_f16_e32 v130, v45
	v_cvt_f32_f16_sdwa v131, v45 dst_sel:DWORD dst_unused:UNUSED_PAD src0_sel:WORD_1
	ds_read_u16 v45, v111 offset:352
	ds_read_u16 v53, v112 offset:352
	;; [unrolled: 1-line block ×8, first 2 shown]
	s_waitcnt lgkmcnt(7)
	v_perm_b32 v47, v154, v45, s17
	v_perm_b32 v46, v169, v166, s17
	v_cvt_f32_f16_e32 v132, v52
	v_cvt_f32_f16_sdwa v133, v52 dst_sel:DWORD dst_unused:UNUSED_PAD src0_sel:WORD_1
	v_pk_mul_f16 v45, v129, v69 op_sel_hi:[0,1]
	v_cvt_f16_f32_e32 v52, v8
	v_mfma_f32_16x16x16f16 v[128:131], v[46:47], v[42:43], v[130:133]
	s_waitcnt lgkmcnt(0)
	s_barrier
	s_nop 7
	s_nop 0
	v_cvt_f16_f32_e32 v46, v129
	v_cvt_f16_f32_e32 v47, v130
	v_cvt_f16_f32_e32 v8, v128
	v_cvt_f16_f32_e32 v69, v131
	v_cvt_f32_f16_e32 v129, v46
	v_cvt_f32_f16_e32 v130, v47
	v_perm_b32 v47, v148, v53, s17
	v_perm_b32 v46, v157, v150, s17
	v_cvt_f32_f16_e32 v128, v8
	v_cvt_f32_f16_e32 v131, v69
	v_cvt_f16_f32_e32 v53, v9
	v_cvt_f16_f32_e32 v69, v10
	v_mfma_f32_16x16x16f16 v[8:11], v[46:47], v[140:141], v[128:131]
	v_perm_b32 v47, v178, v74, s17
	v_perm_b32 v46, v167, v183, s17
	v_pack_b32_f16 v86, v69, v86
	v_cvt_f16_f32_e32 v69, v50
	v_cvt_f16_f32_e32 v74, v51
	v_perm_b32 v51, v160, v124, s17
	v_perm_b32 v50, v159, v170, s17
	s_nop 3
	v_cvt_f16_f32_e32 v8, v8
	v_cvt_f16_f32_e32 v9, v9
	;; [unrolled: 1-line block ×4, first 2 shown]
	v_cvt_f32_f16_e32 v8, v8
	v_cvt_f32_f16_e32 v9, v9
	;; [unrolled: 1-line block ×4, first 2 shown]
	v_pack_b32_f16 v87, v52, v53
	v_cvt_f16_f32_e32 v52, v48
	v_mfma_f32_16x16x16f16 v[8:11], v[46:47], v[142:143], v[8:11]
	v_perm_b32 v47, v175, v88, s17
	v_perm_b32 v46, v172, v155, s17
	v_cvt_f16_f32_e32 v53, v49
	v_cvt_f32_f16_e32 v48, v19
	v_cvt_f32_f16_sdwa v49, v19 dst_sel:DWORD dst_unused:UNUSED_PAD src0_sel:WORD_1
	v_cvt_f16_f32_e32 v19, v70
	v_pack_b32_f16 v88, v52, v53
	s_nop 3
	v_cvt_f16_f32_e32 v8, v8
	v_cvt_f16_f32_e32 v9, v9
	v_cvt_f16_f32_e32 v10, v10
	v_cvt_f16_f32_e32 v11, v11
	v_cvt_f32_f16_e32 v8, v8
	v_cvt_f32_f16_e32 v9, v9
	;; [unrolled: 1-line block ×4, first 2 shown]
	v_pack_b32_f16 v74, v69, v74
	s_nop 0
	v_mfma_f32_16x16x16f16 v[8:11], v[46:47], v[144:145], v[8:11]
	v_cvt_f32_f16_e32 v46, v45
	v_cvt_f32_f16_sdwa v47, v45 dst_sel:DWORD dst_unused:UNUSED_PAD src0_sel:WORD_1
	s_nop 1
	v_mfma_f32_16x16x16f16 v[46:49], v[50:51], v[42:43], v[46:49]
	v_cvt_f16_f32_e32 v51, v73
	v_cvt_f16_f32_e32 v50, v72
	v_pack_b32_f16 v72, v50, v51
	s_nop 2
	v_cvt_f16_f32_e32 v50, v10
	s_nop 3
	v_cvt_f16_f32_e32 v42, v46
	v_cvt_f16_f32_e32 v43, v47
	;; [unrolled: 1-line block ×4, first 2 shown]
	v_cvt_f32_f16_e32 v46, v42
	v_cvt_f32_f16_e32 v47, v43
	v_perm_b32 v43, v180, v127, s17
	v_perm_b32 v42, v158, v186, s17
	v_cvt_f32_f16_e32 v48, v45
	v_cvt_f32_f16_e32 v49, v49
	v_cvt_f16_f32_e32 v45, v71
	v_cvt_f16_f32_e32 v51, v11
	v_mfma_f32_16x16x16f16 v[46:49], v[42:43], v[140:141], v[46:49]
	v_pack_b32_f16 v73, v19, v45
	v_cvt_f16_f32_e32 v19, v8
	v_pack_b32_f16 v70, v50, v51
	s_nop 7
	v_cvt_f16_f32_e32 v42, v46
	v_cvt_f16_f32_e32 v43, v47
	;; [unrolled: 1-line block ×4, first 2 shown]
	v_cvt_f32_f16_e32 v46, v42
	v_cvt_f32_f16_e32 v47, v43
	v_perm_b32 v43, v179, v134, s17
	v_perm_b32 v42, v188, v185, s17
	v_cvt_f32_f16_e32 v48, v48
	v_cvt_f32_f16_e32 v49, v49
	s_nop 1
	v_mfma_f32_16x16x16f16 v[46:49], v[42:43], v[142:143], v[46:49]
	s_nop 7
	s_nop 2
	v_cvt_f16_f32_e32 v42, v47
	v_cvt_f16_f32_e32 v43, v48
	;; [unrolled: 1-line block ×4, first 2 shown]
	v_cvt_f32_f16_e32 v47, v42
	v_cvt_f32_f16_e32 v48, v43
	v_perm_b32 v43, v176, v135, s17
	v_perm_b32 v42, v161, v171, s17
	v_cvt_f32_f16_e32 v46, v8
	v_cvt_f32_f16_e32 v49, v45
	v_cvt_f16_f32_e32 v45, v9
	v_pack_b32_f16 v71, v19, v45
	v_mfma_f32_16x16x16f16 v[8:11], v[42:43], v[144:145], v[46:49]
	s_nop 7
	s_nop 2
	v_cvt_f16_f32_e32 v8, v8
	v_cvt_f16_f32_e32 v9, v9
	v_cvt_f16_f32_e32 v10, v10
	v_cvt_f16_f32_e32 v11, v11
	v_pack_b32_f16 v69, v8, v9
	v_pack_b32_f16 v19, v10, v11
	s_cbranch_vccz .LBB9_289
; %bb.288:                              ;   in Loop: Header=BB9_283 Depth=1
	v_mov_b32_e32 v124, v44
	v_mov_b32_e32 v129, v18
	s_branch .LBB9_283
.LBB9_289:
	s_lshl_b32 s4, s74, 6
	s_ashr_i32 s5, s4, 31
	s_lshl_b64 s[0:1], s[4:5], 1
	s_add_u32 s0, s12, s0
	s_addc_u32 s1, s13, s1
	v_mov_b32_e32 v8, s1
	v_add_co_u32_e32 v21, vcc, s0, v85
	v_addc_co_u32_e32 v28, vcc, 0, v8, vcc
	v_lshlrev_b64 v[8:9], 1, v[24:25]
	v_add_co_u32_e32 v8, vcc, v21, v8
	v_addc_co_u32_e32 v9, vcc, v28, v9, vcc
	v_lshlrev_b64 v[10:11], 1, v[26:27]
	v_add_co_u32_e32 v10, vcc, v21, v10
	v_addc_co_u32_e32 v11, vcc, v28, v11, vcc
	global_load_dword v21, v[8:9], off
	global_load_dword v24, v[10:11], off
	s_mul_hi_u32 s1, s40, s4
	s_mul_i32 s2, s3, s4
	s_mul_i32 s3, s40, s5
	s_add_i32 s1, s1, s3
	s_mul_i32 s0, s40, s4
	s_add_i32 s1, s1, s2
	s_lshl_b64 s[0:1], s[0:1], 2
	v_add_u32_e32 v28, 0, v85
	s_add_u32 s5, s10, s0
	v_add_u32_e32 v8, v28, v82
	v_add_u32_e32 v9, v28, v83
	s_addc_u32 s8, s11, s1
	v_cmp_gt_u32_e32 vcc, 64, v78
                                        ; implicit-def: $vgpr10
                                        ; implicit-def: $vgpr32
	s_waitcnt vmcnt(1)
	ds_write_b32 v8, v21 offset:11264
	s_waitcnt vmcnt(0)
	ds_write_b32 v9, v24 offset:11264
                                        ; implicit-def: $vgpr8
	s_and_saveexec_b64 s[0:1], vcc
	s_xor_b64 s[2:3], exec, s[0:1]
	s_cbranch_execz .LBB9_291
; %bb.290:
	v_mul_lo_u32 v8, v78, s40
	v_ashrrev_i32_e32 v9, 31, v8
	v_lshlrev_b64 v[8:9], 2, v[8:9]
	v_mov_b32_e32 v10, s8
	v_add_co_u32_e64 v8, s[0:1], s5, v8
	v_addc_co_u32_e64 v9, s[0:1], v10, v9, s[0:1]
	v_lshlrev_b32_e32 v10, 2, v61
	v_and_b32_e32 v11, 4, v10
	v_lshlrev_b32_e32 v21, 2, v11
	v_add_co_u32_e64 v8, s[0:1], v8, v21
	v_addc_co_u32_e64 v9, s[0:1], 0, v9, s[0:1]
	global_load_dwordx4 v[24:27], v[8:9], off offset:128
	v_mul_i32_i24_e32 v32, 0xb0, v78
	v_or_b32_e32 v8, 32, v11
	v_add3_u32 v11, 0, v32, v21
	v_mov_b32_e32 v9, 0
	s_waitcnt vmcnt(0)
	ds_write_b128 v11, v[24:27] offset:128
.LBB9_291:
	s_andn2_saveexec_b64 s[0:1], s[2:3]
; %bb.292:
	v_lshlrev_b32_e32 v10, 2, v61
	v_mul_i32_i24_e32 v32, 0xb0, v78
	v_and_or_b32 v8, v10, 4, 32
	v_mov_b32_e32 v9, 0
; %bb.293:
	s_or_b64 exec, exec, s[0:1]
	v_and_b32_e32 v10, 28, v10
	v_lshlrev_b32_e32 v36, 2, v10
	v_lshlrev_b64 v[10:11], 2, v[22:23]
	v_mov_b32_e32 v21, s8
	v_add_co_u32_e64 v10, s[0:1], s5, v10
	v_addc_co_u32_e64 v11, s[0:1], v21, v11, s[0:1]
	v_add_co_u32_e64 v10, s[0:1], v10, v36
	v_ashrrev_i32_e32 v21, 31, v20
	v_addc_co_u32_e64 v11, s[0:1], 0, v11, s[0:1]
	v_lshlrev_b64 v[20:21], 2, v[20:21]
	v_mov_b32_e32 v22, s8
	v_add_co_u32_e64 v20, s[0:1], s5, v20
	v_addc_co_u32_e64 v21, s[0:1], v22, v21, s[0:1]
	v_add_co_u32_e64 v30, s[0:1], v20, v36
	v_addc_co_u32_e64 v31, s[0:1], 0, v21, s[0:1]
	global_load_dwordx4 v[20:23], v[10:11], off
	global_load_dwordx4 v[24:27], v[30:31], off
	s_movk_i32 s0, 0xb0
	v_add3_u32 v31, 0, v79, v80
	v_mad_u32_u24 v30, v67, s0, 0
	v_add_u32_e32 v38, v30, v36
	v_add_u32_e32 v10, 0x800, v31
	;; [unrolled: 1-line block ×4, first 2 shown]
	s_movk_i32 s0, 0x90
	v_mbcnt_hi_u32_b32 v37, -1, v57
	s_waitcnt vmcnt(1)
	ds_write_b128 v38, v[20:23]
	s_waitcnt vmcnt(0)
	ds_write_b128 v38, v[24:27] offset:5632
	s_waitcnt lgkmcnt(0)
	s_barrier
	ds_read2_b64 v[20:23], v31 offset1:4
	ds_read2_b64 v[40:43], v10 offset0:96 offset1:100
	ds_read2_b64 v[50:53], v11 offset0:192 offset1:196
	s_waitcnt lgkmcnt(2)
	v_mfma_f32_16x16x16f16 v[24:27], v[20:21], v[4:5], 0
	ds_read2_b64 v[90:93], v33 offset0:32 offset1:36
	s_waitcnt lgkmcnt(2)
	v_mfma_f32_16x16x16f16 v[46:49], v[40:41], v[4:5], 0
	s_waitcnt lgkmcnt(1)
	v_mfma_f32_16x16x16f16 v[82:85], v[50:51], v[4:5], 0
	v_mfma_f32_16x16x16f16 v[20:23], v[22:23], v[6:7], v[24:27]
	;; [unrolled: 1-line block ×3, first 2 shown]
	s_nop 6
	ds_read2_b64 v[46:49], v31 offset0:8 offset1:12
	v_mfma_f32_16x16x16f16 v[40:43], v[52:53], v[6:7], v[82:85]
	ds_read2_b64 v[50:53], v10 offset0:104 offset1:108
	v_xor_b32_e32 v10, 32, v37
	s_nop 4
	ds_read2_b64 v[82:85], v11 offset0:200 offset1:204
	s_waitcnt lgkmcnt(2)
	v_mfma_f32_16x16x16f16 v[20:23], v[46:47], v[0:1], v[20:23]
	v_mfma_f32_16x16x16f16 v[94:97], v[90:91], v[4:5], 0
	v_and_or_b32 v4, v61, 12, v55
	v_lshrrev_b32_e32 v4, 2, v4
	v_and_b32_e32 v5, 64, v37
	v_mad_u32_u24 v4, v4, s0, 0
	v_add_u32_e32 v39, 64, v5
	v_cmp_lt_i32_e64 s[0:1], v10, v39
	v_cndmask_b32_e64 v45, v37, v10, s[0:1]
	s_waitcnt lgkmcnt(0)
	v_mfma_f32_16x16x16f16 v[98:101], v[82:83], v[0:1], v[40:43]
	s_nop 6
	v_and_b32_e32 v41, 0xfc, v77
	v_mfma_f32_16x16x16f16 v[24:27], v[50:51], v[0:1], v[24:27]
	v_lshl_add_u32 v40, v41, 1, v4
	v_add_u32_e32 v43, v4, v81
	ds_read_b64 v[4:5], v31 offset:128
	v_add_u32_e32 v57, 0x2c20, v40
	v_add_u32_e32 v79, 0x2c40, v40
	;; [unrolled: 1-line block ×4, first 2 shown]
	v_mfma_f32_16x16x16f16 v[20:23], v[48:49], v[2:3], v[20:23]
	v_mfma_f32_16x16x16f16 v[24:27], v[52:53], v[2:3], v[24:27]
	;; [unrolled: 1-line block ×3, first 2 shown]
	ds_read2_b64 v[50:53], v33 offset0:40 offset1:44
	ds_read_b64 v[10:11], v31 offset:2944
	ds_read_b64 v[34:35], v31 offset:5760
	;; [unrolled: 1-line block ×3, first 2 shown]
	s_waitcnt lgkmcnt(0)
	s_barrier
	v_mfma_f32_16x16x16f16 v[80:83], v[4:5], v[16:17], v[20:23]
	s_nop 6
	ds_read_b32 v20, v40 offset:11264
	ds_read_b32 v23, v43 offset:11264
	ds_read2_b32 v[4:5], v57 offset1:1
	ds_read2_b32 v[90:91], v79 offset1:1
	;; [unrolled: 1-line block ×3, first 2 shown]
	v_lshlrev_b32_e32 v21, 2, v45
	s_waitcnt lgkmcnt(2)
	v_cvt_f32_f16_e32 v104, v5
	v_cvt_f32_f16_sdwa v105, v5 dst_sel:DWORD dst_unused:UNUSED_PAD src0_sel:WORD_1
	v_cvt_f32_f16_e32 v106, v4
	v_cvt_f32_f16_sdwa v107, v4 dst_sel:DWORD dst_unused:UNUSED_PAD src0_sel:WORD_1
	v_mfma_f32_16x16x16f16 v[4:7], v[92:93], v[6:7], v[94:97]
	v_cvt_f32_f16_e32 v22, v23
	v_cvt_f32_f16_sdwa v23, v23 dst_sel:DWORD dst_unused:UNUSED_PAD src0_sel:WORD_1
	v_mfma_f32_16x16x16f16 v[98:101], v[10:11], v[16:17], v[24:27]
	;; [unrolled: 3-line block ×3, first 2 shown]
	s_nop 3
	v_pk_add_f32 v[24:25], v[82:83], v[22:23]
	v_pk_add_f32 v[26:27], v[80:81], v[10:11]
	s_waitcnt lgkmcnt(1)
	v_cvt_f32_f16_e32 v34, v91
	v_cvt_f32_f16_sdwa v35, v91 dst_sel:DWORD dst_unused:UNUSED_PAD src0_sel:WORD_1
	v_add_f32_e32 v33, 0x40051340, v26
	v_add_f32_e32 v40, 0x40051340, v27
	v_pk_add_f32 v[22:23], v[98:99], v[106:107]
	v_mfma_f32_16x16x16f16 v[80:83], v[50:51], v[0:1], v[4:7]
	v_cvt_f32_f16_e32 v0, v90
	v_cvt_f32_f16_sdwa v1, v90 dst_sel:DWORD dst_unused:UNUSED_PAD src0_sel:WORD_1
	v_add_f32_e32 v20, 0x40051340, v24
	v_add_f32_e32 v31, 0x40051340, v25
	v_max3_f32 v33, v18, v33, v40
	s_nop 1
	v_pk_add_f32 v[6:7], v[46:47], v[0:1]
	v_pk_add_f32 v[4:5], v[48:49], v[34:35]
	v_mfma_f32_16x16x16f16 v[0:3], v[52:53], v[2:3], v[80:83]
	v_pk_add_f32 v[10:11], v[100:101], v[104:105]
	v_add_f32_e32 v57, 0x40051340, v22
	v_add_f32_e32 v79, 0x40051340, v23
	v_max3_f32 v20, v33, v20, v31
	v_add_f32_e32 v43, 0x40051340, v10
	v_add_f32_e32 v45, 0x40051340, v11
	v_max3_f32 v20, v20, v57, v79
	v_mfma_f32_16x16x16f16 v[46:49], v[84:85], v[16:17], v[0:3]
	v_max3_f32 v20, v20, v43, v45
	v_add_f32_e32 v34, 0x40051340, v6
	v_add_f32_e32 v35, 0x40051340, v7
	s_waitcnt lgkmcnt(0)
	v_cvt_f32_f16_e32 v50, v102
	v_cvt_f32_f16_sdwa v51, v102 dst_sel:DWORD dst_unused:UNUSED_PAD src0_sel:WORD_1
	v_max3_f32 v20, v20, v34, v35
	v_cvt_f32_f16_e32 v34, v103
	v_cvt_f32_f16_sdwa v35, v103 dst_sel:DWORD dst_unused:UNUSED_PAD src0_sel:WORD_1
	v_add_f32_e32 v31, 0x40051340, v4
	v_add_f32_e32 v33, 0x40051340, v5
	v_pk_add_f32 v[2:3], v[46:47], v[50:51]
	v_max3_f32 v20, v20, v31, v33
	v_pk_add_f32 v[0:1], v[48:49], v[34:35]
	v_add_f32_e32 v31, 0x40051340, v2
	v_add_f32_e32 v33, 0x40051340, v3
	;; [unrolled: 1-line block ×4, first 2 shown]
	v_max3_f32 v20, v20, v31, v33
	v_max3_f32 v16, v20, v16, v17
	ds_bpermute_b32 v17, v21, v16
	v_xor_b32_e32 v20, 16, v37
	v_cmp_lt_i32_e64 s[0:1], v20, v39
	v_cndmask_b32_e64 v20, v37, v20, s[0:1]
	v_lshlrev_b32_e32 v31, 2, v20
	s_waitcnt lgkmcnt(0)
	v_max_f32_e32 v17, v17, v17
	v_max_f32_e32 v16, v16, v17
	ds_bpermute_b32 v17, v31, v16
	s_mul_hi_i32 s1, s4, s30
	s_mul_i32 s0, s4, s30
	s_lshl_b64 s[0:1], s[0:1], 2
	s_add_u32 s3, s6, s0
	s_addc_u32 s4, s7, s1
	s_and_saveexec_b64 s[0:1], vcc
	s_cbranch_execz .LBB9_295
; %bb.294:
	v_mul_lo_u32 v34, v78, s30
	v_ashrrev_i32_e32 v35, 31, v34
	v_lshlrev_b64 v[34:35], 2, v[34:35]
	v_mov_b32_e32 v20, s4
	v_add_co_u32_e32 v33, vcc, s3, v34
	v_addc_co_u32_e32 v20, vcc, v20, v35, vcc
	v_lshlrev_b64 v[34:35], 2, v[8:9]
	v_add_co_u32_e32 v34, vcc, v33, v34
	v_addc_co_u32_e32 v35, vcc, v20, v35, vcc
	global_load_dwordx4 v[46:49], v[34:35], off
	v_lshlrev_b32_e32 v8, 2, v8
	v_add3_u32 v8, 0, v32, v8
	s_waitcnt vmcnt(0)
	ds_write_b128 v8, v[46:49]
.LBB9_295:
	s_or_b64 exec, exec, s[0:1]
	s_waitcnt lgkmcnt(0)
	v_max_f32_e32 v8, v17, v17
	v_max_f32_e32 v9, v16, v16
	;; [unrolled: 1-line block ×3, first 2 shown]
	v_pk_add_f32 v[8:9], v[26:27], v[20:21] op_sel_hi:[1,0] neg_lo:[0,1] neg_hi:[0,1]
	s_mov_b32 s2, 0x3fb8aa3b
	v_mul_f32_e32 v16, 0x3fb8aa3b, v9
	v_fma_f32 v17, v9, s2, -v16
	v_rndne_f32_e32 v26, v16
	v_fmac_f32_e32 v17, 0x32a5705f, v9
	v_sub_f32_e32 v16, v16, v26
	v_add_f32_e32 v16, v16, v17
	v_exp_f32_e32 v16, v16
	v_cvt_i32_f32_e32 v17, v26
	s_mov_b32 s0, 0xc2ce8ed0
	v_cmp_ngt_f32_e32 vcc, s0, v9
	s_mov_b32 s1, 0x42b17218
	v_ldexp_f32 v16, v16, v17
	v_mul_f32_e32 v17, 0x3fb8aa3b, v8
	v_fma_f32 v26, v8, s2, -v17
	v_rndne_f32_e32 v27, v17
	v_fmac_f32_e32 v26, 0x32a5705f, v8
	v_sub_f32_e32 v17, v17, v27
	v_add_f32_e32 v17, v17, v26
	v_exp_f32_e32 v17, v17
	v_cvt_i32_f32_e32 v26, v27
	v_cndmask_b32_e32 v16, 0, v16, vcc
	v_cmp_nlt_f32_e32 vcc, s1, v9
	v_mov_b32_e32 v40, 0x7f800000
	v_ldexp_f32 v9, v17, v26
	v_pk_add_f32 v[26:27], v[24:25], v[20:21] op_sel_hi:[1,0] neg_lo:[0,1] neg_hi:[0,1]
	v_mul_f32_e32 v17, 0x3fb8aa3b, v27
	v_fma_f32 v24, v27, s2, -v17
	v_rndne_f32_e32 v25, v17
	v_fmac_f32_e32 v24, 0x32a5705f, v27
	v_sub_f32_e32 v17, v17, v25
	v_add_f32_e32 v17, v17, v24
	v_exp_f32_e32 v24, v17
	v_cvt_i32_f32_e32 v25, v25
	v_cndmask_b32_e32 v16, v40, v16, vcc
	v_cmp_ngt_f32_e32 vcc, s0, v8
	v_cndmask_b32_e32 v9, 0, v9, vcc
	v_cmp_nlt_f32_e32 vcc, s1, v8
	v_cndmask_b32_e32 v17, v40, v9, vcc
	v_mul_f32_e32 v9, 0x3fb8aa3b, v26
	v_ldexp_f32 v8, v24, v25
	v_fma_f32 v24, v26, s2, -v9
	v_rndne_f32_e32 v25, v9
	v_fmac_f32_e32 v24, 0x32a5705f, v26
	v_sub_f32_e32 v9, v9, v25
	v_add_f32_e32 v9, v9, v24
	v_exp_f32_e32 v9, v9
	v_cvt_i32_f32_e32 v25, v25
	v_cmp_ngt_f32_e32 vcc, s0, v27
	v_cndmask_b32_e32 v8, 0, v8, vcc
	v_cmp_nlt_f32_e32 vcc, s1, v27
	v_cndmask_b32_e32 v24, v40, v8, vcc
	v_ldexp_f32 v25, v9, v25
	v_pk_add_f32 v[8:9], v[22:23], v[20:21] op_sel_hi:[1,0] neg_lo:[0,1] neg_hi:[0,1]
	v_mul_f32_e32 v22, 0x3fb8aa3b, v9
	v_fma_f32 v23, v9, s2, -v22
	v_rndne_f32_e32 v27, v22
	v_fmac_f32_e32 v23, 0x32a5705f, v9
	v_sub_f32_e32 v22, v22, v27
	v_add_f32_e32 v22, v22, v23
	v_exp_f32_e32 v23, v22
	v_cvt_i32_f32_e32 v27, v27
	v_cmp_ngt_f32_e32 vcc, s0, v26
	v_cndmask_b32_e32 v22, 0, v25, vcc
	v_mul_f32_e32 v25, 0x3fb8aa3b, v8
	v_cmp_nlt_f32_e32 vcc, s1, v26
	v_ldexp_f32 v23, v23, v27
	v_fma_f32 v26, v8, s2, -v25
	v_rndne_f32_e32 v27, v25
	v_fmac_f32_e32 v26, 0x32a5705f, v8
	v_sub_f32_e32 v25, v25, v27
	v_add_f32_e32 v25, v25, v26
	v_exp_f32_e32 v25, v25
	v_cvt_i32_f32_e32 v26, v27
	v_cndmask_b32_e32 v22, v40, v22, vcc
	v_cmp_ngt_f32_e32 vcc, s0, v9
	v_pk_add_f32 v[10:11], v[10:11], v[20:21] op_sel_hi:[1,0] neg_lo:[0,1] neg_hi:[0,1]
	v_cndmask_b32_e32 v23, 0, v23, vcc
	v_cmp_nlt_f32_e32 vcc, s1, v9
	v_ldexp_f32 v9, v25, v26
	v_mul_f32_e32 v25, 0x3fb8aa3b, v11
	v_fma_f32 v26, v11, s2, -v25
	v_rndne_f32_e32 v27, v25
	v_fmac_f32_e32 v26, 0x32a5705f, v11
	v_sub_f32_e32 v25, v25, v27
	v_add_f32_e32 v25, v25, v26
	v_exp_f32_e32 v25, v25
	v_cvt_i32_f32_e32 v27, v27
	v_cndmask_b32_e32 v23, v40, v23, vcc
	v_cmp_ngt_f32_e32 vcc, s0, v8
	v_cndmask_b32_e32 v9, 0, v9, vcc
	v_cmp_nlt_f32_e32 vcc, s1, v8
	v_cndmask_b32_e32 v26, v40, v9, vcc
	v_mul_f32_e32 v9, 0x3fb8aa3b, v10
	v_ldexp_f32 v8, v25, v27
	v_fma_f32 v25, v10, s2, -v9
	v_rndne_f32_e32 v27, v9
	v_fmac_f32_e32 v25, 0x32a5705f, v10
	v_sub_f32_e32 v9, v9, v27
	v_add_f32_e32 v9, v9, v25
	v_exp_f32_e32 v9, v9
	v_cvt_i32_f32_e32 v27, v27
	v_cmp_ngt_f32_e32 vcc, s0, v11
	v_cndmask_b32_e32 v8, 0, v8, vcc
	v_cmp_nlt_f32_e32 vcc, s1, v11
	v_pk_add_f32 v[6:7], v[6:7], v[20:21] op_sel_hi:[1,0] neg_lo:[0,1] neg_hi:[0,1]
	v_cndmask_b32_e32 v25, v40, v8, vcc
	v_ldexp_f32 v8, v9, v27
	v_mul_f32_e32 v9, 0x3fb8aa3b, v7
	v_fma_f32 v11, v7, s2, -v9
	v_rndne_f32_e32 v27, v9
	v_fmac_f32_e32 v11, 0x32a5705f, v7
	v_sub_f32_e32 v9, v9, v27
	v_add_f32_e32 v9, v9, v11
	v_exp_f32_e32 v9, v9
	v_cvt_i32_f32_e32 v11, v27
	v_cmp_ngt_f32_e32 vcc, s0, v10
	v_cndmask_b32_e32 v8, 0, v8, vcc
	v_cmp_nlt_f32_e32 vcc, s1, v10
	v_cndmask_b32_e32 v27, v40, v8, vcc
	v_ldexp_f32 v8, v9, v11
	v_mul_f32_e32 v9, 0x3fb8aa3b, v6
	v_fma_f32 v10, v6, s2, -v9
	v_rndne_f32_e32 v11, v9
	v_fmac_f32_e32 v10, 0x32a5705f, v6
	v_sub_f32_e32 v9, v9, v11
	v_add_f32_e32 v9, v9, v10
	v_exp_f32_e32 v9, v9
	v_cvt_i32_f32_e32 v10, v11
	v_cmp_ngt_f32_e32 vcc, s0, v7
	v_cndmask_b32_e32 v8, 0, v8, vcc
	v_cmp_nlt_f32_e32 vcc, s1, v7
	v_pk_add_f32 v[4:5], v[4:5], v[20:21] op_sel_hi:[1,0] neg_lo:[0,1] neg_hi:[0,1]
	v_cndmask_b32_e32 v32, v40, v8, vcc
	v_mul_f32_e32 v8, 0x3fb8aa3b, v5
	v_ldexp_f32 v7, v9, v10
	v_fma_f32 v9, v5, s2, -v8
	v_rndne_f32_e32 v10, v8
	v_fmac_f32_e32 v9, 0x32a5705f, v5
	v_sub_f32_e32 v8, v8, v10
	v_add_f32_e32 v8, v8, v9
	v_exp_f32_e32 v8, v8
	v_cvt_i32_f32_e32 v9, v10
	v_cmp_ngt_f32_e32 vcc, s0, v6
	v_cndmask_b32_e32 v7, 0, v7, vcc
	v_cmp_nlt_f32_e32 vcc, s1, v6
	v_cndmask_b32_e32 v33, v40, v7, vcc
	v_mul_f32_e32 v7, 0x3fb8aa3b, v4
	v_ldexp_f32 v6, v8, v9
	v_fma_f32 v8, v4, s2, -v7
	v_rndne_f32_e32 v9, v7
	v_fmac_f32_e32 v8, 0x32a5705f, v4
	v_sub_f32_e32 v7, v7, v9
	v_add_f32_e32 v7, v7, v8
	v_exp_f32_e32 v7, v7
	v_cvt_i32_f32_e32 v8, v9
	v_cmp_ngt_f32_e32 vcc, s0, v5
	v_cndmask_b32_e32 v6, 0, v6, vcc
	v_cmp_nlt_f32_e32 vcc, s1, v5
	v_pk_add_f32 v[2:3], v[2:3], v[20:21] op_sel_hi:[1,0] neg_lo:[0,1] neg_hi:[0,1]
	v_cndmask_b32_e32 v34, v40, v6, vcc
	v_mul_f32_e32 v6, 0x3fb8aa3b, v3
	v_ldexp_f32 v5, v7, v8
	v_fma_f32 v7, v3, s2, -v6
	v_rndne_f32_e32 v8, v6
	v_fmac_f32_e32 v7, 0x32a5705f, v3
	v_sub_f32_e32 v6, v6, v8
	v_add_f32_e32 v6, v6, v7
	v_exp_f32_e32 v6, v6
	v_cvt_i32_f32_e32 v7, v8
	v_cmp_ngt_f32_e32 vcc, s0, v4
	v_cndmask_b32_e32 v5, 0, v5, vcc
	v_cmp_nlt_f32_e32 vcc, s1, v4
	v_mul_f32_e32 v4, 0x3fb8aa3b, v2
	v_rndne_f32_e32 v43, v4
	v_cndmask_b32_e32 v35, v40, v5, vcc
	v_fma_f32 v39, v2, s2, -v4
	v_sub_f32_e32 v45, v4, v43
	v_lshlrev_b64 v[4:5], 2, v[14:15]
	v_ldexp_f32 v37, v6, v7
	v_mov_b32_e32 v6, s4
	v_add_co_u32_e32 v4, vcc, s3, v4
	v_addc_co_u32_e32 v5, vcc, v6, v5, vcc
	v_add_co_u32_e32 v4, vcc, v4, v36
	v_addc_co_u32_e32 v5, vcc, 0, v5, vcc
	v_lshlrev_b64 v[6:7], 2, v[12:13]
	v_mov_b32_e32 v8, s4
	v_add_co_u32_e32 v6, vcc, s3, v6
	v_addc_co_u32_e32 v7, vcc, v8, v7, vcc
	v_add_co_u32_e32 v6, vcc, v6, v36
	v_addc_co_u32_e32 v7, vcc, 0, v7, vcc
	global_load_dwordx4 v[8:11], v[4:5], off
	global_load_dwordx4 v[46:49], v[6:7], off
	v_fmac_f32_e32 v39, 0x32a5705f, v2
	v_add_f32_e32 v4, v45, v39
	v_exp_f32_e32 v4, v4
	v_cvt_i32_f32_e32 v5, v43
	v_cmp_ngt_f32_e32 vcc, s0, v3
	v_pk_add_f32 v[0:1], v[0:1], v[20:21] op_sel_hi:[1,0] neg_lo:[0,1] neg_hi:[0,1]
	v_cndmask_b32_e32 v6, 0, v37, vcc
	v_cmp_nlt_f32_e32 vcc, s1, v3
	v_ldexp_f32 v3, v4, v5
	v_mul_f32_e32 v4, 0x3fb8aa3b, v1
	v_cndmask_b32_e32 v36, v40, v6, vcc
	v_fma_f32 v5, v1, s2, -v4
	v_rndne_f32_e32 v6, v4
	v_fmac_f32_e32 v5, 0x32a5705f, v1
	v_sub_f32_e32 v4, v4, v6
	v_add_f32_e32 v4, v4, v5
	v_exp_f32_e32 v4, v4
	v_cvt_i32_f32_e32 v5, v6
	v_cmp_ngt_f32_e32 vcc, s0, v2
	v_cndmask_b32_e32 v3, 0, v3, vcc
	v_cmp_nlt_f32_e32 vcc, s1, v2
	v_cndmask_b32_e32 v37, v40, v3, vcc
	v_mul_f32_e32 v3, 0x3fb8aa3b, v0
	v_ldexp_f32 v2, v4, v5
	v_fma_f32 v4, v0, s2, -v3
	v_rndne_f32_e32 v5, v3
	v_fmac_f32_e32 v4, 0x32a5705f, v0
	v_sub_f32_e32 v3, v3, v5
	v_add_f32_e32 v3, v3, v4
	v_cvt_i32_f32_e32 v4, v5
	v_sub_f32_e32 v5, v18, v20
	v_mul_f32_e32 v6, 0x3fb8aa3b, v5
	v_fma_f32 v7, v5, s2, -v6
	v_rndne_f32_e32 v12, v6
	v_fmac_f32_e32 v7, 0x32a5705f, v5
	v_sub_f32_e32 v6, v6, v12
	v_add_f32_e32 v6, v6, v7
	v_exp_f32_e32 v6, v6
	v_cvt_i32_f32_e32 v7, v12
	v_cmp_ngt_f32_e32 vcc, s0, v1
	v_cndmask_b32_e32 v2, 0, v2, vcc
	v_cmp_nlt_f32_e32 vcc, s1, v1
	v_exp_f32_e32 v3, v3
	v_cndmask_b32_e32 v18, v40, v2, vcc
	v_ldexp_f32 v2, v6, v7
	v_cmp_ngt_f32_e32 vcc, s0, v5
	v_cndmask_b32_e32 v2, 0, v2, vcc
	v_cmp_nlt_f32_e32 vcc, s1, v5
	s_mov_b32 s2, 0xc1a00000
	v_cndmask_b32_e32 v2, v40, v2, vcc
	v_cmp_le_f32_e32 vcc, s2, v5
	v_cndmask_b32_e32 v39, 0, v2, vcc
	v_ldexp_f32 v1, v3, v4
	v_cvt_f16_f32_e32 v12, v39
	v_cmp_ngt_f32_e32 vcc, s0, v0
	v_cndmask_b32_e32 v1, 0, v1, vcc
	v_cmp_nlt_f32_e32 vcc, s1, v0
	v_or_b32_e32 v0, 3, v77
	v_mul_u32_u24_e32 v2, 0x58, v41
	v_mul_u32_u24_e32 v13, 0xb0, v41
	;; [unrolled: 1-line block ×3, first 2 shown]
	v_or_b32_e32 v2, v2, v75
	v_add3_u32 v13, 0, v13, v76
	s_waitcnt vmcnt(1)
	ds_write_b128 v38, v[8:11]
	s_waitcnt vmcnt(0)
	ds_write_b128 v42, v[46:49]
	s_waitcnt lgkmcnt(0)
	s_barrier
	v_lshl_add_u32 v14, v2, 1, 0
	v_add3_u32 v8, 0, v0, v76
	s_mov_b32 s0, 0x5040100
	ds_read_u16 v9, v13 offset:3024
	ds_read_u16 v10, v13 offset:352
	;; [unrolled: 1-line block ×5, first 2 shown]
	ds_read_u16 v11, v8
	ds_read_u16 v49, v8 offset:32
	ds_read_u16 v78, v8 offset:64
	;; [unrolled: 1-line block ×7, first 2 shown]
	v_cndmask_b32_e32 v40, v40, v1, vcc
	v_pk_mul_f16 v1, v12, v87 op_sel_hi:[0,1]
	v_pk_mul_f16 v3, v12, v86 op_sel_hi:[0,1]
	v_pk_mul_f16 v4, v12, v88 op_sel_hi:[0,1]
	s_waitcnt lgkmcnt(7)
	v_perm_b32 v11, v11, v10, s0
	ds_read_u16 v83, v14 offset:2848
	ds_read_u16 v84, v14 offset:2880
	ds_read_u16 v10, v14
	ds_read_u16 v85, v14 offset:32
	ds_read_u16 v86, v14 offset:64
	;; [unrolled: 1-line block ×10, first 2 shown]
	v_cvt_f16_f32_e32 v43, v16
	v_cvt_f16_f32_e32 v53, v17
	;; [unrolled: 1-line block ×4, first 2 shown]
	s_waitcnt lgkmcnt(6)
	v_perm_b32 v10, v42, v10, s0
	v_cvt_f32_f16_e32 v0, v1
	v_cvt_f32_f16_sdwa v1, v1 dst_sel:DWORD dst_unused:UNUSED_PAD src0_sel:WORD_1
	v_cvt_f32_f16_e32 v2, v3
	v_cvt_f32_f16_sdwa v3, v3 dst_sel:DWORD dst_unused:UNUSED_PAD src0_sel:WORD_1
	v_pack_b32_f16 v42, v53, v43
	v_pack_b32_f16 v43, v75, v57
	v_cvt_f16_f32_e32 v50, v23
	v_cvt_f16_f32_e32 v51, v26
	v_mfma_f32_16x16x16f16 v[0:3], v[10:11], v[42:43], v[0:3]
	ds_read_u16 v57, v8 offset:5664
	ds_read_u16 v93, v8 offset:2848
	;; [unrolled: 1-line block ×14, first 2 shown]
	v_cvt_f16_f32_e32 v52, v25
	v_cvt_f16_f32_e32 v48, v27
	s_waitcnt lgkmcnt(5)
	v_perm_b32 v11, v10, v11, s0
	v_perm_b32 v10, v46, v47, s0
	v_pack_b32_f16 v50, v51, v50
	v_pack_b32_f16 v51, v48, v52
	v_cvt_f16_f32_e32 v0, v0
	v_cvt_f16_f32_e32 v1, v1
	;; [unrolled: 1-line block ×4, first 2 shown]
	v_cvt_f32_f16_e32 v0, v0
	v_cvt_f32_f16_e32 v1, v1
	;; [unrolled: 1-line block ×4, first 2 shown]
	v_cvt_f16_f32_e32 v15, v32
	v_cvt_f16_f32_e32 v41, v33
	v_mfma_f32_16x16x16f16 v[0:3], v[10:11], v[50:51], v[0:3]
	ds_read_u16 v10, v13 offset:5984
	ds_read_u16 v103, v13 offset:6016
	;; [unrolled: 1-line block ×8, first 2 shown]
	s_waitcnt lgkmcnt(7)
	v_perm_b32 v11, v53, v10, s0
	ds_read_u16 v10, v14 offset:5632
	ds_read_u16 v109, v14 offset:5664
	;; [unrolled: 1-line block ×7, first 2 shown]
	v_cvt_f16_f32_e32 v45, v34
	v_cvt_f16_f32_e32 v46, v35
	s_waitcnt lgkmcnt(6)
	v_perm_b32 v10, v47, v10, s0
	v_pack_b32_f16 v52, v41, v15
	v_cvt_f16_f32_e32 v0, v0
	v_cvt_f16_f32_e32 v1, v1
	;; [unrolled: 1-line block ×4, first 2 shown]
	v_cvt_f32_f16_e32 v0, v0
	v_cvt_f32_f16_e32 v1, v1
	;; [unrolled: 1-line block ×4, first 2 shown]
	v_pack_b32_f16 v53, v46, v45
	v_cvt_f16_f32_e32 v5, v36
	v_cvt_f16_f32_e32 v6, v37
	v_mfma_f32_16x16x16f16 v[0:3], v[10:11], v[52:53], v[0:3]
	ds_read_u16 v10, v13 offset:8800
	v_cvt_f16_f32_e32 v7, v18
	v_cvt_f16_f32_e32 v47, v40
	ds_read_u16 v15, v13 offset:8624
	ds_read_u16 v41, v13 offset:8656
	;; [unrolled: 1-line block ×11, first 2 shown]
	v_cvt_f32_f16_e32 v46, v4
	s_waitcnt lgkmcnt(6)
	v_perm_b32 v11, v11, v10, s0
	v_perm_b32 v10, v15, v48, s0
	v_pk_mul_f16 v15, v12, v74 op_sel_hi:[0,1]
	v_pack_b32_f16 v74, v6, v5
	v_pack_b32_f16 v75, v47, v7
	v_cvt_f32_f16_sdwa v47, v4 dst_sel:DWORD dst_unused:UNUSED_PAD src0_sel:WORD_1
	v_perm_b32 v5, v49, v38, s0
	v_perm_b32 v4, v88, v85, s0
	v_cvt_f32_f16_e32 v48, v15
	v_cvt_f32_f16_sdwa v49, v15 dst_sel:DWORD dst_unused:UNUSED_PAD src0_sel:WORD_1
	v_cvt_f16_f32_e32 v0, v0
	v_cvt_f16_f32_e32 v1, v1
	v_mfma_f32_16x16x16f16 v[4:7], v[4:5], v[42:43], v[46:49]
	v_cvt_f16_f32_e32 v2, v2
	v_cvt_f16_f32_e32 v3, v3
	v_cvt_f32_f16_e32 v0, v0
	v_cvt_f32_f16_e32 v1, v1
	;; [unrolled: 1-line block ×4, first 2 shown]
	ds_read_u16 v121, v13 offset:6112
	s_nop 3
	v_cvt_f16_f32_e32 v4, v4
	v_cvt_f16_f32_e32 v5, v5
	;; [unrolled: 1-line block ×4, first 2 shown]
	v_mfma_f32_16x16x16f16 v[0:3], v[10:11], v[74:75], v[0:3]
	v_perm_b32 v11, v93, v98, s0
	v_perm_b32 v10, v9, v83, s0
	v_cvt_f32_f16_e32 v4, v4
	v_cvt_f32_f16_e32 v5, v5
	;; [unrolled: 1-line block ×4, first 2 shown]
	ds_read_u16 v9, v14 offset:8480
	ds_read_u16 v15, v14 offset:8512
	;; [unrolled: 1-line block ×3, first 2 shown]
	v_mfma_f32_16x16x16f16 v[4:7], v[10:11], v[50:51], v[4:7]
	v_perm_b32 v11, v57, v103, s0
	v_perm_b32 v10, v105, v109, s0
	ds_read_u16 v46, v13 offset:8832
	ds_read_u16 v57, v13 offset:8864
	;; [unrolled: 1-line block ×3, first 2 shown]
	v_pk_mul_f16 v19, v12, v19 op_sel_hi:[0,1]
	s_mov_b32 s1, 0
	v_cmp_gt_u32_e32 vcc, 16, v61
	s_nop 2
	v_cvt_f16_f32_e32 v4, v4
	v_cvt_f16_f32_e32 v5, v5
	;; [unrolled: 1-line block ×4, first 2 shown]
	v_cvt_f32_f16_e32 v4, v4
	v_cvt_f32_f16_e32 v5, v5
	;; [unrolled: 1-line block ×4, first 2 shown]
	s_nop 1
	v_mfma_f32_16x16x16f16 v[4:7], v[10:11], v[52:53], v[4:7]
	s_waitcnt lgkmcnt(2)
	v_perm_b32 v11, v115, v46, s0
	v_perm_b32 v10, v41, v9, s0
	v_pk_mul_f16 v9, v12, v73 op_sel_hi:[0,1]
	v_pk_mul_f16 v41, v12, v72 op_sel_hi:[0,1]
	v_cvt_f32_f16_e32 v46, v9
	v_cvt_f32_f16_sdwa v47, v9 dst_sel:DWORD dst_unused:UNUSED_PAD src0_sel:WORD_1
	v_cvt_f32_f16_e32 v48, v41
	s_nop 2
	v_cvt_f16_f32_e32 v4, v4
	v_cvt_f16_f32_e32 v5, v5
	;; [unrolled: 1-line block ×4, first 2 shown]
	v_cvt_f32_f16_e32 v4, v4
	v_cvt_f32_f16_e32 v5, v5
	;; [unrolled: 1-line block ×4, first 2 shown]
	v_cvt_f32_f16_sdwa v49, v41 dst_sel:DWORD dst_unused:UNUSED_PAD src0_sel:WORD_1
	ds_read_u16 v9, v13 offset:3056
	ds_read_u16 v41, v13 offset:3088
	v_mfma_f32_16x16x16f16 v[4:7], v[10:11], v[74:75], v[4:7]
	v_perm_b32 v11, v78, v76, s0
	v_perm_b32 v10, v89, v86, s0
	ds_read_u16 v72, v8 offset:5696
	ds_read_u16 v73, v8 offset:5728
	;; [unrolled: 1-line block ×4, first 2 shown]
	s_waitcnt lgkmcnt(0)
	s_barrier
	v_mfma_f32_16x16x16f16 v[46:49], v[10:11], v[42:43], v[46:49]
	v_perm_b32 v14, v41, v14, s0
	v_add_f32_e32 v41, v17, v16
	s_barrier
	s_nop 7
	v_cvt_f16_f32_e32 v10, v46
	v_cvt_f16_f32_e32 v11, v47
	;; [unrolled: 1-line block ×4, first 2 shown]
	v_cvt_f32_f16_e32 v46, v10
	v_cvt_f32_f16_e32 v47, v11
	v_perm_b32 v11, v94, v99, s0
	v_perm_b32 v10, v9, v84, s0
	v_cvt_f32_f16_e32 v48, v48
	v_cvt_f32_f16_e32 v49, v49
	s_nop 1
	v_mfma_f32_16x16x16f16 v[8:11], v[10:11], v[50:51], v[46:49]
	s_nop 6
	v_perm_b32 v47, v72, v104, s0
	s_nop 2
	v_cvt_f16_f32_e32 v8, v8
	v_cvt_f16_f32_e32 v9, v9
	;; [unrolled: 1-line block ×4, first 2 shown]
	v_perm_b32 v46, v106, v110, s0
	v_cvt_f32_f16_e32 v8, v8
	v_cvt_f32_f16_e32 v9, v9
	;; [unrolled: 1-line block ×4, first 2 shown]
	s_nop 1
	v_mfma_f32_16x16x16f16 v[8:11], v[46:47], v[52:53], v[8:11]
	v_perm_b32 v47, v116, v57, s0
	v_perm_b32 v46, v45, v15, s0
	v_pk_mul_f16 v15, v12, v71 op_sel_hi:[0,1]
	v_pk_mul_f16 v45, v12, v70 op_sel_hi:[0,1]
	v_perm_b32 v71, v79, v77, s0
	v_perm_b32 v70, v90, v87, s0
	v_cvt_f32_f16_e32 v48, v45
	s_nop 3
	v_cvt_f16_f32_e32 v8, v8
	v_cvt_f16_f32_e32 v9, v9
	;; [unrolled: 1-line block ×4, first 2 shown]
	v_cvt_f32_f16_e32 v8, v8
	v_cvt_f32_f16_e32 v9, v9
	;; [unrolled: 1-line block ×4, first 2 shown]
	v_cvt_f32_f16_sdwa v49, v45 dst_sel:DWORD dst_unused:UNUSED_PAD src0_sel:WORD_1
	s_nop 0
	v_mfma_f32_16x16x16f16 v[8:11], v[46:47], v[74:75], v[8:11]
	v_cvt_f32_f16_e32 v46, v15
	v_cvt_f32_f16_sdwa v47, v15 dst_sel:DWORD dst_unused:UNUSED_PAD src0_sel:WORD_1
	s_nop 1
	v_mfma_f32_16x16x16f16 v[46:49], v[70:71], v[42:43], v[46:49]
	s_nop 7
	s_nop 2
	v_cvt_f16_f32_e32 v15, v46
	v_cvt_f16_f32_e32 v45, v47
	;; [unrolled: 1-line block ×4, first 2 shown]
	v_cvt_f32_f16_e32 v46, v15
	v_perm_b32 v15, v95, v100, s0
	v_cvt_f32_f16_e32 v47, v45
	v_cvt_f32_f16_e32 v48, v48
	;; [unrolled: 1-line block ×3, first 2 shown]
	s_nop 1
	v_mfma_f32_16x16x16f16 v[14:17], v[14:15], v[50:51], v[46:49]
	s_nop 6
	v_perm_b32 v47, v73, v13, s0
	s_nop 2
	v_cvt_f16_f32_e32 v14, v14
	v_cvt_f16_f32_e32 v15, v15
	;; [unrolled: 1-line block ×4, first 2 shown]
	v_perm_b32 v46, v107, v111, s0
	v_cvt_f32_f16_e32 v14, v14
	v_cvt_f32_f16_e32 v15, v15
	;; [unrolled: 1-line block ×4, first 2 shown]
	v_add_f32_e32 v13, v22, v41
	v_add_f32_e32 v13, v24, v13
	v_mfma_f32_16x16x16f16 v[14:17], v[46:47], v[52:53], v[14:17]
	v_perm_b32 v47, v117, v83, s0
	v_perm_b32 v46, v114, v38, s0
	v_add_f32_e32 v13, v26, v13
	v_add_f32_e32 v22, v23, v13
	v_pk_mul_f16 v23, v12, v69 op_sel_hi:[0,1]
	v_cvt_f32_f16_e32 v48, v19
	v_cvt_f32_f16_sdwa v49, v19 dst_sel:DWORD dst_unused:UNUSED_PAD src0_sel:WORD_1
	s_nop 3
	v_cvt_f16_f32_e32 v14, v14
	v_cvt_f16_f32_e32 v15, v15
	;; [unrolled: 1-line block ×4, first 2 shown]
	v_cvt_f32_f16_e32 v14, v14
	v_cvt_f32_f16_e32 v15, v15
	;; [unrolled: 1-line block ×4, first 2 shown]
	v_add_f32_e32 v19, v27, v22
	v_add_f32_e32 v19, v25, v19
	v_mfma_f32_16x16x16f16 v[12:15], v[46:47], v[74:75], v[14:17]
	v_cvt_f32_f16_e32 v46, v23
	v_cvt_f32_f16_sdwa v47, v23 dst_sel:DWORD dst_unused:UNUSED_PAD src0_sel:WORD_1
	v_add_f32_e32 v19, v33, v19
	v_add_f32_e32 v19, v32, v19
	s_nop 2
	v_perm_b32 v17, v97, v80, s0
	v_perm_b32 v16, v81, v91, s0
	v_add_f32_e32 v19, v35, v19
	v_add_f32_e32 v19, v34, v19
	v_mfma_f32_16x16x16f16 v[22:25], v[16:17], v[42:43], v[46:49]
	v_add_f32_e32 v19, v37, v19
	v_add_f32_e32 v19, v36, v19
	;; [unrolled: 1-line block ×4, first 2 shown]
	v_fmac_f32_e32 v26, v44, v39
	ds_bpermute_b32 v21, v21, v26
	s_nop 4
	v_cvt_f16_f32_e32 v16, v22
	v_cvt_f16_f32_e32 v17, v23
	v_cvt_f16_f32_e32 v24, v24
	v_cvt_f16_f32_e32 v25, v25
	v_cvt_f32_f16_e32 v22, v16
	v_cvt_f32_f16_e32 v23, v17
	v_perm_b32 v17, v96, v101, s0
	v_perm_b32 v16, v102, v113, s0
	v_cvt_f32_f16_e32 v24, v24
	v_cvt_f32_f16_e32 v25, v25
	s_waitcnt lgkmcnt(0)
	v_add_f32_e32 v21, v26, v21
	v_mfma_f32_16x16x16f16 v[22:25], v[16:17], v[50:51], v[22:25]
	s_nop 7
	s_nop 2
	v_cvt_f16_f32_e32 v16, v22
	v_cvt_f16_f32_e32 v17, v23
	;; [unrolled: 1-line block ×4, first 2 shown]
	v_cvt_f32_f16_e32 v22, v16
	v_cvt_f32_f16_e32 v23, v17
	v_perm_b32 v17, v119, v121, s0
	v_perm_b32 v16, v108, v112, s0
	v_cvt_f32_f16_e32 v24, v24
	v_cvt_f32_f16_e32 v25, v25
	s_nop 1
	v_mfma_f32_16x16x16f16 v[22:25], v[16:17], v[52:53], v[22:25]
	s_nop 7
	s_nop 2
	v_cvt_f16_f32_e32 v16, v22
	v_cvt_f16_f32_e32 v17, v23
	;; [unrolled: 1-line block ×4, first 2 shown]
	v_cvt_f32_f16_e32 v22, v16
	v_cvt_f32_f16_e32 v23, v17
	v_perm_b32 v17, v118, v82, s0
	v_perm_b32 v16, v120, v92, s0
	v_cvt_f32_f16_e32 v24, v24
	v_cvt_f32_f16_e32 v25, v25
	s_nop 1
	v_mfma_f32_16x16x16f16 v[16:19], v[16:17], v[74:75], v[22:25]
	s_nop 6
	ds_bpermute_b32 v22, v31, v21
	s_and_saveexec_b64 s[2:3], vcc
	s_cbranch_execz .LBB9_297
; %bb.296:
	v_readlane_b32 s0, v192, 9
	s_add_i32 s0, s0, s24
	s_lshl_b32 s0, s0, 6
	s_lshl_b64 s[4:5], s[0:1], 3
	s_add_u32 s4, s26, s4
	v_or_b32_e32 v23, v55, v61
	s_addc_u32 s5, s27, s5
	v_lshlrev_b32_e32 v23, 3, v23
	s_waitcnt lgkmcnt(0)
	v_add_f32_e32 v21, v21, v22
	global_store_dwordx2 v23, v[20:21], s[4:5]
.LBB9_297:
	s_or_b64 exec, exec, s[2:3]
	v_readlane_b32 s4, v192, 4
	v_cvt_f16_f32_e32 v0, v0
	v_cvt_f16_f32_e32 v2, v2
	;; [unrolled: 1-line block ×4, first 2 shown]
	v_readlane_b32 s5, v192, 5
	s_load_dword s0, s[4:5], 0x0
	s_load_dword s2, s[4:5], 0x10
	v_pack_b32_f16 v2, v2, v3
	v_pack_b32_f16 v0, v0, v1
	v_cvt_f16_f32_e32 v1, v4
	v_cvt_f16_f32_e32 v3, v5
	;; [unrolled: 1-line block ×8, first 2 shown]
	s_waitcnt lgkmcnt(0)
	s_lshr_b32 s2, s2, 16
	s_cmp_lg_u32 s2, 0
	v_pack_b32_f16 v4, v4, v5
	v_pack_b32_f16 v1, v1, v3
	;; [unrolled: 1-line block ×4, first 2 shown]
	v_cvt_f16_f32_e32 v6, v12
	v_cvt_f16_f32_e32 v7, v13
	;; [unrolled: 1-line block ×8, first 2 shown]
	s_cselect_b64 s[2:3], -1, 0
	s_cmp_lg_u64 s[2:3], 0
	s_addc_u32 s0, s0, 0
	s_lshl_b32 s0, s0, 7
	v_pack_b32_f16 v8, v8, v9
	v_pack_b32_f16 v6, v6, v7
	;; [unrolled: 1-line block ×4, first 2 shown]
	s_lshl_b64 s[2:3], s[0:1], 3
	ds_write2_b32 v68, v0, v2 offset1:1
	ds_write2_b32 v68, v1, v4 offset0:8 offset1:9
	ds_write2_b32 v68, v5, v3 offset0:16 offset1:17
	;; [unrolled: 1-line block ×4, first 2 shown]
	v_mul_u32_u24_e32 v0, 44, v58
	s_add_u32 s2, s26, s2
	s_mul_i32 s0, s24, 0xa00
	v_lshl_add_u32 v6, v0, 2, v28
	s_addc_u32 s3, s27, s3
	s_lshl_b64 s[0:1], s[0:1], 3
	s_waitcnt lgkmcnt(0)
	s_barrier
	ds_read_b32 v8, v6
	s_add_u32 s0, s2, s0
	v_and_b32_e32 v4, 15, v58
	s_movk_i32 s2, 0x1ff0
	v_and_or_b32 v5, v60, s2, v4
	v_and_or_b32 v7, v63, s2, v4
	;; [unrolled: 1-line block ×3, first 2 shown]
	v_mul_u32_u24_e32 v5, 44, v5
	v_mul_u32_u24_e32 v4, 44, v4
	v_lshl_add_u32 v5, v5, 2, v28
	v_mul_u32_u24_e32 v7, 44, v7
	v_lshl_add_u32 v4, v4, 2, v28
	v_lshlrev_b32_e32 v0, 2, v58
	v_lshl_add_u32 v7, v7, 2, v28
	ds_read_b32 v9, v5
	ds_read_b32 v11, v7
	;; [unrolled: 1-line block ×3, first 2 shown]
	s_waitcnt lgkmcnt(3)
	v_cvt_f32_f16_e32 v4, v8
	v_cvt_f32_f16_sdwa v5, v8 dst_sel:DWORD dst_unused:UNUSED_PAD src0_sel:WORD_1
	v_sub_u32_e32 v0, v29, v0
	v_mov_b32_e32 v1, 0
	s_addc_u32 s1, s3, s1
	v_lshlrev_b64 v[2:3], 3, v[0:1]
	v_mov_b32_e32 v0, s1
	v_add_co_u32_e32 v2, vcc, s0, v2
	v_addc_co_u32_e32 v3, vcc, v0, v3, vcc
	v_pk_add_f32 v[4:5], v[4:5], 0 op_sel_hi:[1,0]
	v_add_u32_e32 v14, 0x80, v6
	global_store_dwordx2 v[2:3], v[4:5], off
	ds_read2st64_b32 v[2:3], v14 offset0:5 offset1:16
	v_add_u32_e32 v13, 0x160, v29
	v_lshlrev_b32_e32 v0, 2, v56
	v_sub_u32_e32 v0, v13, v0
	s_waitcnt lgkmcnt(3)
	v_cvt_f32_f16_e32 v8, v9
	s_waitcnt lgkmcnt(0)
	v_cvt_f32_f16_e32 v6, v2
	v_cvt_f32_f16_sdwa v7, v2 dst_sel:DWORD dst_unused:UNUSED_PAD src0_sel:WORD_1
	v_cvt_f32_f16_sdwa v9, v9 dst_sel:DWORD dst_unused:UNUSED_PAD src0_sel:WORD_1
	v_lshlrev_b64 v[4:5], 3, v[0:1]
	v_mul_u32_u24_e32 v10, 40, v58
	v_mov_b32_e32 v0, s1
	v_add_co_u32_e32 v4, vcc, s0, v4
	v_addc_co_u32_e32 v5, vcc, v0, v5, vcc
	v_pk_add_f32 v[6:7], v[6:7], 0 op_sel_hi:[1,0]
	v_add_lshl_u32 v10, v10, v54, 3
	global_store_dwordx2 v[4:5], v[6:7], off
	v_add_u32_e32 v0, 0x1400, v10
	v_pk_add_f32 v[4:5], v[8:9], 0 op_sel_hi:[1,0]
	global_store_dwordx2 v0, v[4:5], s[0:1]
	v_lshlrev_b32_e32 v0, 2, v59
	v_sub_u32_e32 v0, v13, v0
	v_cvt_f32_f16_e32 v2, v3
	v_cvt_f32_f16_sdwa v3, v3 dst_sel:DWORD dst_unused:UNUSED_PAD src0_sel:WORD_1
	v_add_u32_e32 v0, 0x2c0, v0
	v_cvt_f32_f16_e32 v6, v11
	v_cvt_f32_f16_sdwa v7, v11 dst_sel:DWORD dst_unused:UNUSED_PAD src0_sel:WORD_1
	v_lshlrev_b64 v[4:5], 3, v[0:1]
	v_mov_b32_e32 v0, s1
	v_add_co_u32_e32 v4, vcc, s0, v4
	v_addc_co_u32_e32 v5, vcc, v0, v5, vcc
	v_pk_add_f32 v[2:3], v[2:3], 0 op_sel_hi:[1,0]
	global_store_dwordx2 v[4:5], v[2:3], off
	v_add_u32_e32 v0, 0x2800, v10
	v_pk_add_f32 v[2:3], v[6:7], 0 op_sel_hi:[1,0]
	global_store_dwordx2 v0, v[2:3], s[0:1]
	ds_read2st64_b32 v[2:3], v14 offset0:27 offset1:38
	v_add_u32_e32 v11, 0x6e0, v29
	v_lshlrev_b32_e32 v0, 2, v62
	v_sub_u32_e32 v0, v11, v0
	v_cvt_f32_f16_e32 v8, v12
	s_waitcnt lgkmcnt(0)
	v_cvt_f32_f16_e32 v6, v2
	v_cvt_f32_f16_sdwa v7, v2 dst_sel:DWORD dst_unused:UNUSED_PAD src0_sel:WORD_1
	v_cvt_f32_f16_sdwa v9, v12 dst_sel:DWORD dst_unused:UNUSED_PAD src0_sel:WORD_1
	v_lshlrev_b64 v[4:5], 3, v[0:1]
	v_mov_b32_e32 v0, s1
	v_add_co_u32_e32 v4, vcc, s0, v4
	v_addc_co_u32_e32 v5, vcc, v0, v5, vcc
	v_pk_add_f32 v[6:7], v[6:7], 0 op_sel_hi:[1,0]
	global_store_dwordx2 v[4:5], v[6:7], off
	v_add_u32_e32 v0, 0x3c00, v10
	v_pk_add_f32 v[4:5], v[8:9], 0 op_sel_hi:[1,0]
	global_store_dwordx2 v0, v[4:5], s[0:1]
	v_lshlrev_b32_e32 v0, 2, v64
	v_sub_u32_e32 v0, v11, v0
	v_add_u32_e32 v0, 0x2c0, v0
	v_lshlrev_b64 v[0:1], 3, v[0:1]
	v_mov_b32_e32 v2, s1
	v_add_co_u32_e32 v0, vcc, s0, v0
	v_lshl_add_u32 v4, v66, 2, v30
	v_addc_co_u32_e32 v1, vcc, v2, v1, vcc
	v_cvt_f32_f16_e32 v2, v3
	v_cvt_f32_f16_sdwa v3, v3 dst_sel:DWORD dst_unused:UNUSED_PAD src0_sel:WORD_1
	v_add_u32_e32 v4, 0x80, v4
	ds_read2st64_b32 v[4:5], v4 offset1:22
	v_pk_add_f32 v[2:3], v[2:3], 0 op_sel_hi:[1,0]
	global_store_dwordx2 v[0:1], v[2:3], off
	v_mul_u32_u24_e32 v0, 40, v67
	v_or_b32_e32 v2, v0, v66
	s_waitcnt lgkmcnt(0)
	v_cvt_f32_f16_e32 v0, v4
	v_cvt_f32_f16_sdwa v1, v4 dst_sel:DWORD dst_unused:UNUSED_PAD src0_sel:WORD_1
	v_lshlrev_b32_e32 v4, 3, v2
	v_cvt_f32_f16_e32 v2, v5
	v_cvt_f32_f16_sdwa v3, v5 dst_sel:DWORD dst_unused:UNUSED_PAD src0_sel:WORD_1
	v_pk_add_f32 v[0:1], v[0:1], 0 op_sel_hi:[1,0]
	global_store_dwordx2 v4, v[0:1], s[0:1] offset:256
	v_add_u32_e32 v4, 0x2800, v4
	v_pk_add_f32 v[0:1], v[2:3], 0 op_sel_hi:[1,0]
	global_store_dwordx2 v4, v[0:1], s[0:1] offset:256
	s_endpgm
	.section	.rodata,"a",@progbits
	.p2align	6, 0x0
	.amdhsa_kernel _ZL18flash_attn_ext_f16ILi80ELi80ELi16ELi4ELb0ELb0EEvPKcS1_S1_S1_S1_PKiPfP15HIP_vector_typeIfLj2EEffffjfiS5_IjLj3EEiiiiiiiiiiiliiliiiiil
		.amdhsa_group_segment_fixed_size 0
		.amdhsa_private_segment_fixed_size 0
		.amdhsa_kernarg_size 464
		.amdhsa_user_sgpr_count 6
		.amdhsa_user_sgpr_private_segment_buffer 1
		.amdhsa_user_sgpr_dispatch_ptr 0
		.amdhsa_user_sgpr_queue_ptr 0
		.amdhsa_user_sgpr_kernarg_segment_ptr 1
		.amdhsa_user_sgpr_dispatch_id 0
		.amdhsa_user_sgpr_flat_scratch_init 0
		.amdhsa_user_sgpr_kernarg_preload_length 0
		.amdhsa_user_sgpr_kernarg_preload_offset 0
		.amdhsa_user_sgpr_private_segment_size 0
		.amdhsa_uses_dynamic_stack 0
		.amdhsa_system_sgpr_private_segment_wavefront_offset 0
		.amdhsa_system_sgpr_workgroup_id_x 1
		.amdhsa_system_sgpr_workgroup_id_y 0
		.amdhsa_system_sgpr_workgroup_id_z 0
		.amdhsa_system_sgpr_workgroup_info 0
		.amdhsa_system_vgpr_workitem_id 1
		.amdhsa_next_free_vgpr 193
		.amdhsa_next_free_sgpr 96
		.amdhsa_accum_offset 196
		.amdhsa_reserve_vcc 1
		.amdhsa_reserve_flat_scratch 0
		.amdhsa_float_round_mode_32 0
		.amdhsa_float_round_mode_16_64 0
		.amdhsa_float_denorm_mode_32 3
		.amdhsa_float_denorm_mode_16_64 3
		.amdhsa_dx10_clamp 1
		.amdhsa_ieee_mode 1
		.amdhsa_fp16_overflow 0
		.amdhsa_tg_split 0
		.amdhsa_exception_fp_ieee_invalid_op 0
		.amdhsa_exception_fp_denorm_src 0
		.amdhsa_exception_fp_ieee_div_zero 0
		.amdhsa_exception_fp_ieee_overflow 0
		.amdhsa_exception_fp_ieee_underflow 0
		.amdhsa_exception_fp_ieee_inexact 0
		.amdhsa_exception_int_div_zero 0
	.end_amdhsa_kernel
	.section	.text._ZL18flash_attn_ext_f16ILi80ELi80ELi16ELi4ELb0ELb0EEvPKcS1_S1_S1_S1_PKiPfP15HIP_vector_typeIfLj2EEffffjfiS5_IjLj3EEiiiiiiiiiiiliiliiiiil,"axG",@progbits,_ZL18flash_attn_ext_f16ILi80ELi80ELi16ELi4ELb0ELb0EEvPKcS1_S1_S1_S1_PKiPfP15HIP_vector_typeIfLj2EEffffjfiS5_IjLj3EEiiiiiiiiiiiliiliiiiil,comdat
.Lfunc_end9:
	.size	_ZL18flash_attn_ext_f16ILi80ELi80ELi16ELi4ELb0ELb0EEvPKcS1_S1_S1_S1_PKiPfP15HIP_vector_typeIfLj2EEffffjfiS5_IjLj3EEiiiiiiiiiiiliiliiiiil, .Lfunc_end9-_ZL18flash_attn_ext_f16ILi80ELi80ELi16ELi4ELb0ELb0EEvPKcS1_S1_S1_S1_PKiPfP15HIP_vector_typeIfLj2EEffffjfiS5_IjLj3EEiiiiiiiiiiiliiliiiiil
                                        ; -- End function
	.section	.AMDGPU.csdata,"",@progbits
; Kernel info:
; codeLenInByte = 48056
; NumSgprs: 100
; NumVgprs: 193
; NumAgprs: 0
; TotalNumVgprs: 193
; ScratchSize: 0
; MemoryBound: 0
; FloatMode: 240
; IeeeMode: 1
; LDSByteSize: 0 bytes/workgroup (compile time only)
; SGPRBlocks: 12
; VGPRBlocks: 24
; NumSGPRsForWavesPerEU: 100
; NumVGPRsForWavesPerEU: 193
; AccumOffset: 196
; Occupancy: 2
; WaveLimiterHint : 0
; COMPUTE_PGM_RSRC2:SCRATCH_EN: 0
; COMPUTE_PGM_RSRC2:USER_SGPR: 6
; COMPUTE_PGM_RSRC2:TRAP_HANDLER: 0
; COMPUTE_PGM_RSRC2:TGID_X_EN: 1
; COMPUTE_PGM_RSRC2:TGID_Y_EN: 0
; COMPUTE_PGM_RSRC2:TGID_Z_EN: 0
; COMPUTE_PGM_RSRC2:TIDIG_COMP_CNT: 1
; COMPUTE_PGM_RSRC3_GFX90A:ACCUM_OFFSET: 48
; COMPUTE_PGM_RSRC3_GFX90A:TG_SPLIT: 0
	.section	.text._ZL18flash_attn_ext_f16ILi80ELi80ELi16ELi4ELb1ELb0EEvPKcS1_S1_S1_S1_PKiPfP15HIP_vector_typeIfLj2EEffffjfiS5_IjLj3EEiiiiiiiiiiiliiliiiiil,"axG",@progbits,_ZL18flash_attn_ext_f16ILi80ELi80ELi16ELi4ELb1ELb0EEvPKcS1_S1_S1_S1_PKiPfP15HIP_vector_typeIfLj2EEffffjfiS5_IjLj3EEiiiiiiiiiiiliiliiiiil,comdat
	.globl	_ZL18flash_attn_ext_f16ILi80ELi80ELi16ELi4ELb1ELb0EEvPKcS1_S1_S1_S1_PKiPfP15HIP_vector_typeIfLj2EEffffjfiS5_IjLj3EEiiiiiiiiiiiliiliiiiil ; -- Begin function _ZL18flash_attn_ext_f16ILi80ELi80ELi16ELi4ELb1ELb0EEvPKcS1_S1_S1_S1_PKiPfP15HIP_vector_typeIfLj2EEffffjfiS5_IjLj3EEiiiiiiiiiiiliiliiiiil
	.p2align	8
	.type	_ZL18flash_attn_ext_f16ILi80ELi80ELi16ELi4ELb1ELb0EEvPKcS1_S1_S1_S1_PKiPfP15HIP_vector_typeIfLj2EEffffjfiS5_IjLj3EEiiiiiiiiiiiliiliiiiil,@function
_ZL18flash_attn_ext_f16ILi80ELi80ELi16ELi4ELb1ELb0EEvPKcS1_S1_S1_S1_PKiPfP15HIP_vector_typeIfLj2EEffffjfiS5_IjLj3EEiiiiiiiiiiiliiliiiiil: ; @_ZL18flash_attn_ext_f16ILi80ELi80ELi16ELi4ELb1ELb0EEvPKcS1_S1_S1_S1_PKiPfP15HIP_vector_typeIfLj2EEffffjfiS5_IjLj3EEiiiiiiiiiiiliiliiiiil
; %bb.0:
	s_add_u32 flat_scratch_lo, s6, s9
	s_addc_u32 flat_scratch_hi, s7, 0
	s_add_u32 s0, s0, s9
	s_addc_u32 s1, s1, 0
	s_add_u32 s8, s4, 0xd0
	s_addc_u32 s9, s5, 0
	v_mov_b32_e32 v0, 0x6cc
	s_mov_b32 s32, 0
	s_getpc_b64 s[4:5]
	s_add_u32 s4, s4, _ZL14no_device_codePKciS0_iS0_@rel32@lo+4
	s_addc_u32 s5, s5, _ZL14no_device_codePKciS0_iS0_@rel32@hi+12
	s_swappc_b64 s[30:31], s[4:5]
	.section	.rodata,"a",@progbits
	.p2align	6, 0x0
	.amdhsa_kernel _ZL18flash_attn_ext_f16ILi80ELi80ELi16ELi4ELb1ELb0EEvPKcS1_S1_S1_S1_PKiPfP15HIP_vector_typeIfLj2EEffffjfiS5_IjLj3EEiiiiiiiiiiiliiliiiiil
		.amdhsa_group_segment_fixed_size 0
		.amdhsa_private_segment_fixed_size 16
		.amdhsa_kernarg_size 464
		.amdhsa_user_sgpr_count 8
		.amdhsa_user_sgpr_private_segment_buffer 1
		.amdhsa_user_sgpr_dispatch_ptr 0
		.amdhsa_user_sgpr_queue_ptr 0
		.amdhsa_user_sgpr_kernarg_segment_ptr 1
		.amdhsa_user_sgpr_dispatch_id 0
		.amdhsa_user_sgpr_flat_scratch_init 1
		.amdhsa_user_sgpr_kernarg_preload_length 0
		.amdhsa_user_sgpr_kernarg_preload_offset 0
		.amdhsa_user_sgpr_private_segment_size 0
		.amdhsa_uses_dynamic_stack 0
		.amdhsa_system_sgpr_private_segment_wavefront_offset 1
		.amdhsa_system_sgpr_workgroup_id_x 1
		.amdhsa_system_sgpr_workgroup_id_y 0
		.amdhsa_system_sgpr_workgroup_id_z 0
		.amdhsa_system_sgpr_workgroup_info 0
		.amdhsa_system_vgpr_workitem_id 0
		.amdhsa_next_free_vgpr 39
		.amdhsa_next_free_sgpr 34
		.amdhsa_accum_offset 40
		.amdhsa_reserve_vcc 1
		.amdhsa_reserve_flat_scratch 1
		.amdhsa_float_round_mode_32 0
		.amdhsa_float_round_mode_16_64 0
		.amdhsa_float_denorm_mode_32 3
		.amdhsa_float_denorm_mode_16_64 3
		.amdhsa_dx10_clamp 1
		.amdhsa_ieee_mode 1
		.amdhsa_fp16_overflow 0
		.amdhsa_tg_split 0
		.amdhsa_exception_fp_ieee_invalid_op 0
		.amdhsa_exception_fp_denorm_src 0
		.amdhsa_exception_fp_ieee_div_zero 0
		.amdhsa_exception_fp_ieee_overflow 0
		.amdhsa_exception_fp_ieee_underflow 0
		.amdhsa_exception_fp_ieee_inexact 0
		.amdhsa_exception_int_div_zero 0
	.end_amdhsa_kernel
	.section	.text._ZL18flash_attn_ext_f16ILi80ELi80ELi16ELi4ELb1ELb0EEvPKcS1_S1_S1_S1_PKiPfP15HIP_vector_typeIfLj2EEffffjfiS5_IjLj3EEiiiiiiiiiiiliiliiiiil,"axG",@progbits,_ZL18flash_attn_ext_f16ILi80ELi80ELi16ELi4ELb1ELb0EEvPKcS1_S1_S1_S1_PKiPfP15HIP_vector_typeIfLj2EEffffjfiS5_IjLj3EEiiiiiiiiiiiliiliiiiil,comdat
.Lfunc_end10:
	.size	_ZL18flash_attn_ext_f16ILi80ELi80ELi16ELi4ELb1ELb0EEvPKcS1_S1_S1_S1_PKiPfP15HIP_vector_typeIfLj2EEffffjfiS5_IjLj3EEiiiiiiiiiiiliiliiiiil, .Lfunc_end10-_ZL18flash_attn_ext_f16ILi80ELi80ELi16ELi4ELb1ELb0EEvPKcS1_S1_S1_S1_PKiPfP15HIP_vector_typeIfLj2EEffffjfiS5_IjLj3EEiiiiiiiiiiiliiliiiiil
                                        ; -- End function
	.section	.AMDGPU.csdata,"",@progbits
; Kernel info:
; codeLenInByte = 64
; NumSgprs: 40
; NumVgprs: 39
; NumAgprs: 0
; TotalNumVgprs: 39
; ScratchSize: 16
; MemoryBound: 0
; FloatMode: 240
; IeeeMode: 1
; LDSByteSize: 0 bytes/workgroup (compile time only)
; SGPRBlocks: 4
; VGPRBlocks: 4
; NumSGPRsForWavesPerEU: 40
; NumVGPRsForWavesPerEU: 39
; AccumOffset: 40
; Occupancy: 8
; WaveLimiterHint : 1
; COMPUTE_PGM_RSRC2:SCRATCH_EN: 1
; COMPUTE_PGM_RSRC2:USER_SGPR: 8
; COMPUTE_PGM_RSRC2:TRAP_HANDLER: 0
; COMPUTE_PGM_RSRC2:TGID_X_EN: 1
; COMPUTE_PGM_RSRC2:TGID_Y_EN: 0
; COMPUTE_PGM_RSRC2:TGID_Z_EN: 0
; COMPUTE_PGM_RSRC2:TIDIG_COMP_CNT: 0
; COMPUTE_PGM_RSRC3_GFX90A:ACCUM_OFFSET: 9
; COMPUTE_PGM_RSRC3_GFX90A:TG_SPLIT: 0
	.section	.text._ZL33flash_attn_stream_k_fixup_uniformILi80ELi16ELi4EEvPfPK15HIP_vector_typeIfLj2EEiiiiiiS1_IjLj3EES5_S5_,"axG",@progbits,_ZL33flash_attn_stream_k_fixup_uniformILi80ELi16ELi4EEvPfPK15HIP_vector_typeIfLj2EEiiiiiiS1_IjLj3EES5_S5_,comdat
	.globl	_ZL33flash_attn_stream_k_fixup_uniformILi80ELi16ELi4EEvPfPK15HIP_vector_typeIfLj2EEiiiiiiS1_IjLj3EES5_S5_ ; -- Begin function _ZL33flash_attn_stream_k_fixup_uniformILi80ELi16ELi4EEvPfPK15HIP_vector_typeIfLj2EEiiiiiiS1_IjLj3EES5_S5_
	.p2align	8
	.type	_ZL33flash_attn_stream_k_fixup_uniformILi80ELi16ELi4EEvPfPK15HIP_vector_typeIfLj2EEiiiiiiS1_IjLj3EES5_S5_,@function
_ZL33flash_attn_stream_k_fixup_uniformILi80ELi16ELi4EEvPfPK15HIP_vector_typeIfLj2EEiiiiiiS1_IjLj3EES5_S5_: ; @_ZL33flash_attn_stream_k_fixup_uniformILi80ELi16ELi4EEvPfPK15HIP_vector_typeIfLj2EEiiiiiiS1_IjLj3EES5_S5_
; %bb.0:
	s_load_dwordx8 s[12:19], s[4:5], 0x1c
	s_load_dwordx2 s[10:11], s[4:5], 0x10
	s_load_dwordx4 s[0:3], s[4:5], 0x3c
	s_waitcnt lgkmcnt(0)
	s_mul_hi_u32 s9, s15, s6
	s_add_i32 s9, s6, s9
	s_lshr_b32 s9, s9, s16
	s_mul_i32 s15, s9, s17
	s_sub_i32 s16, s6, s15
	s_mul_hi_u32 s15, s16, s18
	s_add_i32 s15, s16, s15
	s_lshr_b32 s15, s15, s19
	s_mul_i32 s0, s15, s0
	s_sub_i32 s0, s16, s0
	;; [unrolled: 5-line block ×3, first 2 shown]
	s_lshl_b32 s0, s16, 4
	s_lshl_b32 s17, s1, 2
	s_add_i32 s0, s0, s7
	s_cmp_lt_i32 s0, s10
	s_cselect_b64 s[0:1], -1, 0
	s_add_i32 s17, s17, s8
	s_cmp_lt_i32 s17, s13
	s_cselect_b64 s[2:3], -1, 0
	s_and_b64 s[0:1], s[0:1], s[2:3]
	s_andn2_b64 vcc, exec, s[0:1]
	s_cbranch_vccnz .LBB11_6
; %bb.1:
	s_load_dwordx4 s[0:3], s[4:5], 0x0
	s_mul_i32 s4, s9, s10
	s_mul_i32 s15, s15, s13
	s_add_i32 s4, s4, s7
	s_mul_i32 s4, s4, s11
	s_add_i32 s9, s17, s15
	;; [unrolled: 2-line block ×3, first 2 shown]
	s_mulk_i32 s5, 0x500
	s_mulk_i32 s4, 0x50
	s_add_i32 s4, s4, s5
	v_add_u32_e32 v2, s4, v0
	v_ashrrev_i32_e32 v3, 31, v2
	v_lshlrev_b64 v[2:3], 2, v[2:3]
	s_waitcnt lgkmcnt(0)
	v_mov_b32_e32 v1, s1
	v_add_co_u32_e32 v2, vcc, s0, v2
	v_addc_co_u32_e32 v3, vcc, v1, v3, vcc
	global_load_dword v8, v[2:3], off
	s_mul_i32 s9, s6, s14
	s_lshl_b32 s4, s7, 2
	s_add_i32 s11, s9, s14
	s_add_i32 s0, s4, s8
	s_lshl_b32 s1, s11, 6
	s_add_i32 s0, s0, s1
	s_sub_i32 s0, s0, 64
	s_ashr_i32 s1, s0, 31
	s_lshl_b64 s[0:1], s[0:1], 3
	s_add_u32 s0, s2, s0
	s_addc_u32 s1, s3, s1
	s_load_dword s5, s[0:1], 0x4
	s_add_i32 s10, s11, -2
	s_cmp_lt_i32 s10, s9
	s_cbranch_scc1 .LBB11_4
; %bb.2:
	s_lshl_b32 s16, s12, 8
	s_ashr_i32 s17, s16, 31
	s_lshl_b64 s[16:17], s[16:17], 2
	s_add_u32 s10, s2, s16
	s_addc_u32 s13, s3, s17
	s_add_i32 s6, s6, 1
	s_load_dword s0, s[0:1], 0x0
	s_mul_i32 s1, s14, s6
	s_lshl_b32 s6, s1, 6
	s_add_i32 s6, s8, s6
	s_lshl_b32 s12, s12, 6
	s_add_i32 s6, s6, s12
	s_add_i32 s4, s6, s4
	s_mulk_i32 s7, 0x140
	s_mul_i32 s6, s8, 0x50
	s_mulk_i32 s1, 0x1400
	s_add_i32 s6, s6, s7
	s_add_i32 s6, s6, s1
	v_add_u32_e32 v0, s6, v0
	s_add_i32 s11, s11, -1
	s_addk_i32 s4, 0xff80
	v_add_u32_e32 v0, 0xffffd800, v0
	s_waitcnt lgkmcnt(0)
	v_mov_b32_e32 v7, s5
	v_mov_b32_e32 v6, s0
	;; [unrolled: 1-line block ×3, first 2 shown]
	s_mov_b32 s6, 0x3fb8aa3b
	s_mov_b32 s7, 0xc2ce8ed0
	s_mov_b32 s8, 0x42b17218
	v_mov_b32_e32 v5, 0x7f800000
	s_mov_b32 s12, 0xc1a00000
.LBB11_3:                               ; =>This Inner Loop Header: Depth=1
	v_ashrrev_i32_e32 v1, 31, v0
	v_lshlrev_b64 v[10:11], 2, v[0:1]
	v_add_co_u32_e32 v10, vcc, s10, v10
	v_addc_co_u32_e32 v11, vcc, v4, v11, vcc
	global_load_dword v1, v[10:11], off
	s_ashr_i32 s5, s4, 31
	s_lshl_b64 s[0:1], s[4:5], 3
	s_add_u32 s0, s2, s0
	s_addc_u32 s1, s3, s1
	s_load_dwordx2 s[14:15], s[0:1], 0x0
	s_waitcnt vmcnt(1)
	v_mov_b32_e32 v9, v8
	v_max_f32_e32 v8, v6, v6
	v_mov_b32_e32 v10, v7
	s_add_i32 s11, s11, -1
	s_waitcnt lgkmcnt(0)
	v_max_f32_e64 v7, s14, s14
	v_max_f32_e32 v7, v8, v7
	v_sub_f32_e32 v11, s14, v7
	v_sub_f32_e32 v8, v6, v7
	v_mul_f32_e32 v12, 0x3fb8aa3b, v11
	v_mov_b32_e32 v6, v7
	v_mul_f32_e32 v7, 0x3fb8aa3b, v8
	v_fma_f32 v15, v11, s6, -v12
	v_rndne_f32_e32 v16, v12
	v_fma_f32 v13, v8, s6, -v7
	v_rndne_f32_e32 v14, v7
	v_fmac_f32_e32 v15, 0x32a5705f, v11
	v_sub_f32_e32 v12, v12, v16
	v_fmac_f32_e32 v13, 0x32a5705f, v8
	v_sub_f32_e32 v7, v7, v14
	v_add_f32_e32 v12, v12, v15
	v_cvt_i32_f32_e32 v16, v16
	v_add_f32_e32 v7, v7, v13
	v_exp_f32_e32 v12, v12
	v_cvt_i32_f32_e32 v14, v14
	v_exp_f32_e32 v7, v7
	v_cmp_ngt_f32_e32 vcc, s7, v11
	v_ldexp_f32 v12, v12, v16
	v_cmp_ngt_f32_e64 s[0:1], s7, v8
	v_ldexp_f32 v7, v7, v14
	v_cndmask_b32_e32 v12, 0, v12, vcc
	v_cmp_nlt_f32_e32 vcc, s8, v11
	v_cndmask_b32_e64 v7, 0, v7, s[0:1]
	v_cmp_nlt_f32_e64 s[0:1], s8, v8
	v_cndmask_b32_e32 v12, v5, v12, vcc
	v_cmp_le_f32_e32 vcc, s12, v11
	v_cndmask_b32_e64 v7, v5, v7, s[0:1]
	v_cmp_le_f32_e64 s[0:1], s12, v8
	v_cndmask_b32_e32 v8, 0, v12, vcc
	s_sub_i32 s4, s4, 64
	v_cndmask_b32_e64 v11, 0, v7, s[0:1]
	v_mul_f32_e32 v7, s15, v8
	v_add_u32_e32 v0, 0xffffec00, v0
	s_cmp_le_i32 s11, s9
	v_fmac_f32_e32 v7, v10, v11
	s_waitcnt vmcnt(0)
	v_mul_f32_e32 v8, v1, v8
	v_fmac_f32_e32 v8, v9, v11
	s_cbranch_scc0 .LBB11_3
	s_branch .LBB11_5
.LBB11_4:
	s_waitcnt lgkmcnt(0)
	v_mov_b32_e32 v7, s5
.LBB11_5:
	s_waitcnt vmcnt(0)
	v_div_scale_f32 v0, s[0:1], v7, v7, v8
	v_rcp_f32_e32 v1, v0
	v_div_scale_f32 v4, vcc, v8, v7, v8
	v_fma_f32 v5, -v0, v1, 1.0
	v_fmac_f32_e32 v1, v5, v1
	v_mul_f32_e32 v5, v4, v1
	v_fma_f32 v6, -v0, v5, v4
	v_fmac_f32_e32 v5, v6, v1
	v_fma_f32 v0, -v0, v5, v4
	v_div_fmas_f32 v0, v0, v1, v5
	v_div_fixup_f32 v0, v0, v7, v8
	global_store_dword v[2:3], v0, off
.LBB11_6:
	s_endpgm
	.section	.rodata,"a",@progbits
	.p2align	6, 0x0
	.amdhsa_kernel _ZL33flash_attn_stream_k_fixup_uniformILi80ELi16ELi4EEvPfPK15HIP_vector_typeIfLj2EEiiiiiiS1_IjLj3EES5_S5_
		.amdhsa_group_segment_fixed_size 0
		.amdhsa_private_segment_fixed_size 0
		.amdhsa_kernarg_size 76
		.amdhsa_user_sgpr_count 6
		.amdhsa_user_sgpr_private_segment_buffer 1
		.amdhsa_user_sgpr_dispatch_ptr 0
		.amdhsa_user_sgpr_queue_ptr 0
		.amdhsa_user_sgpr_kernarg_segment_ptr 1
		.amdhsa_user_sgpr_dispatch_id 0
		.amdhsa_user_sgpr_flat_scratch_init 0
		.amdhsa_user_sgpr_kernarg_preload_length 0
		.amdhsa_user_sgpr_kernarg_preload_offset 0
		.amdhsa_user_sgpr_private_segment_size 0
		.amdhsa_uses_dynamic_stack 0
		.amdhsa_system_sgpr_private_segment_wavefront_offset 0
		.amdhsa_system_sgpr_workgroup_id_x 1
		.amdhsa_system_sgpr_workgroup_id_y 1
		.amdhsa_system_sgpr_workgroup_id_z 1
		.amdhsa_system_sgpr_workgroup_info 0
		.amdhsa_system_vgpr_workitem_id 0
		.amdhsa_next_free_vgpr 17
		.amdhsa_next_free_sgpr 20
		.amdhsa_accum_offset 20
		.amdhsa_reserve_vcc 1
		.amdhsa_reserve_flat_scratch 0
		.amdhsa_float_round_mode_32 0
		.amdhsa_float_round_mode_16_64 0
		.amdhsa_float_denorm_mode_32 3
		.amdhsa_float_denorm_mode_16_64 3
		.amdhsa_dx10_clamp 1
		.amdhsa_ieee_mode 1
		.amdhsa_fp16_overflow 0
		.amdhsa_tg_split 0
		.amdhsa_exception_fp_ieee_invalid_op 0
		.amdhsa_exception_fp_denorm_src 0
		.amdhsa_exception_fp_ieee_div_zero 0
		.amdhsa_exception_fp_ieee_overflow 0
		.amdhsa_exception_fp_ieee_underflow 0
		.amdhsa_exception_fp_ieee_inexact 0
		.amdhsa_exception_int_div_zero 0
	.end_amdhsa_kernel
	.section	.text._ZL33flash_attn_stream_k_fixup_uniformILi80ELi16ELi4EEvPfPK15HIP_vector_typeIfLj2EEiiiiiiS1_IjLj3EES5_S5_,"axG",@progbits,_ZL33flash_attn_stream_k_fixup_uniformILi80ELi16ELi4EEvPfPK15HIP_vector_typeIfLj2EEiiiiiiS1_IjLj3EES5_S5_,comdat
.Lfunc_end11:
	.size	_ZL33flash_attn_stream_k_fixup_uniformILi80ELi16ELi4EEvPfPK15HIP_vector_typeIfLj2EEiiiiiiS1_IjLj3EES5_S5_, .Lfunc_end11-_ZL33flash_attn_stream_k_fixup_uniformILi80ELi16ELi4EEvPfPK15HIP_vector_typeIfLj2EEiiiiiiS1_IjLj3EES5_S5_
                                        ; -- End function
	.section	.AMDGPU.csdata,"",@progbits
; Kernel info:
; codeLenInByte = 856
; NumSgprs: 24
; NumVgprs: 17
; NumAgprs: 0
; TotalNumVgprs: 17
; ScratchSize: 0
; MemoryBound: 0
; FloatMode: 240
; IeeeMode: 1
; LDSByteSize: 0 bytes/workgroup (compile time only)
; SGPRBlocks: 2
; VGPRBlocks: 2
; NumSGPRsForWavesPerEU: 24
; NumVGPRsForWavesPerEU: 17
; AccumOffset: 20
; Occupancy: 8
; WaveLimiterHint : 0
; COMPUTE_PGM_RSRC2:SCRATCH_EN: 0
; COMPUTE_PGM_RSRC2:USER_SGPR: 6
; COMPUTE_PGM_RSRC2:TRAP_HANDLER: 0
; COMPUTE_PGM_RSRC2:TGID_X_EN: 1
; COMPUTE_PGM_RSRC2:TGID_Y_EN: 1
; COMPUTE_PGM_RSRC2:TGID_Z_EN: 1
; COMPUTE_PGM_RSRC2:TIDIG_COMP_CNT: 0
; COMPUTE_PGM_RSRC3_GFX90A:ACCUM_OFFSET: 4
; COMPUTE_PGM_RSRC3_GFX90A:TG_SPLIT: 0
	.section	.text._ZL33flash_attn_stream_k_fixup_generalILi80ELi16ELi4EEvPfPK15HIP_vector_typeIfLj2EEiiiiS1_IjLj3EES5_S5_S5_,"axG",@progbits,_ZL33flash_attn_stream_k_fixup_generalILi80ELi16ELi4EEvPfPK15HIP_vector_typeIfLj2EEiiiiS1_IjLj3EES5_S5_S5_,comdat
	.globl	_ZL33flash_attn_stream_k_fixup_generalILi80ELi16ELi4EEvPfPK15HIP_vector_typeIfLj2EEiiiiS1_IjLj3EES5_S5_S5_ ; -- Begin function _ZL33flash_attn_stream_k_fixup_generalILi80ELi16ELi4EEvPfPK15HIP_vector_typeIfLj2EEiiiiS1_IjLj3EES5_S5_S5_
	.p2align	8
	.type	_ZL33flash_attn_stream_k_fixup_generalILi80ELi16ELi4EEvPfPK15HIP_vector_typeIfLj2EEiiiiS1_IjLj3EES5_S5_S5_,@function
_ZL33flash_attn_stream_k_fixup_generalILi80ELi16ELi4EEvPfPK15HIP_vector_typeIfLj2EEiiiiS1_IjLj3EES5_S5_S5_: ; @_ZL33flash_attn_stream_k_fixup_generalILi80ELi16ELi4EEvPfPK15HIP_vector_typeIfLj2EEiiiiS1_IjLj3EES5_S5_S5_
; %bb.0:
	s_load_dwordx4 s[12:15], s[4:5], 0x10
	s_load_dword s9, s[4:5], 0x50
	s_mov_b32 s2, 0
	s_waitcnt lgkmcnt(0)
	s_mul_hi_i32 s3, s15, s6
	s_cmp_lg_u64 s[2:3], 0
	s_mul_i32 s2, s15, s6
	s_cbranch_scc0 .LBB12_21
; %bb.1:
	v_cvt_f32_u32_e32 v1, s9
	v_cvt_f32_ubyte0_e32 v2, 0
	s_sub_u32 s10, 0, s9
	s_subb_u32 s11, 0, 0
	v_madmk_f32 v1, v2, 0x4f800000, v1
	v_rcp_f32_e32 v1, v1
	v_mul_f32_e32 v1, 0x5f7ffffc, v1
	v_mul_f32_e32 v2, 0x2f800000, v1
	v_trunc_f32_e32 v2, v2
	v_madmk_f32 v1, v2, 0xcf800000, v1
	v_cvt_u32_f32_e32 v2, v2
	v_cvt_u32_f32_e32 v1, v1
	v_readfirstlane_b32 s16, v2
	v_readfirstlane_b32 s17, v1
	s_mul_i32 s18, s10, s16
	s_mul_hi_u32 s20, s10, s17
	s_mul_i32 s19, s11, s17
	s_add_i32 s18, s20, s18
	s_add_i32 s18, s18, s19
	s_mul_i32 s21, s10, s17
	s_mul_hi_u32 s19, s17, s18
	s_mul_i32 s20, s17, s18
	s_mul_hi_u32 s17, s17, s21
	s_add_u32 s17, s17, s20
	s_addc_u32 s19, 0, s19
	s_mul_hi_u32 s22, s16, s21
	s_mul_i32 s21, s16, s21
	s_add_u32 s17, s17, s21
	s_mul_hi_u32 s20, s16, s18
	s_addc_u32 s17, s19, s22
	s_addc_u32 s19, s20, 0
	s_mul_i32 s18, s16, s18
	s_add_u32 s17, s17, s18
	s_addc_u32 s18, 0, s19
	v_add_co_u32_e32 v1, vcc, s17, v1
	s_cmp_lg_u64 vcc, 0
	s_addc_u32 s16, s16, s18
	v_readfirstlane_b32 s18, v1
	s_mul_i32 s17, s10, s16
	s_mul_hi_u32 s19, s10, s18
	s_add_i32 s17, s19, s17
	s_mul_i32 s11, s11, s18
	s_add_i32 s17, s17, s11
	s_mul_i32 s10, s10, s18
	s_mul_hi_u32 s19, s16, s10
	s_mul_i32 s20, s16, s10
	s_mul_i32 s22, s18, s17
	s_mul_hi_u32 s10, s18, s10
	s_mul_hi_u32 s21, s18, s17
	s_add_u32 s10, s10, s22
	s_addc_u32 s18, 0, s21
	s_add_u32 s10, s10, s20
	s_mul_hi_u32 s11, s16, s17
	s_addc_u32 s10, s18, s19
	s_addc_u32 s11, s11, 0
	s_mul_i32 s17, s16, s17
	s_add_u32 s10, s10, s17
	s_addc_u32 s11, 0, s11
	v_add_co_u32_e32 v1, vcc, s10, v1
	s_cmp_lg_u64 vcc, 0
	s_addc_u32 s18, s16, s11
	s_ashr_i32 s10, s3, 31
	s_add_u32 s16, s2, s10
	s_mov_b32 s11, s10
	s_addc_u32 s17, s3, s10
	s_xor_b64 s[16:17], s[16:17], s[10:11]
	v_readfirstlane_b32 s20, v1
	s_mul_i32 s19, s16, s18
	s_mul_hi_u32 s21, s16, s20
	s_mul_hi_u32 s3, s16, s18
	s_add_u32 s19, s21, s19
	s_addc_u32 s3, 0, s3
	s_mul_hi_u32 s22, s17, s20
	s_mul_i32 s20, s17, s20
	s_add_u32 s19, s19, s20
	s_mul_hi_u32 s21, s17, s18
	s_addc_u32 s3, s3, s22
	s_addc_u32 s19, s21, 0
	s_mul_i32 s18, s17, s18
	s_add_u32 s3, s3, s18
	s_addc_u32 s18, 0, s19
	s_add_u32 s19, s3, 1
	s_addc_u32 s20, s18, 0
	s_add_u32 s21, s3, 2
	s_mul_i32 s23, s9, s18
	s_mul_hi_u32 s24, s9, s3
	s_addc_u32 s22, s18, 0
	s_add_i32 s24, s24, s23
	s_mul_i32 s23, s9, s3
	v_mov_b32_e32 v1, s23
	v_sub_co_u32_e32 v1, vcc, s16, v1
	s_cmp_lg_u64 vcc, 0
	s_subb_u32 s16, s17, s24
	v_subrev_co_u32_e32 v2, vcc, s9, v1
	s_cmp_lg_u64 vcc, 0
	s_subb_u32 s17, s16, 0
	v_readfirstlane_b32 s23, v2
	s_cmp_ge_u32 s23, s9
	s_cselect_b32 s23, -1, 0
	s_cmp_eq_u32 s17, 0
	s_cselect_b32 s17, s23, -1
	s_cmp_lg_u32 s17, 0
	s_cselect_b32 s17, s22, s20
	v_readfirstlane_b32 s20, v1
	s_cselect_b32 s19, s21, s19
	s_cmp_ge_u32 s20, s9
	s_cselect_b32 s20, -1, 0
	s_cmp_eq_u32 s16, 0
	s_cselect_b32 s16, s20, -1
	s_cmp_lg_u32 s16, 0
	s_cselect_b32 s17, s17, s18
	s_cselect_b32 s16, s19, s3
	s_xor_b64 s[16:17], s[16:17], s[10:11]
	s_sub_u32 s20, s16, s10
	s_load_dwordx4 s[16:19], s[4:5], 0x44
	s_cbranch_execnz .LBB12_3
.LBB12_2:
	v_cvt_f32_u32_e32 v1, s9
	s_sub_i32 s0, 0, s9
	v_rcp_iflag_f32_e32 v1, v1
	v_mul_f32_e32 v1, 0x4f7ffffe, v1
	v_cvt_u32_f32_e32 v1, v1
	v_readfirstlane_b32 s1, v1
	s_mul_i32 s0, s0, s1
	s_mul_hi_u32 s0, s1, s0
	s_add_i32 s1, s1, s0
	s_mul_hi_u32 s0, s2, s1
	s_mul_i32 s3, s0, s9
	s_sub_i32 s2, s2, s3
	s_add_i32 s1, s0, 1
	s_sub_i32 s3, s2, s9
	s_cmp_ge_u32 s2, s9
	s_cselect_b32 s0, s1, s0
	s_cselect_b32 s2, s3, s2
	s_add_i32 s1, s0, 1
	s_cmp_ge_u32 s2, s9
	s_cselect_b32 s20, s1, s0
.LBB12_3:
	s_add_i32 s0, s6, 1
	s_mul_hi_i32 s3, s15, s0
	s_mov_b32 s2, 0
	s_cmp_lg_u64 s[2:3], 0
	s_mul_i32 s2, s15, s0
	s_cbranch_scc0 .LBB12_22
; %bb.4:
	v_cvt_f32_u32_e32 v1, s9
	v_cvt_f32_ubyte0_e32 v2, 0
	s_sub_u32 s10, 0, s9
	s_subb_u32 s11, 0, 0
	v_madmk_f32 v1, v2, 0x4f800000, v1
	v_rcp_f32_e32 v1, v1
	v_mul_f32_e32 v1, 0x5f7ffffc, v1
	v_mul_f32_e32 v2, 0x2f800000, v1
	v_trunc_f32_e32 v2, v2
	v_madmk_f32 v1, v2, 0xcf800000, v1
	v_cvt_u32_f32_e32 v2, v2
	v_cvt_u32_f32_e32 v1, v1
	s_waitcnt lgkmcnt(0)
	v_readfirstlane_b32 s19, v2
	v_readfirstlane_b32 s21, v1
	s_mul_i32 s22, s10, s19
	s_mul_hi_u32 s24, s10, s21
	s_mul_i32 s23, s11, s21
	s_add_i32 s22, s24, s22
	s_add_i32 s22, s22, s23
	s_mul_i32 s25, s10, s21
	s_mul_hi_u32 s23, s21, s22
	s_mul_i32 s24, s21, s22
	s_mul_hi_u32 s21, s21, s25
	s_add_u32 s21, s21, s24
	s_addc_u32 s23, 0, s23
	s_mul_hi_u32 s26, s19, s25
	s_mul_i32 s25, s19, s25
	s_add_u32 s21, s21, s25
	s_mul_hi_u32 s24, s19, s22
	s_addc_u32 s21, s23, s26
	s_addc_u32 s23, s24, 0
	s_mul_i32 s22, s19, s22
	s_add_u32 s21, s21, s22
	s_addc_u32 s22, 0, s23
	v_add_co_u32_e32 v1, vcc, s21, v1
	s_cmp_lg_u64 vcc, 0
	s_addc_u32 s19, s19, s22
	v_readfirstlane_b32 s22, v1
	s_mul_i32 s21, s10, s19
	s_mul_hi_u32 s23, s10, s22
	s_add_i32 s21, s23, s21
	s_mul_i32 s11, s11, s22
	s_add_i32 s21, s21, s11
	s_mul_i32 s10, s10, s22
	s_mul_hi_u32 s23, s19, s10
	s_mul_i32 s24, s19, s10
	s_mul_i32 s26, s22, s21
	s_mul_hi_u32 s10, s22, s10
	s_mul_hi_u32 s25, s22, s21
	s_add_u32 s10, s10, s26
	s_addc_u32 s22, 0, s25
	s_add_u32 s10, s10, s24
	s_mul_hi_u32 s11, s19, s21
	s_addc_u32 s10, s22, s23
	s_addc_u32 s11, s11, 0
	s_mul_i32 s21, s19, s21
	s_add_u32 s10, s10, s21
	s_addc_u32 s11, 0, s11
	v_add_co_u32_e32 v1, vcc, s10, v1
	s_cmp_lg_u64 vcc, 0
	s_addc_u32 s19, s19, s11
	s_ashr_i32 s10, s3, 31
	s_add_u32 s22, s2, s10
	s_mov_b32 s11, s10
	s_addc_u32 s23, s3, s10
	s_xor_b64 s[22:23], s[22:23], s[10:11]
	v_readfirstlane_b32 s21, v1
	s_mul_i32 s11, s22, s19
	s_mul_hi_u32 s24, s22, s21
	s_mul_hi_u32 s3, s22, s19
	s_add_u32 s11, s24, s11
	s_addc_u32 s3, 0, s3
	s_mul_hi_u32 s25, s23, s21
	s_mul_i32 s21, s23, s21
	s_add_u32 s11, s11, s21
	s_mul_hi_u32 s24, s23, s19
	s_addc_u32 s3, s3, s25
	s_addc_u32 s11, s24, 0
	s_mul_i32 s19, s23, s19
	s_add_u32 s3, s3, s19
	s_addc_u32 s11, 0, s11
	s_mul_i32 s11, s9, s11
	s_mul_hi_u32 s24, s9, s3
	s_add_i32 s24, s24, s11
	s_mul_i32 s11, s9, s3
	v_mov_b32_e32 v1, s11
	s_add_u32 s19, s3, 1
	s_add_u32 s21, s3, 2
	v_sub_co_u32_e32 v1, vcc, s22, v1
	s_cmp_lg_u64 vcc, 0
	s_subb_u32 s11, s23, s24
	v_subrev_co_u32_e32 v2, vcc, s9, v1
	s_cmp_lg_u64 vcc, 0
	s_subb_u32 s22, s11, 0
	v_cmp_le_u32_e32 vcc, s9, v2
	s_cmp_eq_u32 s22, 0
	v_cndmask_b32_e64 v2, 0, -1, vcc
	s_cselect_b64 vcc, -1, 0
	v_cndmask_b32_e32 v2, -1, v2, vcc
	v_mov_b32_e32 v3, s19
	v_mov_b32_e32 v4, s21
	v_cmp_ne_u32_e32 vcc, 0, v2
	v_cndmask_b32_e32 v2, v3, v4, vcc
	v_cmp_le_u32_e32 vcc, s9, v1
	s_cmp_eq_u32 s11, 0
	v_cndmask_b32_e64 v1, 0, -1, vcc
	s_cselect_b64 vcc, -1, 0
	v_cndmask_b32_e32 v1, -1, v1, vcc
	v_mov_b32_e32 v3, s3
	v_cmp_ne_u32_e32 vcc, 0, v1
	v_cndmask_b32_e32 v1, v3, v2, vcc
	v_xor_b32_e32 v1, s10, v1
	v_subrev_co_u32_e32 v2, vcc, s10, v1
	s_cbranch_execnz .LBB12_6
.LBB12_5:
	v_cvt_f32_u32_e32 v1, s9
	s_sub_i32 s0, 0, s9
	s_mov_b32 s1, 0
	v_rcp_iflag_f32_e32 v1, v1
	v_mul_f32_e32 v1, 0x4f7ffffe, v1
	v_cvt_u32_f32_e32 v1, v1
	v_readfirstlane_b32 s3, v1
	s_mul_i32 s0, s0, s3
	s_mul_hi_u32 s0, s3, s0
	s_add_i32 s3, s3, s0
	s_mul_hi_u32 s0, s2, s3
	s_mul_i32 s10, s0, s9
	s_sub_i32 s2, s2, s10
	s_add_i32 s3, s0, 1
	s_sub_i32 s10, s2, s9
	s_cmp_ge_u32 s2, s9
	s_cselect_b32 s0, s3, s0
	s_cselect_b32 s2, s10, s2
	s_add_i32 s3, s0, 1
	s_cmp_ge_u32 s2, s9
	s_cselect_b32 s0, s3, s0
	v_pk_mov_b32 v[2:3], s[0:1], s[0:1] op_sel:[0,1]
.LBB12_6:
	s_waitcnt lgkmcnt(0)
	s_mul_hi_u32 s0, s20, s16
	s_add_i32 s0, s0, s20
	v_mul_hi_u32 v1, v2, s16
	s_lshr_b32 s19, s0, s17
	v_add_u32_e32 v1, v1, v2
	s_mul_i32 s0, s19, s18
	v_lshrrev_b32_e32 v1, s17, v1
	s_cmp_eq_u32 s0, s20
	v_cmp_eq_u32_e64 s[0:1], s19, v1
	v_mul_lo_u32 v1, v1, s18
	v_cmp_eq_u32_e32 vcc, s20, v2
	s_cselect_b64 s[10:11], -1, 0
	v_cmp_ne_u32_e64 s[2:3], v1, v2
	s_and_b64 s[0:1], s[0:1], s[2:3]
	s_or_b64 s[2:3], vcc, s[10:11]
	s_or_b64 s[0:1], s[2:3], s[0:1]
	s_and_b64 vcc, exec, s[0:1]
	s_cbranch_vccnz .LBB12_24
; %bb.7:
	s_load_dwordx8 s[24:31], s[4:5], 0x20
	s_load_dword s0, s[4:5], 0x40
	s_mov_b32 s10, 0
	s_waitcnt lgkmcnt(0)
	s_mul_hi_u32 s1, s20, s24
	s_add_i32 s1, s1, s20
	s_lshr_b32 s11, s1, s25
	s_mul_i32 s1, s11, s26
	s_sub_i32 s1, s20, s1
	s_mul_hi_u32 s2, s1, s27
	s_add_i32 s2, s1, s2
	s_lshr_b32 s23, s2, s28
	s_mul_i32 s2, s23, s29
	s_sub_i32 s1, s1, s2
	;; [unrolled: 5-line block ×3, first 2 shown]
	s_mul_hi_u32 s1, s0, s16
	s_add_i32 s0, s0, s1
	s_lshr_b32 s24, s0, s17
	s_lshl_b32 s0, s24, 4
	s_lshl_b32 s25, s2, 2
	s_add_i32 s0, s0, s7
	s_cmp_lt_i32 s0, s12
	s_cselect_b64 s[0:1], -1, 0
	s_add_i32 s25, s25, s8
	s_cmp_lt_i32 s25, s14
	s_cselect_b64 s[2:3], -1, 0
	s_and_b64 s[0:1], s[0:1], s[2:3]
	s_andn2_b64 vcc, exec, s[0:1]
	s_cbranch_vccnz .LBB12_24
; %bb.8:
	s_load_dwordx4 s[0:3], s[4:5], 0x0
	s_lshl_b32 s4, s7, 2
	s_add_i32 s8, s4, s8
	s_lshl_b32 s4, s9, 8
	s_mov_b32 s5, s10
	s_lshl_b64 s[4:5], s[4:5], 2
	s_waitcnt lgkmcnt(0)
	s_add_u32 s21, s2, s4
	s_mul_i32 s4, s11, s12
	s_addc_u32 s22, s3, s5
	s_mul_i32 s23, s23, s14
	s_add_i32 s4, s4, s7
	s_mul_i32 s4, s4, s13
	s_add_i32 s7, s25, s23
	;; [unrolled: 2-line block ×3, first 2 shown]
	s_mulk_i32 s5, 0x500
	s_mulk_i32 s4, 0x50
	s_add_i32 s5, s5, s4
	v_add_u32_e32 v2, s5, v0
	v_ashrrev_i32_e32 v3, 31, v2
	v_lshlrev_b64 v[2:3], 2, v[2:3]
	v_mov_b32_e32 v1, s1
	v_add_co_u32_e32 v2, vcc, s0, v2
	v_addc_co_u32_e32 v3, vcc, v1, v3, vcc
	global_load_dword v5, v[2:3], off
	s_mul_i32 s4, s8, 0x50
	v_add_u32_e32 v4, s4, v0
	v_cvt_f32_u32_e32 v0, s9
	v_cvt_f32_ubyte0_e32 v1, 0
	s_lshl_b32 s0, s6, 6
	s_add_i32 s0, s8, s0
	v_mac_f32_e32 v0, 0x4f800000, v1
	v_rcp_f32_e32 v0, v0
	v_cvt_f32_u32_e32 v1, s9
	s_ashr_i32 s1, s0, 31
	s_lshl_b64 s[0:1], s[0:1], 3
	v_mul_f32_e32 v0, 0x5f7ffffc, v0
	v_rcp_iflag_f32_e32 v1, v1
	s_add_u32 s0, s2, s0
	v_mul_f32_e32 v9, 0x2f800000, v0
	s_addc_u32 s1, s3, s1
	v_trunc_f32_e32 v10, v9
	s_load_dwordx2 s[0:1], s[0:1], 0x0
	v_mac_f32_e32 v0, 0xcf800000, v10
	v_cvt_u32_f32_e32 v9, v0
	v_mul_f32_e32 v0, 0x4f7ffffe, v1
	v_cvt_u32_f32_e32 v10, v10
	v_cvt_u32_f32_e32 v11, v0
	s_add_i32 s12, s6, -1
	s_waitcnt lgkmcnt(0)
	v_mov_b32_e32 v6, s1
	v_mov_b32_e32 v7, s0
	v_mov_b32_e32 v8, s20
	s_mov_b32 s6, 0x3fb8aa3b
	s_mov_b32 s7, 0xc2ce8ed0
	;; [unrolled: 1-line block ×4, first 2 shown]
	v_mov_b32_e32 v12, 0x7f800000
	s_mul_hi_i32 s11, s12, s15
	s_cmp_lg_u64 s[10:11], 0
	s_mul_i32 s4, s12, s15
	s_cbranch_scc0 .LBB12_15
.LBB12_9:
	s_sub_u32 s0, 0, s9
	v_readfirstlane_b32 s5, v9
	v_readfirstlane_b32 s24, v10
	s_subb_u32 s1, 0, 0
	s_mul_hi_u32 s23, s0, s5
	s_mul_i32 s25, s0, s24
	s_mul_i32 s20, s1, s5
	s_add_i32 s23, s23, s25
	s_add_i32 s23, s23, s20
	s_mul_i32 s26, s0, s5
	s_mul_hi_u32 s20, s5, s23
	s_mul_i32 s25, s5, s23
	s_mul_hi_u32 s5, s5, s26
	s_add_u32 s5, s5, s25
	s_addc_u32 s20, 0, s20
	s_mul_hi_u32 s27, s24, s26
	s_mul_i32 s26, s24, s26
	s_add_u32 s5, s5, s26
	s_mul_hi_u32 s25, s24, s23
	s_addc_u32 s5, s20, s27
	s_addc_u32 s20, s25, 0
	s_mul_i32 s23, s24, s23
	s_add_u32 s5, s5, s23
	s_addc_u32 s20, 0, s20
	v_add_co_u32_e32 v0, vcc, s5, v9
	s_cmp_lg_u64 vcc, 0
	s_addc_u32 s5, s24, s20
	v_readfirstlane_b32 s23, v0
	s_mul_i32 s20, s0, s5
	s_mul_hi_u32 s24, s0, s23
	s_add_i32 s20, s24, s20
	s_mul_i32 s1, s1, s23
	s_add_i32 s20, s20, s1
	s_mul_i32 s0, s0, s23
	s_mul_hi_u32 s24, s5, s0
	s_mul_i32 s25, s5, s0
	s_mul_i32 s27, s23, s20
	s_mul_hi_u32 s0, s23, s0
	s_mul_hi_u32 s26, s23, s20
	s_add_u32 s0, s0, s27
	s_addc_u32 s23, 0, s26
	s_add_u32 s0, s0, s25
	s_mul_hi_u32 s1, s5, s20
	s_addc_u32 s0, s23, s24
	s_addc_u32 s1, s1, 0
	s_mul_i32 s20, s5, s20
	s_add_u32 s0, s0, s20
	s_addc_u32 s1, 0, s1
	v_add_co_u32_e32 v0, vcc, s0, v0
	s_cmp_lg_u64 vcc, 0
	s_addc_u32 s5, s5, s1
	s_ashr_i32 s0, s11, 31
	s_add_u32 s24, s4, s0
	s_mov_b32 s1, s0
	s_addc_u32 s25, s11, s0
	s_xor_b64 s[24:25], s[24:25], s[0:1]
	v_readfirstlane_b32 s20, v0
	s_mul_i32 s11, s24, s5
	s_mul_hi_u32 s23, s24, s20
	s_mul_hi_u32 s1, s24, s5
	s_add_u32 s11, s23, s11
	s_addc_u32 s1, 0, s1
	s_mul_hi_u32 s26, s25, s20
	s_mul_i32 s20, s25, s20
	s_add_u32 s11, s11, s20
	s_mul_hi_u32 s23, s25, s5
	s_addc_u32 s1, s1, s26
	s_addc_u32 s11, s23, 0
	s_mul_i32 s5, s25, s5
	s_add_u32 s1, s1, s5
	s_addc_u32 s5, 0, s11
	s_mul_i32 s5, s9, s5
	s_mul_hi_u32 s23, s9, s1
	s_add_i32 s23, s23, s5
	s_mul_i32 s5, s9, s1
	v_mov_b32_e32 v0, s5
	s_add_u32 s11, s1, 1
	s_add_u32 s20, s1, 2
	v_sub_co_u32_e32 v0, vcc, s24, v0
	s_cmp_lg_u64 vcc, 0
	s_subb_u32 s5, s25, s23
	v_subrev_co_u32_e32 v1, vcc, s9, v0
	s_cmp_lg_u64 vcc, 0
	s_subb_u32 s23, s5, 0
	v_cmp_le_u32_e32 vcc, s9, v1
	s_cmp_eq_u32 s23, 0
	v_cndmask_b32_e64 v1, 0, -1, vcc
	s_cselect_b64 vcc, -1, 0
	v_cndmask_b32_e32 v1, -1, v1, vcc
	v_mov_b32_e32 v13, s11
	v_mov_b32_e32 v14, s20
	v_cmp_ne_u32_e32 vcc, 0, v1
	v_cndmask_b32_e32 v1, v13, v14, vcc
	v_cmp_le_u32_e32 vcc, s9, v0
	s_cmp_eq_u32 s5, 0
	v_cndmask_b32_e64 v0, 0, -1, vcc
	s_cselect_b64 vcc, -1, 0
	v_cndmask_b32_e32 v0, -1, v0, vcc
	v_mov_b32_e32 v13, s1
	v_cmp_ne_u32_e32 vcc, 0, v0
	v_cndmask_b32_e32 v0, v13, v1, vcc
	v_xor_b32_e32 v0, s0, v0
	v_subrev_co_u32_e32 v0, vcc, s0, v0
	s_cbranch_execnz .LBB12_11
.LBB12_10:
	s_sub_i32 s0, 0, s9
	v_mul_lo_u32 v0, s0, v11
	v_mul_hi_u32 v0, v11, v0
	v_add_u32_e32 v0, v11, v0
	v_mul_hi_u32 v0, s4, v0
	v_mul_lo_u32 v13, v0, s9
	v_sub_u32_e32 v13, s4, v13
	v_add_u32_e32 v1, 1, v0
	v_subrev_u32_e32 v14, s9, v13
	v_cmp_le_u32_e32 vcc, s9, v13
	v_cndmask_b32_e32 v13, v13, v14, vcc
	v_cndmask_b32_e32 v0, v0, v1, vcc
	v_add_u32_e32 v1, 1, v0
	v_cmp_le_u32_e32 vcc, s9, v13
	v_cndmask_b32_e32 v0, v0, v1, vcc
.LBB12_11:
	v_cmp_ne_u32_e32 vcc, v8, v0
	s_cbranch_vccz .LBB12_14
; %bb.12:
	s_add_i32 s0, s12, s9
	s_lshl_b32 s0, s0, 6
	v_mul_hi_u32 v1, v0, s16
	s_add_i32 s0, s0, s8
	s_mov_b32 s1, s10
	v_add_u32_e32 v1, v1, v0
	s_lshl_b64 s[0:1], s[0:1], 3
	v_lshrrev_b32_e32 v1, s17, v1
	s_add_u32 s4, s2, s0
	v_mul_lo_u32 v13, v1, s18
	s_addc_u32 s5, s3, s1
	v_cmp_eq_u32_e32 vcc, v13, v0
	v_cmp_gt_u32_e64 s[0:1], s19, v1
	s_or_b64 s[0:1], s[0:1], vcc
	s_and_b64 vcc, exec, s[0:1]
	s_cbranch_vccnz .LBB12_16
; %bb.13:
	s_add_i32 s11, s12, -1
	s_mov_b64 s[0:1], 0
	s_branch .LBB12_17
.LBB12_14:
                                        ; implicit-def: $sgpr0_sgpr1
                                        ; implicit-def: $vgpr14
                                        ; implicit-def: $vgpr1
                                        ; implicit-def: $vgpr13
                                        ; implicit-def: $sgpr11
                                        ; implicit-def: $vgpr0
	s_branch .LBB12_18
.LBB12_15:
                                        ; implicit-def: $vgpr0_vgpr1
	s_branch .LBB12_10
.LBB12_16:
	s_mov_b64 s[0:1], -1
	s_mov_b32 s11, s12
	v_mov_b32_e32 v0, v8
.LBB12_17:
	s_mul_i32 s20, s12, 0x1400
	v_add_u32_e32 v14, s20, v4
	v_ashrrev_i32_e32 v15, 31, v14
	v_lshlrev_b64 v[14:15], 2, v[14:15]
	v_mov_b32_e32 v1, s22
	v_add_co_u32_e32 v14, vcc, s21, v14
	v_addc_co_u32_e32 v15, vcc, v1, v15, vcc
	global_load_dword v14, v[14:15], off
	s_load_dwordx2 s[4:5], s[4:5], 0x0
	v_max_f32_e32 v1, v7, v7
	s_waitcnt lgkmcnt(0)
	v_max_f32_e64 v13, s4, s4
	v_max_f32_e32 v1, v1, v13
	v_sub_f32_e32 v13, v7, v1
	v_sub_f32_e32 v15, s4, v1
	v_mul_f32_e32 v16, 0x3fb8aa3b, v13
	v_mul_f32_e32 v17, 0x3fb8aa3b, v15
	v_fma_f32 v18, v13, s6, -v16
	v_rndne_f32_e32 v19, v16
	v_fma_f32 v20, v15, s6, -v17
	v_rndne_f32_e32 v21, v17
	v_fmac_f32_e32 v18, 0x32a5705f, v13
	v_sub_f32_e32 v16, v16, v19
	v_fmac_f32_e32 v20, 0x32a5705f, v15
	v_sub_f32_e32 v17, v17, v21
	v_add_f32_e32 v16, v16, v18
	v_cvt_i32_f32_e32 v19, v19
	v_add_f32_e32 v17, v17, v20
	v_exp_f32_e32 v16, v16
	v_cvt_i32_f32_e32 v21, v21
	v_exp_f32_e32 v17, v17
	v_cmp_ngt_f32_e32 vcc, s7, v13
	v_ldexp_f32 v16, v16, v19
	v_cndmask_b32_e32 v16, 0, v16, vcc
	v_ldexp_f32 v17, v17, v21
	v_cmp_ngt_f32_e32 vcc, s7, v15
	v_cndmask_b32_e32 v17, 0, v17, vcc
	v_cmp_nlt_f32_e32 vcc, s13, v13
	v_cndmask_b32_e32 v16, v12, v16, vcc
	v_cmp_nlt_f32_e32 vcc, s13, v15
	v_cndmask_b32_e32 v17, v12, v17, vcc
	v_cmp_le_f32_e32 vcc, s14, v13
	v_cndmask_b32_e32 v16, 0, v16, vcc
	v_cmp_le_f32_e32 vcc, s14, v15
	v_cndmask_b32_e32 v15, 0, v17, vcc
	v_mul_f32_e32 v13, s5, v15
	v_fmac_f32_e32 v13, v6, v16
	s_waitcnt vmcnt(0)
	v_mul_f32_e32 v14, v14, v15
	v_fmac_f32_e32 v14, v5, v16
	s_cbranch_execnz .LBB12_19
.LBB12_18:
	s_add_i32 s11, s12, -1
	s_mov_b64 s[0:1], 0
	v_mov_b32_e32 v0, v8
	v_mov_b32_e32 v13, v6
	;; [unrolled: 1-line block ×3, first 2 shown]
	s_waitcnt vmcnt(0)
	v_mov_b32_e32 v14, v5
.LBB12_19:
	s_andn2_b64 vcc, exec, s[0:1]
	s_cbranch_vccz .LBB12_23
; %bb.20:
	v_mov_b32_e32 v8, v0
	s_mov_b32 s12, s11
	v_mov_b32_e32 v6, v13
	v_mov_b32_e32 v7, v1
	s_waitcnt vmcnt(0)
	v_mov_b32_e32 v5, v14
	s_mul_hi_i32 s11, s12, s15
	s_cmp_lg_u64 s[10:11], 0
	s_mul_i32 s4, s12, s15
	s_cbranch_scc1 .LBB12_9
	s_branch .LBB12_15
.LBB12_21:
                                        ; implicit-def: $sgpr20_sgpr21
	s_load_dwordx4 s[16:19], s[4:5], 0x44
	s_branch .LBB12_2
.LBB12_22:
                                        ; implicit-def: $vgpr2_vgpr3
	s_branch .LBB12_5
.LBB12_23:
	v_div_scale_f32 v0, s[0:1], v13, v13, v14
	v_rcp_f32_e32 v1, v0
	v_div_scale_f32 v4, vcc, v14, v13, v14
	s_waitcnt vmcnt(0)
	v_fma_f32 v5, -v0, v1, 1.0
	v_fmac_f32_e32 v1, v5, v1
	v_mul_f32_e32 v5, v4, v1
	v_fma_f32 v6, -v0, v5, v4
	v_fmac_f32_e32 v5, v6, v1
	v_fma_f32 v0, -v0, v5, v4
	v_div_fmas_f32 v0, v0, v1, v5
	v_div_fixup_f32 v0, v0, v13, v14
	global_store_dword v[2:3], v0, off
.LBB12_24:
	s_endpgm
	.section	.rodata,"a",@progbits
	.p2align	6, 0x0
	.amdhsa_kernel _ZL33flash_attn_stream_k_fixup_generalILi80ELi16ELi4EEvPfPK15HIP_vector_typeIfLj2EEiiiiS1_IjLj3EES5_S5_S5_
		.amdhsa_group_segment_fixed_size 0
		.amdhsa_private_segment_fixed_size 0
		.amdhsa_kernarg_size 336
		.amdhsa_user_sgpr_count 6
		.amdhsa_user_sgpr_private_segment_buffer 1
		.amdhsa_user_sgpr_dispatch_ptr 0
		.amdhsa_user_sgpr_queue_ptr 0
		.amdhsa_user_sgpr_kernarg_segment_ptr 1
		.amdhsa_user_sgpr_dispatch_id 0
		.amdhsa_user_sgpr_flat_scratch_init 0
		.amdhsa_user_sgpr_kernarg_preload_length 0
		.amdhsa_user_sgpr_kernarg_preload_offset 0
		.amdhsa_user_sgpr_private_segment_size 0
		.amdhsa_uses_dynamic_stack 0
		.amdhsa_system_sgpr_private_segment_wavefront_offset 0
		.amdhsa_system_sgpr_workgroup_id_x 1
		.amdhsa_system_sgpr_workgroup_id_y 1
		.amdhsa_system_sgpr_workgroup_id_z 1
		.amdhsa_system_sgpr_workgroup_info 0
		.amdhsa_system_vgpr_workitem_id 0
		.amdhsa_next_free_vgpr 22
		.amdhsa_next_free_sgpr 32
		.amdhsa_accum_offset 24
		.amdhsa_reserve_vcc 1
		.amdhsa_reserve_flat_scratch 0
		.amdhsa_float_round_mode_32 0
		.amdhsa_float_round_mode_16_64 0
		.amdhsa_float_denorm_mode_32 3
		.amdhsa_float_denorm_mode_16_64 3
		.amdhsa_dx10_clamp 1
		.amdhsa_ieee_mode 1
		.amdhsa_fp16_overflow 0
		.amdhsa_tg_split 0
		.amdhsa_exception_fp_ieee_invalid_op 0
		.amdhsa_exception_fp_denorm_src 0
		.amdhsa_exception_fp_ieee_div_zero 0
		.amdhsa_exception_fp_ieee_overflow 0
		.amdhsa_exception_fp_ieee_underflow 0
		.amdhsa_exception_fp_ieee_inexact 0
		.amdhsa_exception_int_div_zero 0
	.end_amdhsa_kernel
	.section	.text._ZL33flash_attn_stream_k_fixup_generalILi80ELi16ELi4EEvPfPK15HIP_vector_typeIfLj2EEiiiiS1_IjLj3EES5_S5_S5_,"axG",@progbits,_ZL33flash_attn_stream_k_fixup_generalILi80ELi16ELi4EEvPfPK15HIP_vector_typeIfLj2EEiiiiS1_IjLj3EES5_S5_S5_,comdat
.Lfunc_end12:
	.size	_ZL33flash_attn_stream_k_fixup_generalILi80ELi16ELi4EEvPfPK15HIP_vector_typeIfLj2EEiiiiS1_IjLj3EES5_S5_S5_, .Lfunc_end12-_ZL33flash_attn_stream_k_fixup_generalILi80ELi16ELi4EEvPfPK15HIP_vector_typeIfLj2EEiiiiS1_IjLj3EES5_S5_S5_
                                        ; -- End function
	.section	.AMDGPU.csdata,"",@progbits
; Kernel info:
; codeLenInByte = 2828
; NumSgprs: 36
; NumVgprs: 22
; NumAgprs: 0
; TotalNumVgprs: 22
; ScratchSize: 0
; MemoryBound: 0
; FloatMode: 240
; IeeeMode: 1
; LDSByteSize: 0 bytes/workgroup (compile time only)
; SGPRBlocks: 4
; VGPRBlocks: 2
; NumSGPRsForWavesPerEU: 36
; NumVGPRsForWavesPerEU: 22
; AccumOffset: 24
; Occupancy: 8
; WaveLimiterHint : 0
; COMPUTE_PGM_RSRC2:SCRATCH_EN: 0
; COMPUTE_PGM_RSRC2:USER_SGPR: 6
; COMPUTE_PGM_RSRC2:TRAP_HANDLER: 0
; COMPUTE_PGM_RSRC2:TGID_X_EN: 1
; COMPUTE_PGM_RSRC2:TGID_Y_EN: 1
; COMPUTE_PGM_RSRC2:TGID_Z_EN: 1
; COMPUTE_PGM_RSRC2:TIDIG_COMP_CNT: 0
; COMPUTE_PGM_RSRC3_GFX90A:ACCUM_OFFSET: 5
; COMPUTE_PGM_RSRC3_GFX90A:TG_SPLIT: 0
	.section	.text._ZL26flash_attn_combine_resultsILi80EEvPKfPK15HIP_vector_typeIfLj2EEPfi,"axG",@progbits,_ZL26flash_attn_combine_resultsILi80EEvPKfPK15HIP_vector_typeIfLj2EEPfi,comdat
	.globl	_ZL26flash_attn_combine_resultsILi80EEvPKfPK15HIP_vector_typeIfLj2EEPfi ; -- Begin function _ZL26flash_attn_combine_resultsILi80EEvPKfPK15HIP_vector_typeIfLj2EEPfi
	.p2align	8
	.type	_ZL26flash_attn_combine_resultsILi80EEvPKfPK15HIP_vector_typeIfLj2EEPfi,@function
_ZL26flash_attn_combine_resultsILi80EEvPKfPK15HIP_vector_typeIfLj2EEPfi: ; @_ZL26flash_attn_combine_resultsILi80EEvPKfPK15HIP_vector_typeIfLj2EEPfi
; %bb.0:
	s_load_dwordx2 s[0:1], s[4:5], 0x20
	s_load_dword s21, s[4:5], 0x18
	s_load_dwordx4 s[16:19], s[4:5], 0x0
	s_load_dwordx2 s[14:15], s[4:5], 0x10
	s_waitcnt lgkmcnt(0)
	s_mul_i32 s0, s0, s8
	s_add_i32 s0, s0, s6
	s_mul_i32 s20, s0, s1
	s_add_i32 s20, s20, s7
	s_lshl_b32 s10, s21, 1
	s_mul_i32 s0, s20, s21
	v_cmp_gt_i32_e32 vcc, s10, v0
	s_and_saveexec_b64 s[2:3], vcc
	s_cbranch_execz .LBB13_13
; %bb.1:
	v_xad_u32 v1, v0, -1, s10
	s_movk_i32 s4, 0x4f
	s_ashr_i32 s1, s0, 31
	v_cmp_lt_u32_e32 vcc, s4, v1
	s_mov_b64 s[6:7], -1
	v_mov_b32_e32 v2, v0
	s_and_saveexec_b64 s[4:5], vcc
	s_cbranch_execz .LBB13_10
; %bb.2:
	s_mov_b32 s6, 0xcccccccd
	v_mul_hi_u32 v1, v1, s6
	v_lshrrev_b32_e32 v6, 6, v1
	s_lshl_b64 s[6:7], s[0:1], 3
	v_add_u32_e32 v2, -1, v6
	s_add_u32 s11, s18, s6
	v_add_u32_e32 v1, 0x50, v0
	v_lshrrev_b32_e32 v3, 1, v2
	s_addc_u32 s12, s19, s7
	v_add_u32_e32 v7, 1, v3
	v_cmp_lt_u32_e32 vcc, 13, v2
	v_mov_b32_e32 v4, 0
	v_pk_mov_b32 v[2:3], v[0:1], v[0:1] op_sel:[0,1]
	s_and_saveexec_b64 s[6:7], vcc
	s_cbranch_execz .LBB13_6
; %bb.3:
	v_and_b32_e32 v8, -8, v7
	s_mov_b32 s13, 0
	v_lshl_add_u32 v9, v0, 2, 0
	s_mov_b64 s[8:9], 0
	v_mov_b32_e32 v10, s12
	v_mov_b32_e32 v5, 0
	v_pk_mov_b32 v[2:3], v[0:1], v[0:1] op_sel:[0,1]
.LBB13_4:                               ; =>This Inner Loop Header: Depth=1
	v_mov_b32_e32 v4, v2
	v_lshlrev_b64 v[26:27], 2, v[4:5]
	v_add_u32_e32 v12, 0xa0, v3
	v_mov_b32_e32 v13, v5
	v_add_co_u32_e32 v26, vcc, s11, v26
	v_lshlrev_b64 v[12:13], 2, v[12:13]
	v_addc_co_u32_e32 v27, vcc, v10, v27, vcc
	v_add_u32_e32 v14, 0x140, v3
	v_mov_b32_e32 v15, v5
	v_add_co_u32_e32 v12, vcc, s11, v12
	v_lshlrev_b64 v[14:15], 2, v[14:15]
	v_addc_co_u32_e32 v13, vcc, v10, v13, vcc
	;; [unrolled: 5-line block ×7, first 2 shown]
	v_mov_b32_e32 v4, v3
	v_add_co_u32_e32 v24, vcc, s11, v24
	v_lshlrev_b64 v[28:29], 2, v[4:5]
	v_addc_co_u32_e32 v25, vcc, v10, v25, vcc
	v_add_u32_e32 v4, 0xa0, v2
	v_add_co_u32_e32 v28, vcc, s11, v28
	v_addc_co_u32_e32 v29, vcc, v10, v29, vcc
	global_load_dword v1, v[26:27], off
	v_lshlrev_b64 v[26:27], 2, v[4:5]
	v_add_u32_e32 v4, 0x140, v2
	v_add_co_u32_e32 v26, vcc, s11, v26
	v_addc_co_u32_e32 v27, vcc, v10, v27, vcc
	v_lshlrev_b64 v[30:31], 2, v[4:5]
	v_add_u32_e32 v4, 0x1e0, v2
	global_load_dword v11, v[28:29], off
	global_load_dword v32, v[26:27], off
	;; [unrolled: 1-line block ×3, first 2 shown]
	v_add_co_u32_e32 v12, vcc, s11, v30
	v_addc_co_u32_e32 v13, vcc, v10, v31, vcc
	v_lshlrev_b64 v[26:27], 2, v[4:5]
	v_add_u32_e32 v4, 0x280, v2
	v_add_co_u32_e32 v26, vcc, s11, v26
	v_addc_co_u32_e32 v27, vcc, v10, v27, vcc
	v_lshlrev_b64 v[28:29], 2, v[4:5]
	v_add_u32_e32 v4, 0x320, v2
	global_load_dword v30, v[12:13], off
	global_load_dword v31, v[14:15], off
	;; [unrolled: 1-line block ×4, first 2 shown]
	v_add_co_u32_e32 v12, vcc, s11, v28
	v_addc_co_u32_e32 v13, vcc, v10, v29, vcc
	v_lshlrev_b64 v[14:15], 2, v[4:5]
	v_add_u32_e32 v4, 0x3c0, v2
	v_add_co_u32_e32 v14, vcc, s11, v14
	v_addc_co_u32_e32 v15, vcc, v10, v15, vcc
	v_lshlrev_b64 v[16:17], 2, v[4:5]
	v_add_u32_e32 v4, 0x460, v2
	global_load_dword v26, v[12:13], off
	global_load_dword v27, v[18:19], off
	global_load_dword v28, v[14:15], off
	global_load_dword v29, v[20:21], off
	v_add_co_u32_e32 v12, vcc, s11, v16
	v_addc_co_u32_e32 v13, vcc, v10, v17, vcc
	v_lshlrev_b64 v[14:15], 2, v[4:5]
	v_add_co_u32_e32 v14, vcc, s11, v14
	v_addc_co_u32_e32 v15, vcc, v10, v15, vcc
	global_load_dword v16, v[12:13], off
	global_load_dword v17, v[22:23], off
	;; [unrolled: 1-line block ×4, first 2 shown]
	v_add_u32_e32 v8, -8, v8
	s_add_i32 s13, s13, 16
	v_cmp_eq_u32_e32 vcc, 0, v8
	v_add_u32_e32 v12, 0x400, v9
	v_add_u32_e32 v13, 0x600, v9
	;; [unrolled: 1-line block ×7, first 2 shown]
	v_mov_b32_e32 v4, s13
	s_or_b64 s[8:9], vcc, s[8:9]
	v_add_u32_e32 v2, 0x500, v2
	s_waitcnt vmcnt(14)
	ds_write2_b32 v9, v1, v11 offset1:80
	s_waitcnt vmcnt(12)
	ds_write2_b32 v9, v32, v33 offset0:160 offset1:240
	v_add_u32_e32 v9, 0x1400, v9
	s_waitcnt vmcnt(10)
	ds_write2_b32 v12, v30, v31 offset0:64 offset1:144
	s_waitcnt vmcnt(8)
	ds_write2_b32 v13, v34, v35 offset0:96 offset1:176
	;; [unrolled: 2-line block ×6, first 2 shown]
	s_andn2_b64 exec, exec, s[8:9]
	s_cbranch_execnz .LBB13_4
; %bb.5:
	s_or_b64 exec, exec, s[8:9]
.LBB13_6:
	s_or_b64 exec, exec, s[6:7]
	v_and_b32_e32 v1, 7, v7
	v_cmp_ne_u32_e32 vcc, 0, v1
	s_and_saveexec_b64 s[6:7], vcc
	s_cbranch_execz .LBB13_9
; %bb.7:
	s_movk_i32 s8, 0x140
	v_mul_lo_u32 v4, v4, s8
	v_lshlrev_b32_e32 v5, 2, v0
	v_add3_u32 v7, v4, v5, 0
	s_mov_b64 s[8:9], 0
	v_mov_b32_e32 v8, s12
	v_mov_b32_e32 v5, 0
.LBB13_8:                               ; =>This Inner Loop Header: Depth=1
	v_mov_b32_e32 v4, v2
	v_lshlrev_b64 v[10:11], 2, v[4:5]
	v_mov_b32_e32 v4, v3
	v_add_co_u32_e32 v10, vcc, s11, v10
	v_addc_co_u32_e32 v11, vcc, v8, v11, vcc
	v_lshlrev_b64 v[12:13], 2, v[4:5]
	v_add_co_u32_e32 v12, vcc, s11, v12
	v_addc_co_u32_e32 v13, vcc, v8, v13, vcc
	global_load_dword v4, v[10:11], off
	global_load_dword v9, v[12:13], off
	v_add_u32_e32 v1, -1, v1
	v_cmp_eq_u32_e32 vcc, 0, v1
	v_add_u32_e32 v2, 0xa0, v2
	v_add_u32_e32 v3, 0xa0, v3
	s_or_b64 s[8:9], vcc, s[8:9]
	s_waitcnt vmcnt(0)
	ds_write2_b32 v7, v4, v9 offset1:80
	v_add_u32_e32 v7, 0x280, v7
	s_andn2_b64 exec, exec, s[8:9]
	s_cbranch_execnz .LBB13_8
.LBB13_9:
	s_or_b64 exec, exec, s[6:7]
	v_add_u32_e32 v1, 1, v6
	v_and_b32_e32 v4, 0x7fffffe, v1
	s_movk_i32 s6, 0x50
	v_mad_u64_u32 v[2:3], s[6:7], v4, s6, v[0:1]
	v_cmp_ne_u32_e32 vcc, v1, v4
	s_orn2_b64 s[6:7], vcc, exec
.LBB13_10:
	s_or_b64 exec, exec, s[4:5]
	s_and_b64 exec, exec, s[6:7]
	s_cbranch_execz .LBB13_13
; %bb.11:
	s_lshl_b64 s[4:5], s[0:1], 3
	v_mov_b32_e32 v3, 0
	s_add_u32 s1, s18, s4
	v_lshlrev_b64 v[4:5], 2, v[2:3]
	s_addc_u32 s4, s19, s5
	v_mov_b32_e32 v1, s4
	v_add_co_u32_e32 v4, vcc, s1, v4
	v_addc_co_u32_e32 v5, vcc, v1, v5, vcc
	v_lshl_add_u32 v1, v2, 2, 0
	s_mov_b64 s[4:5], 0
.LBB13_12:                              ; =>This Inner Loop Header: Depth=1
	global_load_dword v3, v[4:5], off
	v_add_co_u32_e32 v4, vcc, 0x140, v4
	v_add_u32_e32 v2, 0x50, v2
	v_addc_co_u32_e32 v5, vcc, 0, v5, vcc
	v_cmp_le_i32_e32 vcc, s10, v2
	s_or_b64 s[4:5], vcc, s[4:5]
	s_waitcnt vmcnt(0)
	ds_write_b32 v1, v3
	v_add_u32_e32 v1, 0x140, v1
	s_andn2_b64 exec, exec, s[4:5]
	s_cbranch_execnz .LBB13_12
.LBB13_13:
	s_or_b64 exec, exec, s[2:3]
	v_mov_b32_e32 v1, 0
	s_waitcnt lgkmcnt(0)
	s_barrier
	ds_read_b32 v1, v1
	s_cmp_lt_i32 s21, 2
	s_cbranch_scc1 .LBB13_21
; %bb.14:
	s_add_i32 s1, s21, -1
	s_add_i32 s2, s21, -2
	s_cmp_lt_u32 s2, 7
	s_cbranch_scc1 .LBB13_18
; %bb.15:
	s_mov_b32 s4, 0
	s_add_i32 s2, 0, 8
	s_and_b32 s3, s1, -8
.LBB13_16:                              ; =>This Inner Loop Header: Depth=1
	v_mov_b32_e32 v8, s2
	ds_read2_b32 v[2:3], v8 offset1:2
	ds_read2_b32 v[4:5], v8 offset0:4 offset1:6
	ds_read2_b32 v[6:7], v8 offset0:8 offset1:10
	;; [unrolled: 1-line block ×3, first 2 shown]
	s_mov_b32 s5, s4
	s_waitcnt lgkmcnt(3)
	v_max3_f32 v1, v1, v2, v3
	s_waitcnt lgkmcnt(2)
	v_max3_f32 v1, v1, v4, v5
	s_add_i32 s2, s2, 64
	s_add_i32 s4, s4, 8
	s_waitcnt lgkmcnt(1)
	v_max3_f32 v1, v1, v6, v7
	s_cmp_eq_u32 s3, s4
	s_waitcnt lgkmcnt(0)
	v_max3_f32 v1, v1, v8, v9
	s_cbranch_scc0 .LBB13_16
; %bb.17:
	s_add_i32 s2, s5, 9
	s_and_b32 s1, s1, 7
	s_cmp_eq_u32 s1, 0
	s_cbranch_scc0 .LBB13_19
	s_branch .LBB13_21
.LBB13_18:
	s_mov_b32 s2, 1
	s_and_b32 s1, s1, 7
	s_cmp_eq_u32 s1, 0
	s_cbranch_scc1 .LBB13_21
.LBB13_19:
	s_lshl_b32 s2, s2, 3
	s_add_i32 s2, s2, 0
.LBB13_20:                              ; =>This Inner Loop Header: Depth=1
	v_mov_b32_e32 v2, s2
	ds_read_b32 v2, v2
	s_waitcnt lgkmcnt(1)
	v_max_f32_e32 v1, v1, v1
	s_add_i32 s2, s2, 8
	s_add_i32 s1, s1, -1
	s_cmp_lg_u32 s1, 0
	s_waitcnt lgkmcnt(0)
	v_max_f32_e32 v2, v2, v2
	v_max_f32_e32 v1, v1, v2
	s_cbranch_scc1 .LBB13_20
.LBB13_21:
	s_cmp_lt_i32 s21, 1
	s_cbranch_scc1 .LBB13_26
; %bb.22:
	s_mul_i32 s18, s0, 0x50
	s_ashr_i32 s19, s18, 31
	s_cmp_lt_u32 s21, 8
	v_mov_b32_e32 v8, 0
	s_cbranch_scc1 .LBB13_27
; %bb.23:
	s_lshl_b64 s[0:1], s[18:19], 2
	s_add_u32 s23, s16, s0
	s_addc_u32 s0, s17, s1
	v_lshlrev_b32_e32 v2, 2, v0
	v_mov_b32_e32 v10, s0
	v_add_co_u32_e32 v2, vcc, s23, v2
	v_addc_co_u32_e32 v3, vcc, 0, v10, vcc
	v_add_co_u32_e32 v2, vcc, 0x140, v2
	s_and_b32 s22, s21, 0x7ffffff8
	v_addc_co_u32_e32 v3, vcc, 0, v3, vcc
	v_add_u32_e32 v4, 0x140, v0
	s_mov_b32 s24, 0
	v_mov_b32_e32 v7, 0
	s_mov_b32 s25, 0x3fb8aa3b
	s_mov_b32 s26, 0xc2ce8ed0
	s_mov_b32 s27, 0x42b17218
	v_mov_b32_e32 v11, 0x7f800000
	s_mov_b32 s28, 0
	v_mov_b32_e32 v9, 0
	v_mov_b32_e32 v8, 0
.LBB13_24:                              ; =>This Inner Loop Header: Depth=1
	v_add_u32_e32 v6, 0xfffffec0, v4
	global_load_dword v36, v[2:3], off
	global_load_dword v37, v[2:3], off offset:320
	v_add_co_u32_e32 v2, vcc, 0xa00, v2
	v_lshlrev_b64 v[28:29], 2, v[6:7]
	v_addc_co_u32_e32 v3, vcc, 0, v3, vcc
	v_mov_b32_e32 v5, v7
	v_add_co_u32_e32 v28, vcc, s23, v28
	v_lshlrev_b64 v[30:31], 2, v[4:5]
	v_addc_co_u32_e32 v29, vcc, v10, v29, vcc
	v_add_u32_e32 v6, 0xffffffb0, v4
	v_add_co_u32_e32 v30, vcc, s23, v30
	v_mov_b32_e32 v24, s24
	v_lshlrev_b64 v[32:33], 2, v[6:7]
	v_addc_co_u32_e32 v31, vcc, v10, v31, vcc
	ds_read2_b64 v[12:15], v24 offset1:1
	ds_read2_b64 v[16:19], v24 offset0:2 offset1:3
	ds_read2_b64 v[20:23], v24 offset0:4 offset1:5
	;; [unrolled: 1-line block ×3, first 2 shown]
	v_add_u32_e32 v6, 0x50, v4
	global_load_dword v5, v[28:29], off
	v_add_co_u32_e32 v28, vcc, s23, v32
	v_addc_co_u32_e32 v29, vcc, v10, v33, vcc
	v_lshlrev_b64 v[32:33], 2, v[6:7]
	v_add_u32_e32 v6, 0xa0, v4
	v_add_co_u32_e32 v32, vcc, s23, v32
	v_addc_co_u32_e32 v33, vcc, v10, v33, vcc
	v_lshlrev_b64 v[34:35], 2, v[6:7]
	v_add_u32_e32 v6, 0xf0, v4
	global_load_dword v38, v[28:29], off
	global_load_dword v39, v[30:31], off
	global_load_dword v40, v[32:33], off
	v_add_co_u32_e32 v28, vcc, s23, v34
	v_addc_co_u32_e32 v29, vcc, v10, v35, vcc
	v_lshlrev_b64 v[30:31], 2, v[6:7]
	v_add_co_u32_e32 v30, vcc, s23, v30
	s_waitcnt lgkmcnt(3)
	v_sub_f32_e32 v6, v12, v1
	v_sub_f32_e32 v12, v14, v1
	s_waitcnt lgkmcnt(2)
	v_sub_f32_e32 v14, v16, v1
	v_sub_f32_e32 v16, v18, v1
	;; [unrolled: 3-line block ×4, first 2 shown]
	v_addc_co_u32_e32 v31, vcc, v10, v31, vcc
	global_load_dword v26, v[28:29], off
	v_mul_f32_e32 v32, 0x3fb8aa3b, v14
	global_load_dword v30, v[30:31], off
	v_mul_f32_e32 v28, 0x3fb8aa3b, v6
	v_fma_f32 v31, v6, s25, -v28
	v_rndne_f32_e32 v43, v28
	v_mul_f32_e32 v29, 0x3fb8aa3b, v12
	v_mul_f32_e32 v33, 0x3fb8aa3b, v16
	;; [unrolled: 1-line block ×3, first 2 shown]
	v_fmac_f32_e32 v31, 0x32a5705f, v6
	v_sub_f32_e32 v28, v28, v43
	v_fma_f32 v44, v12, s25, -v29
	v_rndne_f32_e32 v45, v29
	v_fma_f32 v46, v14, s25, -v32
	v_rndne_f32_e32 v47, v32
	;; [unrolled: 2-line block ×3, first 2 shown]
	v_fma_f32 v50, v18, s25, -v34
	v_add_f32_e32 v28, v28, v31
	v_rndne_f32_e32 v31, v34
	v_mul_f32_e32 v35, 0x3fb8aa3b, v20
	v_mul_f32_e32 v41, 0x3fb8aa3b, v22
	v_fmac_f32_e32 v44, 0x32a5705f, v12
	v_sub_f32_e32 v29, v29, v45
	v_fmac_f32_e32 v46, 0x32a5705f, v14
	v_sub_f32_e32 v32, v32, v47
	;; [unrolled: 2-line block ×4, first 2 shown]
	v_add_f32_e32 v29, v29, v44
	v_fma_f32 v44, v20, s25, -v35
	v_add_f32_e32 v32, v32, v46
	v_rndne_f32_e32 v46, v35
	v_add_f32_e32 v33, v33, v48
	v_fma_f32 v48, v22, s25, -v41
	v_add_f32_e32 v34, v34, v50
	v_rndne_f32_e32 v50, v41
	v_mul_f32_e32 v42, 0x3fb8aa3b, v24
	v_fmac_f32_e32 v44, 0x32a5705f, v20
	v_sub_f32_e32 v35, v35, v46
	v_fmac_f32_e32 v48, 0x32a5705f, v22
	v_sub_f32_e32 v41, v41, v50
	v_add_f32_e32 v35, v35, v44
	v_fma_f32 v44, v24, s25, -v42
	v_add_f32_e32 v41, v41, v48
	v_rndne_f32_e32 v48, v42
	v_cvt_i32_f32_e32 v43, v43
	v_fmac_f32_e32 v44, 0x32a5705f, v24
	v_sub_f32_e32 v42, v42, v48
	v_exp_f32_e32 v28, v28
	v_cvt_i32_f32_e32 v45, v45
	v_add_f32_e32 v42, v42, v44
	v_exp_f32_e32 v29, v29
	v_cvt_i32_f32_e32 v47, v47
	v_cvt_i32_f32_e32 v49, v49
	v_cvt_i32_f32_e32 v31, v31
	v_cvt_i32_f32_e32 v46, v46
	v_cvt_i32_f32_e32 v50, v50
	v_cvt_i32_f32_e32 v48, v48
	v_exp_f32_e32 v32, v32
	v_exp_f32_e32 v33, v33
	;; [unrolled: 1-line block ×6, first 2 shown]
	v_ldexp_f32 v28, v28, v43
	v_cmp_ngt_f32_e64 s[12:13], s26, v6
	v_ldexp_f32 v29, v29, v45
	v_cmp_ngt_f32_e32 vcc, s26, v12
	v_cndmask_b32_e64 v28, 0, v28, s[12:13]
	v_cmp_nlt_f32_e64 s[12:13], s27, v6
	v_ldexp_f32 v32, v32, v47
	v_cmp_ngt_f32_e64 s[0:1], s26, v14
	v_ldexp_f32 v33, v33, v49
	v_cmp_ngt_f32_e64 s[2:3], s26, v16
	;; [unrolled: 2-line block ×6, first 2 shown]
	v_cndmask_b32_e32 v29, 0, v29, vcc
	v_cmp_nlt_f32_e32 vcc, s27, v12
	v_cndmask_b32_e64 v6, v11, v28, s[12:13]
	v_cndmask_b32_e64 v12, 0, v32, s[0:1]
	v_cmp_nlt_f32_e64 s[0:1], s27, v14
	v_cndmask_b32_e64 v14, 0, v33, s[2:3]
	v_cmp_nlt_f32_e64 s[2:3], s27, v16
	;; [unrolled: 2-line block ×6, first 2 shown]
	v_cndmask_b32_e32 v24, v11, v29, vcc
	v_fmac_f32_e32 v9, v6, v13
	s_waitcnt vmcnt(5)
	v_fmac_f32_e32 v8, v5, v6
	v_cndmask_b32_e64 v12, v11, v12, s[0:1]
	v_fmac_f32_e32 v9, v24, v15
	v_fmac_f32_e32 v8, v36, v24
	v_cndmask_b32_e64 v14, v11, v14, s[2:3]
	v_fmac_f32_e32 v9, v12, v17
	;; [unrolled: 3-line block ×3, first 2 shown]
	s_waitcnt vmcnt(4)
	v_fmac_f32_e32 v8, v38, v14
	v_cndmask_b32_e64 v18, v11, v18, s[6:7]
	v_fmac_f32_e32 v9, v16, v21
	s_waitcnt vmcnt(3)
	v_fmac_f32_e32 v8, v39, v16
	v_cndmask_b32_e64 v20, v11, v20, s[8:9]
	v_fmac_f32_e32 v9, v18, v23
	s_waitcnt vmcnt(2)
	v_fmac_f32_e32 v8, v40, v18
	s_add_i32 s28, s28, 8
	s_add_i32 s24, s24, 64
	v_cndmask_b32_e64 v22, v11, v22, s[10:11]
	v_fmac_f32_e32 v9, v20, v25
	s_waitcnt vmcnt(1)
	v_fmac_f32_e32 v8, v26, v20
	s_cmp_eq_u32 s22, s28
	v_add_u32_e32 v4, 0x280, v4
	v_fmac_f32_e32 v9, v22, v27
	s_waitcnt vmcnt(0)
	v_fmac_f32_e32 v8, v30, v22
	s_cbranch_scc0 .LBB13_24
; %bb.25:
	s_and_b32 s0, s21, 7
	s_cmp_eq_u32 s0, 0
	s_cbranch_scc0 .LBB13_28
	s_branch .LBB13_30
.LBB13_26:
	s_waitcnt lgkmcnt(0)
	v_mov_b32_e32 v1, 0x7fc00000
	s_branch .LBB13_31
.LBB13_27:
	s_mov_b32 s22, 0
	v_mov_b32_e32 v9, 0
	s_and_b32 s0, s21, 7
	s_cmp_eq_u32 s0, 0
	s_cbranch_scc1 .LBB13_30
.LBB13_28:
	s_lshl_b64 s[2:3], s[18:19], 2
	s_mul_i32 s1, s22, 0x50
	v_add_u32_e32 v2, s1, v0
	v_mov_b32_e32 v3, 0
	s_add_u32 s1, s16, s2
	v_lshlrev_b64 v[2:3], 2, v[2:3]
	s_addc_u32 s2, s17, s3
	v_mov_b32_e32 v4, s2
	v_add_co_u32_e32 v2, vcc, s1, v2
	s_lshl_b32 s1, s22, 3
	v_addc_co_u32_e32 v3, vcc, v4, v3, vcc
	s_add_i32 s1, s1, 0
	s_mov_b32 s2, 0x3fb8aa3b
	s_mov_b32 s3, 0xc2ce8ed0
	;; [unrolled: 1-line block ×3, first 2 shown]
	v_mov_b32_e32 v4, 0x7f800000
.LBB13_29:                              ; =>This Inner Loop Header: Depth=1
	global_load_dword v5, v[2:3], off
	v_mov_b32_e32 v6, s1
	ds_read_b64 v[6:7], v6
	v_add_co_u32_e32 v2, vcc, 0x140, v2
	v_addc_co_u32_e32 v3, vcc, 0, v3, vcc
	s_waitcnt lgkmcnt(0)
	v_sub_f32_e32 v6, v6, v1
	v_mul_f32_e32 v10, 0x3fb8aa3b, v6
	v_fma_f32 v11, v6, s2, -v10
	v_rndne_f32_e32 v12, v10
	v_fmac_f32_e32 v11, 0x32a5705f, v6
	v_sub_f32_e32 v10, v10, v12
	v_add_f32_e32 v10, v10, v11
	v_cvt_i32_f32_e32 v12, v12
	v_exp_f32_e32 v10, v10
	v_cmp_ngt_f32_e32 vcc, s3, v6
	s_add_i32 s1, s1, 8
	s_add_i32 s0, s0, -1
	v_ldexp_f32 v10, v10, v12
	v_cndmask_b32_e32 v10, 0, v10, vcc
	v_cmp_nlt_f32_e32 vcc, s4, v6
	v_cndmask_b32_e32 v6, v4, v10, vcc
	s_cmp_lg_u32 s0, 0
	v_fmac_f32_e32 v9, v6, v7
	s_waitcnt vmcnt(0)
	v_fmac_f32_e32 v8, v5, v6
	s_cbranch_scc1 .LBB13_29
.LBB13_30:
	s_waitcnt lgkmcnt(0)
	v_div_scale_f32 v1, s[0:1], v9, v9, v8
	v_rcp_f32_e32 v2, v1
	v_div_scale_f32 v3, vcc, v8, v9, v8
	v_fma_f32 v4, -v1, v2, 1.0
	v_fmac_f32_e32 v2, v4, v2
	v_mul_f32_e32 v4, v3, v2
	v_fma_f32 v5, -v1, v4, v3
	v_fmac_f32_e32 v4, v5, v2
	v_fma_f32 v1, -v1, v4, v3
	v_div_fmas_f32 v1, v1, v2, v4
	v_div_fixup_f32 v1, v1, v9, v8
.LBB13_31:
	s_mul_i32 s0, s20, 0x50
	s_ashr_i32 s1, s0, 31
	s_lshl_b64 s[0:1], s[0:1], 2
	s_add_u32 s0, s14, s0
	s_addc_u32 s1, s15, s1
	v_lshlrev_b32_e32 v0, 2, v0
	global_store_dword v0, v1, s[0:1]
	s_endpgm
	.section	.rodata,"a",@progbits
	.p2align	6, 0x0
	.amdhsa_kernel _ZL26flash_attn_combine_resultsILi80EEvPKfPK15HIP_vector_typeIfLj2EEPfi
		.amdhsa_group_segment_fixed_size 0
		.amdhsa_private_segment_fixed_size 0
		.amdhsa_kernarg_size 288
		.amdhsa_user_sgpr_count 6
		.amdhsa_user_sgpr_private_segment_buffer 1
		.amdhsa_user_sgpr_dispatch_ptr 0
		.amdhsa_user_sgpr_queue_ptr 0
		.amdhsa_user_sgpr_kernarg_segment_ptr 1
		.amdhsa_user_sgpr_dispatch_id 0
		.amdhsa_user_sgpr_flat_scratch_init 0
		.amdhsa_user_sgpr_kernarg_preload_length 0
		.amdhsa_user_sgpr_kernarg_preload_offset 0
		.amdhsa_user_sgpr_private_segment_size 0
		.amdhsa_uses_dynamic_stack 0
		.amdhsa_system_sgpr_private_segment_wavefront_offset 0
		.amdhsa_system_sgpr_workgroup_id_x 1
		.amdhsa_system_sgpr_workgroup_id_y 1
		.amdhsa_system_sgpr_workgroup_id_z 1
		.amdhsa_system_sgpr_workgroup_info 0
		.amdhsa_system_vgpr_workitem_id 0
		.amdhsa_next_free_vgpr 51
		.amdhsa_next_free_sgpr 29
		.amdhsa_accum_offset 52
		.amdhsa_reserve_vcc 1
		.amdhsa_reserve_flat_scratch 0
		.amdhsa_float_round_mode_32 0
		.amdhsa_float_round_mode_16_64 0
		.amdhsa_float_denorm_mode_32 3
		.amdhsa_float_denorm_mode_16_64 3
		.amdhsa_dx10_clamp 1
		.amdhsa_ieee_mode 1
		.amdhsa_fp16_overflow 0
		.amdhsa_tg_split 0
		.amdhsa_exception_fp_ieee_invalid_op 0
		.amdhsa_exception_fp_denorm_src 0
		.amdhsa_exception_fp_ieee_div_zero 0
		.amdhsa_exception_fp_ieee_overflow 0
		.amdhsa_exception_fp_ieee_underflow 0
		.amdhsa_exception_fp_ieee_inexact 0
		.amdhsa_exception_int_div_zero 0
	.end_amdhsa_kernel
	.section	.text._ZL26flash_attn_combine_resultsILi80EEvPKfPK15HIP_vector_typeIfLj2EEPfi,"axG",@progbits,_ZL26flash_attn_combine_resultsILi80EEvPKfPK15HIP_vector_typeIfLj2EEPfi,comdat
.Lfunc_end13:
	.size	_ZL26flash_attn_combine_resultsILi80EEvPKfPK15HIP_vector_typeIfLj2EEPfi, .Lfunc_end13-_ZL26flash_attn_combine_resultsILi80EEvPKfPK15HIP_vector_typeIfLj2EEPfi
                                        ; -- End function
	.section	.AMDGPU.csdata,"",@progbits
; Kernel info:
; codeLenInByte = 3136
; NumSgprs: 33
; NumVgprs: 51
; NumAgprs: 0
; TotalNumVgprs: 51
; ScratchSize: 0
; MemoryBound: 0
; FloatMode: 240
; IeeeMode: 1
; LDSByteSize: 0 bytes/workgroup (compile time only)
; SGPRBlocks: 4
; VGPRBlocks: 6
; NumSGPRsForWavesPerEU: 33
; NumVGPRsForWavesPerEU: 51
; AccumOffset: 52
; Occupancy: 8
; WaveLimiterHint : 1
; COMPUTE_PGM_RSRC2:SCRATCH_EN: 0
; COMPUTE_PGM_RSRC2:USER_SGPR: 6
; COMPUTE_PGM_RSRC2:TRAP_HANDLER: 0
; COMPUTE_PGM_RSRC2:TGID_X_EN: 1
; COMPUTE_PGM_RSRC2:TGID_Y_EN: 1
; COMPUTE_PGM_RSRC2:TGID_Z_EN: 1
; COMPUTE_PGM_RSRC2:TIDIG_COMP_CNT: 0
; COMPUTE_PGM_RSRC3_GFX90A:ACCUM_OFFSET: 12
; COMPUTE_PGM_RSRC3_GFX90A:TG_SPLIT: 0
	.section	.text._ZL18flash_attn_ext_f16ILi96ELi96ELi16ELi4ELb0ELb0EEvPKcS1_S1_S1_S1_PKiPfP15HIP_vector_typeIfLj2EEffffjfiS5_IjLj3EEiiiiiiiiiiiliiliiiiil,"axG",@progbits,_ZL18flash_attn_ext_f16ILi96ELi96ELi16ELi4ELb0ELb0EEvPKcS1_S1_S1_S1_PKiPfP15HIP_vector_typeIfLj2EEffffjfiS5_IjLj3EEiiiiiiiiiiiliiliiiiil,comdat
	.globl	_ZL18flash_attn_ext_f16ILi96ELi96ELi16ELi4ELb0ELb0EEvPKcS1_S1_S1_S1_PKiPfP15HIP_vector_typeIfLj2EEffffjfiS5_IjLj3EEiiiiiiiiiiiliiliiiiil ; -- Begin function _ZL18flash_attn_ext_f16ILi96ELi96ELi16ELi4ELb0ELb0EEvPKcS1_S1_S1_S1_PKiPfP15HIP_vector_typeIfLj2EEffffjfiS5_IjLj3EEiiiiiiiiiiiliiliiiiil
	.p2align	8
	.type	_ZL18flash_attn_ext_f16ILi96ELi96ELi16ELi4ELb0ELb0EEvPKcS1_S1_S1_S1_PKiPfP15HIP_vector_typeIfLj2EEffffjfiS5_IjLj3EEiiiiiiiiiiiliiliiiiil,@function
_ZL18flash_attn_ext_f16ILi96ELi96ELi16ELi4ELb0ELb0EEvPKcS1_S1_S1_S1_PKiPfP15HIP_vector_typeIfLj2EEffffjfiS5_IjLj3EEiiiiiiiiiiiliiliiiiil: ; @_ZL18flash_attn_ext_f16ILi96ELi96ELi16ELi4ELb0ELb0EEvPKcS1_S1_S1_S1_PKiPfP15HIP_vector_typeIfLj2EEffffjfiS5_IjLj3EEiiiiiiiiiiiliiliiiiil
; %bb.0:
	s_load_dwordx2 s[2:3], s[4:5], 0x80
	s_load_dwordx4 s[28:31], s[4:5], 0x64
	s_mov_b32 s20, s6
                                        ; implicit-def: $vgpr217 : SGPR spill to VGPR lane
	s_load_dword s21, s[4:5], 0xd0
	s_mov_b32 s0, 0
	s_waitcnt lgkmcnt(0)
	s_abs_i32 s1, s3
	v_cvt_f32_u32_e32 v1, s1
	s_sub_i32 s8, 0, s1
	s_abs_i32 s7, s29
	s_xor_b32 s6, s29, s3
	v_rcp_iflag_f32_e32 v1, v1
	s_ashr_i32 s6, s6, 31
	v_cvt_f32_ubyte0_e32 v3, 0
	v_mul_f32_e32 v1, 0x4f7ffffe, v1
	v_cvt_u32_f32_e32 v1, v1
	v_readfirstlane_b32 s9, v1
	s_mul_i32 s8, s8, s9
	s_mul_hi_u32 s8, s9, s8
	s_add_i32 s9, s9, s8
	s_mul_hi_u32 s8, s7, s9
	s_mul_i32 s9, s8, s1
	s_sub_i32 s7, s7, s9
	s_add_i32 s10, s8, 1
	s_sub_i32 s9, s7, s1
	s_cmp_ge_u32 s7, s1
	s_cselect_b32 s8, s10, s8
	s_cselect_b32 s7, s9, s7
	s_add_i32 s9, s8, 1
	s_cmp_ge_u32 s7, s1
	s_cselect_b32 s1, s9, s8
	s_add_i32 s2, s2, 63
	s_xor_b32 s1, s1, s6
	s_ashr_i32 s7, s2, 31
	s_sub_i32 s33, s1, s6
	s_lshr_b32 s1, s7, 26
	s_add_i32 s2, s2, s1
	s_add_i32 s1, s28, 15
	s_lshr_b32 s6, s1, 4
	s_add_i32 s1, s33, 3
	s_ashr_i32 s7, s2, 6
	s_ashr_i32 s2, s1, 31
	s_lshr_b32 s2, s2, 30
	s_add_i32 s1, s1, s2
	s_ashr_i32 s1, s1, 2
	v_writelane_b32 v217, s6, 0
	s_mul_i32 s2, s6, s7
	v_writelane_b32 v217, s2, 1
	s_mul_i32 s1, s2, s1
	;; [unrolled: 2-line block ×3, first 2 shown]
	s_mul_i32 s6, s1, s30
	s_ashr_i32 s8, s6, 31
	v_writelane_b32 v217, s1, 3
	s_mul_i32 s1, s8, s20
	s_mul_hi_u32 s2, s6, s20
	s_add_i32 s1, s2, s1
	v_cvt_f32_u32_e32 v1, s21
	s_add_u32 s2, s4, 0xd0
	s_addc_u32 s3, s5, 0
	s_mul_i32 s9, s6, s20
	v_writelane_b32 v217, s2, 4
	s_cmp_lg_u64 s[0:1], 0
	v_writelane_b32 v217, s3, 5
	s_cbranch_scc0 .LBB14_2
; %bb.1:
	v_madmk_f32 v2, v3, 0x4f800000, v1
	v_rcp_f32_e32 v2, v2
	s_sub_u32 s0, 0, s21
	s_subb_u32 s10, 0, 0
	s_mov_b64 s[2:3], 0
	v_mul_f32_e32 v2, 0x5f7ffffc, v2
	v_mul_f32_e32 v4, 0x2f800000, v2
	v_trunc_f32_e32 v4, v4
	v_madmk_f32 v2, v4, 0xcf800000, v2
	v_cvt_u32_f32_e32 v4, v4
	v_cvt_u32_f32_e32 v2, v2
	v_readfirstlane_b32 s11, v4
	v_readfirstlane_b32 s12, v2
	s_mul_hi_u32 s14, s0, s12
	s_mul_i32 s15, s0, s11
	s_mul_i32 s13, s10, s12
	s_add_i32 s14, s14, s15
	s_add_i32 s14, s14, s13
	s_mul_i32 s16, s0, s12
	s_mul_hi_u32 s13, s12, s14
	s_mul_i32 s15, s12, s14
	s_mul_hi_u32 s12, s12, s16
	s_add_u32 s12, s12, s15
	s_addc_u32 s13, 0, s13
	s_mul_hi_u32 s17, s11, s16
	s_mul_i32 s16, s11, s16
	s_add_u32 s12, s12, s16
	s_mul_hi_u32 s15, s11, s14
	s_addc_u32 s12, s13, s17
	s_addc_u32 s13, s15, 0
	s_mul_i32 s14, s11, s14
	s_add_u32 s12, s12, s14
	s_addc_u32 s13, 0, s13
	v_add_co_u32_e32 v2, vcc, s12, v2
	s_cmp_lg_u64 vcc, 0
	s_addc_u32 s11, s11, s13
	v_readfirstlane_b32 s13, v2
	s_mul_i32 s12, s0, s11
	s_mul_hi_u32 s14, s0, s13
	s_add_i32 s12, s14, s12
	s_mul_i32 s10, s10, s13
	s_add_i32 s12, s12, s10
	s_mul_i32 s0, s0, s13
	s_mul_hi_u32 s14, s11, s0
	s_mul_i32 s15, s11, s0
	s_mul_i32 s17, s13, s12
	s_mul_hi_u32 s0, s13, s0
	s_mul_hi_u32 s16, s13, s12
	s_add_u32 s0, s0, s17
	s_addc_u32 s13, 0, s16
	s_add_u32 s0, s0, s15
	s_mul_hi_u32 s10, s11, s12
	s_addc_u32 s0, s13, s14
	s_addc_u32 s10, s10, 0
	s_mul_i32 s12, s11, s12
	s_add_u32 s0, s0, s12
	s_addc_u32 s10, 0, s10
	v_add_co_u32_e32 v2, vcc, s0, v2
	s_cmp_lg_u64 vcc, 0
	s_addc_u32 s12, s11, s10
	s_ashr_i32 s10, s1, 31
	s_add_u32 s0, s9, s10
	s_mov_b32 s11, s10
	s_addc_u32 s1, s1, s10
	s_xor_b64 s[0:1], s[0:1], s[10:11]
	v_readfirstlane_b32 s15, v2
	s_mul_i32 s14, s0, s12
	s_mul_hi_u32 s16, s0, s15
	s_mul_hi_u32 s13, s0, s12
	s_add_u32 s14, s16, s14
	s_addc_u32 s13, 0, s13
	s_mul_hi_u32 s17, s1, s15
	s_mul_i32 s15, s1, s15
	s_add_u32 s14, s14, s15
	s_mul_hi_u32 s16, s1, s12
	s_addc_u32 s13, s13, s17
	s_addc_u32 s14, s16, 0
	s_mul_i32 s12, s1, s12
	s_add_u32 s12, s13, s12
	s_addc_u32 s13, 0, s14
	s_add_u32 s14, s12, 1
	s_addc_u32 s15, s13, 0
	s_add_u32 s16, s12, 2
	s_mul_i32 s18, s21, s13
	s_mul_hi_u32 s19, s21, s12
	s_addc_u32 s17, s13, 0
	s_add_i32 s19, s19, s18
	s_mul_i32 s18, s21, s12
	v_mov_b32_e32 v2, s18
	v_sub_co_u32_e32 v2, vcc, s0, v2
	s_cmp_lg_u64 vcc, 0
	s_subb_u32 s0, s1, s19
	v_subrev_co_u32_e32 v4, vcc, s21, v2
	s_cmp_lg_u64 vcc, 0
	s_subb_u32 s1, s0, 0
	v_readfirstlane_b32 s18, v4
	s_cmp_ge_u32 s18, s21
	s_cselect_b32 s18, -1, 0
	s_cmp_eq_u32 s1, 0
	s_cselect_b32 s1, s18, -1
	s_cmp_lg_u32 s1, 0
	s_cselect_b32 s1, s17, s15
	v_readfirstlane_b32 s15, v2
	s_cselect_b32 s14, s16, s14
	s_cmp_ge_u32 s15, s21
	s_cselect_b32 s15, -1, 0
	s_cmp_eq_u32 s0, 0
	s_cselect_b32 s0, s15, -1
	s_cmp_lg_u32 s0, 0
	s_cselect_b32 s1, s1, s13
	s_cselect_b32 s0, s14, s12
	s_xor_b64 s[0:1], s[0:1], s[10:11]
	s_sub_u32 s52, s0, s10
	s_branch .LBB14_3
.LBB14_2:
	s_mov_b64 s[2:3], -1
                                        ; implicit-def: $sgpr52_sgpr53
.LBB14_3:
	s_load_dwordx2 s[0:1], s[4:5], 0x74
	v_cvt_f32_u32_e32 v2, s21
	s_andn2_b64 vcc, exec, s[2:3]
	s_waitcnt lgkmcnt(0)
	v_writelane_b32 v217, s0, 6
	v_writelane_b32 v217, s1, 7
	s_cbranch_vccnz .LBB14_5
; %bb.4:
	v_rcp_iflag_f32_e32 v4, v2
	s_sub_i32 s0, 0, s21
	v_mul_f32_e32 v4, 0x4f7ffffe, v4
	v_cvt_u32_f32_e32 v4, v4
	v_readfirstlane_b32 s1, v4
	s_mul_i32 s0, s0, s1
	s_mul_hi_u32 s0, s1, s0
	s_add_i32 s1, s1, s0
	s_mul_hi_u32 s0, s9, s1
	s_mul_i32 s2, s0, s21
	s_sub_i32 s2, s9, s2
	s_add_i32 s1, s0, 1
	s_sub_i32 s3, s2, s21
	s_cmp_ge_u32 s2, s21
	s_cselect_b32 s0, s1, s0
	s_cselect_b32 s2, s3, s2
	s_add_i32 s1, s0, 1
	s_cmp_ge_u32 s2, s21
	s_cselect_b32 s52, s1, s0
.LBB14_5:
	s_add_i32 s0, s20, 1
	s_mul_i32 s1, s8, s0
	s_mul_hi_u32 s2, s6, s0
	s_add_i32 s3, s2, s1
	s_mov_b32 s2, 0
	s_cmp_lg_u64 s[2:3], 0
	s_mul_i32 s2, s6, s0
	s_cbranch_scc0 .LBB14_7
; %bb.6:
	v_madmk_f32 v1, v3, 0x4f800000, v1
	v_rcp_f32_e32 v1, v1
	s_sub_u32 s6, 0, s21
	s_subb_u32 s8, 0, 0
	s_mov_b64 s[0:1], 0
	v_mul_f32_e32 v1, 0x5f7ffffc, v1
	v_mul_f32_e32 v3, 0x2f800000, v1
	v_trunc_f32_e32 v3, v3
	v_madmk_f32 v1, v3, 0xcf800000, v1
	v_cvt_u32_f32_e32 v3, v3
	v_cvt_u32_f32_e32 v1, v1
	v_readfirstlane_b32 s9, v3
	v_readfirstlane_b32 s10, v1
	s_mul_hi_u32 s12, s6, s10
	s_mul_i32 s13, s6, s9
	s_mul_i32 s11, s8, s10
	s_add_i32 s12, s12, s13
	s_add_i32 s12, s12, s11
	s_mul_i32 s14, s6, s10
	s_mul_hi_u32 s11, s10, s12
	s_mul_i32 s13, s10, s12
	s_mul_hi_u32 s10, s10, s14
	s_add_u32 s10, s10, s13
	s_addc_u32 s11, 0, s11
	s_mul_hi_u32 s15, s9, s14
	s_mul_i32 s14, s9, s14
	s_add_u32 s10, s10, s14
	s_mul_hi_u32 s13, s9, s12
	s_addc_u32 s10, s11, s15
	s_addc_u32 s11, s13, 0
	s_mul_i32 s12, s9, s12
	s_add_u32 s10, s10, s12
	s_addc_u32 s11, 0, s11
	v_add_co_u32_e32 v1, vcc, s10, v1
	s_cmp_lg_u64 vcc, 0
	s_addc_u32 s9, s9, s11
	v_readfirstlane_b32 s11, v1
	s_mul_i32 s10, s6, s9
	s_mul_hi_u32 s12, s6, s11
	s_add_i32 s10, s12, s10
	s_mul_i32 s8, s8, s11
	s_add_i32 s10, s10, s8
	s_mul_i32 s6, s6, s11
	s_mul_hi_u32 s12, s9, s6
	s_mul_i32 s13, s9, s6
	s_mul_i32 s15, s11, s10
	s_mul_hi_u32 s6, s11, s6
	s_mul_hi_u32 s14, s11, s10
	s_add_u32 s6, s6, s15
	s_addc_u32 s11, 0, s14
	s_add_u32 s6, s6, s13
	s_mul_hi_u32 s8, s9, s10
	s_addc_u32 s6, s11, s12
	s_addc_u32 s8, s8, 0
	s_mul_i32 s10, s9, s10
	s_add_u32 s6, s6, s10
	s_addc_u32 s8, 0, s8
	v_add_co_u32_e32 v1, vcc, s6, v1
	s_cmp_lg_u64 vcc, 0
	s_addc_u32 s6, s9, s8
	s_ashr_i32 s8, s3, 31
	s_add_u32 s10, s2, s8
	s_mov_b32 s9, s8
	s_addc_u32 s11, s3, s8
	s_xor_b64 s[10:11], s[10:11], s[8:9]
	v_readfirstlane_b32 s13, v1
	s_mul_i32 s12, s10, s6
	s_mul_hi_u32 s14, s10, s13
	s_mul_hi_u32 s3, s10, s6
	s_add_u32 s12, s14, s12
	s_addc_u32 s3, 0, s3
	s_mul_hi_u32 s15, s11, s13
	s_mul_i32 s13, s11, s13
	s_add_u32 s12, s12, s13
	s_mul_hi_u32 s14, s11, s6
	s_addc_u32 s3, s3, s15
	s_addc_u32 s12, s14, 0
	s_mul_i32 s6, s11, s6
	s_add_u32 s3, s3, s6
	s_addc_u32 s6, 0, s12
	s_add_u32 s12, s3, 1
	s_addc_u32 s13, s6, 0
	s_add_u32 s14, s3, 2
	s_mul_i32 s16, s21, s6
	s_mul_hi_u32 s17, s21, s3
	s_addc_u32 s15, s6, 0
	s_add_i32 s17, s17, s16
	s_mul_i32 s16, s21, s3
	v_mov_b32_e32 v1, s16
	v_sub_co_u32_e32 v1, vcc, s10, v1
	s_cmp_lg_u64 vcc, 0
	s_subb_u32 s10, s11, s17
	v_subrev_co_u32_e32 v3, vcc, s21, v1
	s_cmp_lg_u64 vcc, 0
	s_subb_u32 s11, s10, 0
	v_readfirstlane_b32 s16, v3
	s_cmp_ge_u32 s16, s21
	s_cselect_b32 s16, -1, 0
	s_cmp_eq_u32 s11, 0
	s_cselect_b32 s11, s16, -1
	s_cmp_lg_u32 s11, 0
	s_cselect_b32 s11, s15, s13
	v_readfirstlane_b32 s13, v1
	s_cselect_b32 s12, s14, s12
	s_cmp_ge_u32 s13, s21
	s_cselect_b32 s13, -1, 0
	s_cmp_eq_u32 s10, 0
	s_cselect_b32 s10, s13, -1
	s_cmp_lg_u32 s10, 0
	s_cselect_b32 s11, s11, s6
	s_cselect_b32 s10, s12, s3
	s_xor_b64 s[10:11], s[10:11], s[8:9]
	s_sub_u32 s56, s10, s8
	s_branch .LBB14_8
.LBB14_7:
	s_mov_b64 s[0:1], -1
                                        ; implicit-def: $sgpr56_sgpr57
.LBB14_8:
	s_load_dwordx2 s[8:9], s[4:5], 0x5c
	v_writelane_b32 v217, s20, 8
	s_andn2_b64 vcc, exec, s[0:1]
	s_waitcnt lgkmcnt(0)
	v_writelane_b32 v217, s8, 9
	v_writelane_b32 v217, s9, 10
	s_cbranch_vccnz .LBB14_10
; %bb.9:
	v_rcp_iflag_f32_e32 v1, v2
	s_sub_i32 s0, 0, s21
	v_mul_f32_e32 v1, 0x4f7ffffe, v1
	v_cvt_u32_f32_e32 v1, v1
	v_readfirstlane_b32 s1, v1
	s_mul_i32 s0, s0, s1
	s_mul_hi_u32 s0, s1, s0
	s_add_i32 s1, s1, s0
	s_mul_hi_u32 s0, s2, s1
	s_mul_i32 s3, s0, s21
	s_sub_i32 s2, s2, s3
	s_add_i32 s1, s0, 1
	s_sub_i32 s3, s2, s21
	s_cmp_ge_u32 s2, s21
	s_cselect_b32 s0, s1, s0
	s_cselect_b32 s2, s3, s2
	s_add_i32 s1, s0, 1
	s_cmp_ge_u32 s2, s21
	s_cselect_b32 s56, s1, s0
.LBB14_10:
	v_writelane_b32 v217, s21, 11
	s_load_dwordx16 s[12:27], s[4:5], 0x0
	s_load_dword s1, s[4:5], 0x40
	s_load_dwordx2 s[8:9], s[4:5], 0x8c
	s_load_dwordx4 s[36:39], s[4:5], 0x98
	s_load_dwordx2 s[2:3], s[4:5], 0xa8
	s_abs_i32 s57, s7
	v_cvt_f32_u32_e32 v1, s57
	s_ashr_i32 s53, s31, 3
	s_waitcnt lgkmcnt(0)
	s_ashr_i32 s34, s8, 2
	v_writelane_b32 v217, s2, 12
	v_writelane_b32 v217, s3, 13
	s_load_dwordx2 s[60:61], s[4:5], 0xb8
	s_load_dwordx2 s[2:3], s[4:5], 0xc8
	v_rcp_iflag_f32_e32 v1, v1
	s_ashr_i32 s30, s38, 2
	s_ashr_i32 s0, s52, 31
	s_waitcnt lgkmcnt(0)
	s_ashr_i32 s42, s61, 1
	v_writelane_b32 v217, s2, 14
	v_writelane_b32 v217, s3, 15
	v_mul_f32_e32 v1, 0x4f7ffffe, v1
	v_readlane_b32 s2, v217, 6
	v_cvt_u32_f32_e32 v1, v1
	v_readlane_b32 s3, v217, 7
	s_mov_b32 s3, s9
	s_ashr_i32 s46, s2, 3
	v_writelane_b32 v217, s2, 16
	v_writelane_b32 v217, s3, 17
	s_sub_i32 s3, 0, s57
	v_readfirstlane_b32 s4, v1
	s_mul_i32 s3, s3, s4
	s_ashr_i32 s2, s7, 31
	s_mul_hi_u32 s3, s4, s3
	v_writelane_b32 v217, s2, 18
	s_abs_i32 s2, s52
	s_add_i32 s51, s4, s3
	s_mul_hi_u32 s3, s2, s51
	s_mul_i32 s3, s3, s57
	s_sub_i32 s2, s2, s3
	s_sub_i32 s3, s2, s57
	s_cmp_ge_u32 s2, s57
	s_cselect_b32 s2, s3, s2
	s_sub_i32 s3, s2, s57
	s_cmp_ge_u32 s2, s57
	s_cselect_b32 s2, s3, s2
	s_xor_b32 s2, s2, s0
	s_sub_i32 s72, s2, s0
	s_sub_i32 s0, s56, s52
	s_add_i32 s6, s0, s72
	s_min_i32 s0, s7, s6
	s_cmp_gt_i32 s56, s52
	s_cselect_b64 s[2:3], -1, 0
	s_cmp_le_i32 s56, s52
	v_cvt_f16_f32_e32 v1, s1
	s_cselect_b64 s[4:5], -1, 0
	s_cmp_gt_i32 s7, s6
	s_cselect_b64 s[8:9], -1, 0
	s_or_b64 s[4:5], s[8:9], s[4:5]
	s_mov_b32 s59, 0
	s_and_b64 vcc, exec, s[4:5]
	v_bfe_u32 v37, v0, 10, 10
	v_pack_b32_f16 v47, v1, v1
	v_writelane_b32 v217, s46, 19
	s_cbranch_vccz .LBB14_13
; %bb.11:
	s_andn2_b64 vcc, exec, s[2:3]
	s_cbranch_vccz .LBB14_259
.LBB14_12:
	s_endpgm
.LBB14_13:
	s_cmp_eq_u64 s[20:21], 0
	v_and_b32_e32 v1, 0x3ff, v0
	s_cselect_b64 s[2:3], -1, 0
	v_lshrrev_b32_e32 v2, 5, v1
	v_lshrrev_b32_e32 v3, 3, v1
	v_writelane_b32 v217, s2, 20
	s_cmp_lg_u64 s[22:23], 0
	v_lshl_add_u32 v49, v37, 1, v2
	v_lshrrev_b32_e32 v2, 4, v1
	v_and_b32_e32 v26, 15, v1
	v_lshlrev_b32_e32 v13, 2, v3
	v_writelane_b32 v217, s3, 21
	s_cselect_b64 s[2:3], -1, 0
	v_lshl_add_u32 v11, v37, 2, v2
	v_mul_u32_u24_e32 v2, 0xd0, v26
	v_and_b32_e32 v4, 0x78, v13
	v_writelane_b32 v217, s2, 22
	v_add3_u32 v51, 0, v2, v4
	v_lshlrev_b32_e32 v18, 4, v37
	v_lshrrev_b32_e32 v19, 2, v1
	v_lshlrev_b32_e32 v2, 2, v1
	v_writelane_b32 v217, s3, 23
	s_movk_i32 s2, 0xd0
	v_add_u32_e32 v20, v18, v19
	v_and_b32_e32 v10, 12, v2
	v_mul_lo_u32 v14, s34, v20
	v_lshl_add_u32 v6, v37, 3, v3
	v_and_b32_e32 v12, 28, v2
	v_and_b32_e32 v22, 60, v19
	v_and_or_b32 v7, v1, 12, v18
	v_mul_lo_u32 v16, s30, v20
	v_mad_u32_u24 v20, v20, s2, 0
	v_lshlrev_b32_e32 v25, 2, v10
	s_movk_i32 s6, 0x80
	s_movk_i32 s3, 0x90
	v_mul_u32_u24_e32 v21, 0xd0, v6
	v_lshrrev_b32_e32 v23, 2, v7
	v_mul_u32_u24_e32 v24, 0x68, v22
	v_add3_u32 v59, v20, v25, s6
	v_lshlrev_b32_e32 v20, 2, v12
	v_or_b32_e32 v24, v24, v26
	v_or_b32_e32 v19, 3, v19
	v_add3_u32 v67, 0, v21, v20
	v_mad_u32_u24 v20, v23, s3, 0
	v_or_b32_e32 v13, 4, v13
	v_lshl_add_u32 v80, v26, 1, 0
	v_add_u32_e32 v73, v20, v13
	v_lshlrev_b32_e32 v13, 1, v24
	v_mad_u32_u24 v81, v22, s2, v80
	v_mad_u32_u24 v82, v19, s2, v80
	s_add_i32 s2, 0, 0xd00
	v_add_u32_e32 v83, s2, v13
	s_add_i32 s2, 0, 0x1a00
	v_add_u32_e32 v84, s2, v13
	;; [unrolled: 2-line block ×10, first 2 shown]
	s_add_i32 s2, 0, 0xd60
	v_readlane_b32 s40, v217, 8
	v_add_u32_e32 v95, s2, v13
	s_add_i32 s2, 0, 0x1a60
	s_lshl_b32 s58, s40, 6
	s_ashr_i32 s43, s42, 31
	s_ashr_i32 s35, s34, 31
	;; [unrolled: 1-line block ×3, first 2 shown]
	v_add_u32_e32 v96, s2, v13
	s_add_i32 s38, 0, 0x2760
	s_add_i32 s2, 0, 0x80
	;; [unrolled: 1-line block ×9, first 2 shown]
	s_lshl_b64 s[40:41], s[58:59], 3
	s_add_u32 s40, s26, s40
	v_readlane_b32 s50, v217, 3
	s_addc_u32 s41, s27, s41
	s_abs_i32 s64, s50
	v_mul_u32_u24_e32 v55, 0xd0, v19
	v_cvt_f32_u32_e32 v19, s64
	v_readlane_b32 s48, v217, 2
	s_abs_i32 s65, s48
	v_mul_u32_u24_e32 v53, 0xd0, v22
	v_rcp_iflag_f32_e32 v19, v19
	v_lshl_add_u32 v69, v22, 1, v20
	v_cvt_f32_u32_e32 v22, s65
	v_or_b32_e32 v18, v18, v1
	v_lshlrev_b32_e32 v20, 3, v18
	v_readlane_b32 s47, v217, 1
	v_mov_b32_e32 v21, s41
	v_add_co_u32_e32 v30, vcc, s40, v20
	v_mul_f32_e32 v19, 0x4f7ffffe, v19
	s_abs_i32 s49, s47
	s_abs_i32 s55, s60
	v_addc_co_u32_e32 v31, vcc, 0, v21, vcc
	v_cvt_u32_f32_e32 v19, v19
	v_rcp_iflag_f32_e32 v20, v22
	v_cvt_f32_u32_e32 v21, s49
	v_cvt_f32_u32_e32 v22, s55
	v_readfirstlane_b32 s40, v19
	s_sub_i32 s45, 0, s55
	v_rcp_iflag_f32_e32 v19, v21
	v_rcp_iflag_f32_e32 v21, v22
	v_mul_f32_e32 v20, 0x4f7ffffe, v20
	v_ashrrev_i32_e32 v17, 31, v16
	v_mul_f32_e32 v19, 0x4f7ffffe, v19
	v_mul_f32_e32 v21, 0x4f7ffffe, v21
	v_cvt_u32_f32_e32 v19, v19
	v_cvt_u32_f32_e32 v21, v21
	v_and_b32_e32 v28, 3, v1
	v_cvt_u32_f32_e32 v20, v20
	v_readfirstlane_b32 s44, v19
	v_mul_lo_u32 v19, s45, v21
	v_mul_hi_u32 v19, v21, v19
	v_add_u32_e32 v97, v21, v19
	v_lshlrev_b32_e32 v19, 4, v28
	v_lshlrev_b64 v[32:33], 2, v[16:17]
	v_add_co_u32_e32 v16, vcc, v19, v32
	v_addc_co_u32_e32 v17, vcc, 0, v33, vcc
	v_ashrrev_i32_e32 v15, 31, v14
	v_readfirstlane_b32 s41, v20
	v_mov_b32_e32 v20, s17
	v_add_co_u32_e32 v16, vcc, s16, v16
	v_addc_co_u32_e32 v17, vcc, v17, v20, vcc
	v_lshlrev_b64 v[34:35], 2, v[14:15]
	v_add_co_u32_e32 v14, vcc, v19, v34
	v_addc_co_u32_e32 v15, vcc, 0, v35, vcc
	v_add_u32_e32 v100, s2, v13
	v_lshlrev_b32_e32 v101, 2, v12
	v_add_u32_e32 v102, s3, v13
	v_cmp_gt_u32_e64 s[2:3], 16, v1
	v_add_u32_e32 v12, 24, v49
	v_mov_b32_e32 v19, s15
	v_add_co_u32_e32 v14, vcc, s14, v14
	v_writelane_b32 v217, s2, 24
	v_lshrrev_b32_e32 v109, 2, v12
	v_add_u32_e32 v12, 40, v49
	v_add_u32_e32 v75, 0, v13
	v_add3_u32 v86, 0, 32, v13
	v_add3_u32 v90, 0, 64, v13
	v_addc_co_u32_e32 v15, vcc, v15, v19, vcc
	v_add_u32_e32 v98, s38, v13
	v_add_u32_e32 v103, s4, v13
	;; [unrolled: 1-line block ×7, first 2 shown]
	v_writelane_b32 v217, s3, 25
	v_lshrrev_b32_e32 v110, 2, v12
	s_movk_i32 s2, 0x7f0
	v_add_u32_e32 v12, 16, v49
	v_and_b32_e32 v13, 15, v49
	v_add_u32_e32 v19, 32, v49
	v_add_u32_e32 v20, 48, v49
	v_lshrrev_b32_e32 v111, 2, v12
	v_and_or_b32 v12, v12, s2, v13
	v_lshrrev_b32_e32 v112, 2, v19
	v_and_or_b32 v19, v19, s2, v13
	v_and_or_b32 v13, v20, s2, v13
	v_lshrrev_b32_e32 v113, 2, v20
	v_add_u32_e32 v20, 56, v49
	v_lshrrev_b32_e32 v114, 2, v20
	v_mad_u32_u24 v20, v11, 52, v26
	v_lshl_add_u32 v115, v20, 2, 0
	v_lshrrev_b32_e32 v116, 2, v11
	v_mul_u32_u24_e32 v20, 52, v11
	v_add_u32_e32 v21, 16, v11
	v_add_u32_e32 v22, 32, v11
	;; [unrolled: 1-line block ×3, first 2 shown]
	v_and_b32_e32 v11, 15, v11
	s_movk_i32 s2, 0xff0
	v_lshrrev_b32_e32 v117, 2, v21
	v_and_or_b32 v21, v21, s2, v11
	v_lshrrev_b32_e32 v118, 2, v22
	v_and_or_b32 v22, v22, s2, v11
	v_and_or_b32 v11, v23, s2, v11
	s_ashr_i32 s2, s50, 31
	v_writelane_b32 v217, s2, 26
	s_sub_i32 s2, 0, s64
	s_mul_i32 s2, s2, s40
	s_mul_hi_u32 s2, s40, s2
	s_add_i32 s2, s40, s2
	v_writelane_b32 v217, s2, 27
	s_ashr_i32 s2, s48, 31
	v_mul_lo_u32 v2, s34, v6
	v_mul_lo_u32 v6, s30, v6
	v_writelane_b32 v217, s2, 28
	s_sub_i32 s2, 0, s65
	v_ashrrev_i32_e32 v7, 31, v6
	s_mul_i32 s2, s2, s41
	v_add_co_u32_e32 v136, vcc, s6, v16
	v_lshl_add_u32 v8, s30, 5, v6
	s_mul_hi_u32 s2, s41, s2
	v_addc_co_u32_e32 v137, vcc, 0, v17, vcc
	v_lshlrev_b64 v[38:39], 2, v[6:7]
	v_ashrrev_i32_e32 v9, 31, v8
	s_add_i32 s2, s41, s2
	v_mov_b32_e32 v6, s17
	v_add_co_u32_e32 v138, vcc, s16, v38
	v_writelane_b32 v217, s2, 29
	s_ashr_i32 s2, s47, 31
	v_addc_co_u32_e32 v139, vcc, v6, v39, vcc
	v_lshlrev_b64 v[40:41], 2, v[8:9]
	v_writelane_b32 v217, s2, 30
	s_sub_i32 s2, 0, s49
	v_add_co_u32_e32 v140, vcc, s16, v40
	s_mul_i32 s2, s2, s44
	v_addc_co_u32_e32 v141, vcc, v6, v41, vcc
	v_ashrrev_i32_e32 v3, 31, v2
	v_lshrrev_b32_e32 v119, 2, v23
	v_mul_u32_u24_e32 v23, 52, v21
	v_mad_u32_u24 v21, v21, 52, v26
	s_mul_hi_u32 s2, s44, s2
	v_add_co_u32_e32 v142, vcc, s6, v14
	v_lshl_add_u32 v4, s34, 5, v2
	v_lshl_add_u32 v120, v21, 2, 0
	v_mul_u32_u24_e32 v21, 52, v22
	v_mad_u32_u24 v22, v22, 52, v26
	s_add_i32 s2, s44, s2
	v_addc_co_u32_e32 v143, vcc, 0, v15, vcc
	v_lshlrev_b64 v[42:43], 2, v[2:3]
	v_ashrrev_i32_e32 v5, 31, v4
	v_lshl_add_u32 v121, v22, 2, 0
	v_mul_u32_u24_e32 v22, 52, v11
	v_mad_u32_u24 v11, v11, 52, v26
	v_writelane_b32 v217, s2, 31
	s_lshl_b64 s[2:3], s[42:43], 1
	v_mov_b32_e32 v2, s15
	v_add_co_u32_e32 v144, vcc, s14, v42
	v_lshl_add_u32 v122, v11, 2, 0
	v_mul_u32_u24_e32 v11, 0xd0, v18
	v_lshlrev_b32_e32 v18, 1, v1
	v_writelane_b32 v217, s2, 32
	v_addc_co_u32_e32 v145, vcc, v2, v43, vcc
	v_lshlrev_b64 v[44:45], 2, v[4:5]
	v_lshlrev_b32_e32 v99, 2, v10
	v_mul_u32_u24_e32 v10, 52, v49
	v_mul_u32_u24_e32 v12, 52, v12
	;; [unrolled: 1-line block ×4, first 2 shown]
	v_and_b32_e32 v36, 62, v18
	v_writelane_b32 v217, s3, 33
	v_add_co_u32_e32 v146, vcc, s14, v44
	v_bfe_u32 v48, v1, 4, 2
	s_movk_i32 s1, 0xd00
	v_lshlrev_b32_e32 v10, 2, v10
	v_lshlrev_b32_e32 v12, 2, v12
	;; [unrolled: 1-line block ×4, first 2 shown]
	v_lshl_add_u32 v123, v36, 1, 0
	v_addc_co_u32_e32 v147, vcc, v2, v45, vcc
	v_add_u32_e32 v152, 8, v49
	v_and_b32_e32 v2, 7, v1
	v_and_b32_e32 v46, 31, v1
	v_mul_lo_u32 v1, v48, s46
	v_mbcnt_lo_u32_b32 v159, -1, 0
	v_and_b32_e32 v54, 3, v49
	v_writelane_b32 v217, s60, 34
	v_add_u32_e32 v124, v123, v10
	v_add_u32_e32 v125, 0, v10
	;; [unrolled: 1-line block ×8, first 2 shown]
	v_lshl_add_u32 v132, v20, 2, 0
	v_lshl_add_u32 v133, v23, 2, 0
	;; [unrolled: 1-line block ×4, first 2 shown]
	s_lshl_b64 s[66:67], s[30:31], 8
	s_lshl_b64 s[68:69], s[34:35], 8
	s_mov_b32 s43, 0x3fb8aa3b
	s_mov_b32 s63, 0xc2ce8ed0
	;; [unrolled: 1-line block ×5, first 2 shown]
	v_add_u32_e32 v148, 0, v11
	v_mad_u32_u24 v149, v37, s1, v51
	v_mov_b32_e32 v150, 0
	v_mul_u32_u24_e32 v151, 0x90, v49
	v_add_u32_e32 v153, 0x1a00, v67
	v_add_u32_e32 v154, 32, v69
	;; [unrolled: 1-line block ×4, first 2 shown]
	v_lshrrev_b32_e32 v157, 2, v49
	v_lshrrev_b32_e32 v158, 2, v152
	v_add3_u32 v50, v1, v26, 32
	v_lshlrev_b32_e32 v52, 4, v2
	v_mbcnt_hi_u32_b32 v160, -1, v159
	v_mov_b32_e32 v161, 0x7f800000
	v_mad_u64_u32 v[56:57], s[2:3], v54, s46, v[46:47]
	v_lshlrev_b32_e32 v58, 2, v46
	v_writelane_b32 v217, s61, 35
	v_writelane_b32 v217, s51, 36
	s_branch .LBB14_15
.LBB14_14:                              ;   in Loop: Header=BB14_15 Depth=1
	s_or_b64 exec, exec, s[2:3]
	s_add_i32 s0, s52, s7
	s_abs_i32 s2, s0
	s_mul_hi_u32 s3, s2, s51
	s_mul_i32 s3, s3, s57
	s_sub_i32 s2, s2, s3
	s_ashr_i32 s1, s0, 31
	s_sub_i32 s3, s2, s57
	s_cmp_ge_u32 s2, s57
	s_cselect_b32 s2, s3, s2
	s_sub_i32 s3, s2, s57
	s_cmp_ge_u32 s2, s57
	s_cselect_b32 s2, s3, s2
	s_xor_b32 s2, s2, s1
	s_sub_i32 s1, s1, s2
	s_add_i32 s52, s0, s1
	s_sub_i32 s1, s56, s52
	s_min_i32 s0, s7, s1
	s_cmp_gt_i32 s56, s52
	s_cselect_b64 s[2:3], -1, 0
	s_cmp_le_i32 s7, s1
	s_cselect_b64 s[4:5], -1, 0
	s_and_b64 s[4:5], s[4:5], s[2:3]
	s_mov_b32 s72, 0
	s_and_b64 vcc, exec, s[4:5]
	s_cbranch_vccz .LBB14_258
.LBB14_15:                              ; =>This Loop Header: Depth=1
                                        ;     Child Loop BB14_73 Depth 2
                                        ;     Child Loop BB14_190 Depth 2
	s_ashr_i32 s1, s52, 31
	v_readlane_b32 s2, v217, 26
	s_xor_b32 s1, s1, s2
	s_abs_i32 s2, s52
	v_readlane_b32 s3, v217, 27
	s_mul_hi_u32 s3, s2, s3
	s_mul_i32 s4, s3, s64
	s_sub_i32 s2, s2, s4
	s_add_i32 s4, s3, 1
	s_sub_i32 s5, s2, s64
	s_cmp_ge_u32 s2, s64
	s_cselect_b32 s3, s4, s3
	s_cselect_b32 s2, s5, s2
	s_add_i32 s4, s3, 1
	s_cmp_ge_u32 s2, s64
	s_cselect_b32 s2, s4, s3
	s_xor_b32 s2, s2, s1
	s_sub_i32 s4, s2, s1
	v_readlane_b32 s1, v217, 3
	s_mul_i32 s1, s4, s1
	s_sub_i32 s1, s52, s1
	s_ashr_i32 s2, s1, 31
	v_readlane_b32 s3, v217, 28
	s_xor_b32 s2, s2, s3
	s_abs_i32 s3, s1
	v_readlane_b32 s5, v217, 29
	s_mul_hi_u32 s5, s3, s5
	s_mul_i32 s8, s5, s65
	s_sub_i32 s3, s3, s8
	s_add_i32 s8, s5, 1
	s_sub_i32 s9, s3, s65
	s_cmp_ge_u32 s3, s65
	s_cselect_b32 s5, s8, s5
	s_cselect_b32 s3, s9, s3
	s_add_i32 s8, s5, 1
	s_cmp_ge_u32 s3, s65
	s_cselect_b32 s3, s8, s5
	s_xor_b32 s3, s3, s2
	s_sub_i32 s5, s3, s2
	v_readlane_b32 s2, v217, 2
	s_mul_i32 s2, s5, s2
	s_sub_i32 s2, s1, s2
	;; [unrolled: 21-line block ×3, first 2 shown]
	s_ashr_i32 s3, s2, 31
	v_readlane_b32 s8, v217, 18
	s_abs_i32 s2, s2
	s_xor_b32 s3, s3, s8
	s_mul_hi_u32 s8, s2, s51
	s_mul_i32 s9, s8, s57
	s_sub_i32 s2, s2, s9
	s_add_i32 s9, s8, 1
	s_sub_i32 s38, s2, s57
	s_cmp_ge_u32 s2, s57
	s_cselect_b32 s8, s9, s8
	s_cselect_b32 s2, s38, s2
	s_add_i32 s9, s8, 1
	s_cmp_ge_u32 s2, s57
	s_cselect_b32 s2, s9, s8
	v_readlane_b32 s8, v217, 22
	s_xor_b32 s2, s2, s3
	v_readlane_b32 s9, v217, 23
	s_andn2_b64 vcc, exec, s[8:9]
	s_sub_i32 s84, s2, s3
	s_cbranch_vccnz .LBB14_17
; %bb.16:                               ;   in Loop: Header=BB14_15 Depth=1
	v_readlane_b32 s2, v217, 0
	s_mul_i32 s2, s4, s2
	s_add_i32 s2, s84, s2
	s_ashr_i32 s3, s2, 31
	s_lshl_b64 s[2:3], s[2:3], 2
	s_add_u32 s2, s22, s2
	s_addc_u32 s3, s23, s3
	global_load_dword v1, v150, s[2:3]
	s_waitcnt vmcnt(0)
	v_readfirstlane_b32 s2, v1
	s_ashr_i32 s3, s2, 31
	s_lshr_b32 s3, s3, 26
	s_add_i32 s2, s2, s3
	s_ashr_i32 s2, s2, 6
	s_min_i32 s0, s0, s2
.LBB14_17:                              ;   in Loop: Header=BB14_15 Depth=1
	v_readlane_b32 s44, v217, 6
	v_readlane_b32 s45, v217, 7
	s_mul_i32 s2, s5, s33
	s_lshl_b32 s41, s1, 2
	s_mul_i32 s1, s4, s45
	s_add_i32 s8, s41, s2
	s_ashr_i32 s2, s1, 31
	s_add_u32 s1, s12, s1
	s_mul_i32 s3, s8, s44
	s_addc_u32 s2, s13, s2
	s_ashr_i32 s9, s3, 31
	s_add_u32 s83, s1, s3
	s_addc_u32 s40, s2, s9
	s_ashr_i32 s9, s4, 31
	s_mul_i32 s1, s4, s37
	s_mul_hi_u32 s2, s4, s36
	s_add_i32 s1, s2, s1
	s_mul_i32 s2, s9, s36
	v_readlane_b32 s46, v217, 16
	s_add_i32 s1, s1, s2
	s_mul_i32 s44, s4, s36
	v_readlane_b32 s47, v217, 17
	s_add_u32 s2, s14, s44
	s_mul_i32 s45, s5, s47
	s_addc_u32 s3, s15, s1
	s_ashr_i32 s46, s45, 31
	s_add_u32 s51, s2, s45
	s_addc_u32 s38, s3, s46
	s_abs_i32 s2, s4
	v_mul_hi_u32 v1, s2, v97
	v_mul_lo_u32 v1, v1, s55
	v_sub_u32_e32 v1, s2, v1
	s_mul_i32 s47, s28, s29
	v_subrev_u32_e32 v2, s55, v1
	v_cmp_le_u32_e32 vcc, s55, v1
	s_mul_i32 s47, s47, s4
	v_cndmask_b32_e32 v1, v1, v2, vcc
	s_add_i32 s47, s8, s47
	v_subrev_u32_e32 v2, s55, v1
	v_cmp_le_u32_e32 vcc, s55, v1
	s_mul_i32 s58, s47, 48
	v_readlane_b32 s70, v217, 12
	v_cndmask_b32_e32 v1, v1, v2, vcc
	s_lshl_b64 s[60:61], s[58:59], 3
	v_readlane_b32 s71, v217, 13
	v_xor_b32_e32 v1, s9, v1
	s_add_u32 s60, s24, s60
	s_mul_i32 s47, s4, s71
	s_mul_hi_u32 s48, s4, s70
	v_subrev_u32_e32 v2, s9, v1
	s_addc_u32 s61, s25, s61
	s_add_i32 s47, s48, s47
	s_mul_i32 s9, s9, s70
	s_add_i32 s47, s47, s9
	s_mul_i32 s58, s4, s70
	s_add_u32 s4, s16, s58
	s_mul_i32 s48, s5, s39
	s_addc_u32 s9, s17, s47
	s_ashr_i32 s82, s48, 31
	s_add_u32 s62, s4, s48
	v_readlane_b32 s2, v217, 14
	s_addc_u32 s50, s9, s82
	s_ashr_i32 s9, s8, 31
	v_readlane_b32 s3, v217, 15
	s_lshl_b64 s[4:5], s[8:9], 2
	v_ashrrev_i32_e32 v1, 31, v2
	v_mul_lo_u32 v3, v2, s3
	v_mul_hi_u32 v4, v2, s2
	s_add_u32 s8, s20, s4
	v_add_u32_e32 v3, v4, v3
	v_mul_lo_u32 v1, v1, s2
	v_mul_lo_u32 v2, v2, s2
	s_addc_u32 s9, s21, s5
	v_readlane_b32 s4, v217, 20
	v_add_u32_e32 v1, v3, v1
	v_mov_b32_e32 v3, s19
	v_add_co_u32_e64 v60, s[2:3], s18, v2
	v_readlane_b32 s5, v217, 21
	v_addc_co_u32_e64 v162, vcc, v3, v1, s[2:3]
	s_and_b64 s[4:5], s[4:5], exec
	v_or_b32_e32 v27, s41, v54
	s_cselect_b32 s71, 0, s9
	s_cselect_b32 s70, 0, s8
	s_cmp_lg_u32 s72, 0
	v_cmp_gt_i32_e32 vcc, s33, v27
	s_cbranch_scc0 .LBB14_68
; %bb.18:                               ;   in Loop: Header=BB14_15 Depth=1
	s_lshl_b32 s73, s84, 4
	v_add_u32_e32 v79, s73, v157
	v_cmp_le_i32_e64 s[4:5], s28, v79
	s_xor_b64 s[8:9], vcc, -1
	s_or_b64 s[4:5], s[4:5], s[8:9]
	s_and_saveexec_b64 s[74:75], s[4:5]
	s_xor_b64 s[4:5], exec, s[74:75]
	s_cbranch_execz .LBB14_20
; %bb.19:                               ;   in Loop: Header=BB14_15 Depth=1
	ds_write_b32 v124, v150
.LBB14_20:                              ;   in Loop: Header=BB14_15 Depth=1
	s_andn2_saveexec_b64 s[4:5], s[4:5]
	s_cbranch_execz .LBB14_22
; %bb.21:                               ;   in Loop: Header=BB14_15 Depth=1
	v_mad_u64_u32 v[2:3], s[74:75], v79, s53, v[56:57]
	v_ashrrev_i32_e32 v3, 31, v2
	v_lshlrev_b64 v[2:3], 3, v[2:3]
	v_mov_b32_e32 v4, s40
	v_add_co_u32_e32 v2, vcc, s83, v2
	v_addc_co_u32_e32 v3, vcc, v4, v3, vcc
	global_load_dwordx2 v[2:3], v[2:3], off
	s_waitcnt vmcnt(0)
	v_cvt_f16_f32_e32 v2, v2
	v_cvt_f16_f32_e32 v3, v3
	v_pack_b32_f16 v2, v2, v3
	v_pk_mul_f16 v2, v47, v2
	ds_write_b32 v124, v2
.LBB14_22:                              ;   in Loop: Header=BB14_15 Depth=1
	s_or_b64 exec, exec, s[4:5]
	v_add_u32_e32 v78, s73, v158
	v_cmp_le_i32_e32 vcc, s28, v78
	s_or_b64 s[4:5], vcc, s[8:9]
	s_and_saveexec_b64 s[74:75], s[4:5]
	s_xor_b64 s[4:5], exec, s[74:75]
	s_cbranch_execz .LBB14_24
; %bb.23:                               ;   in Loop: Header=BB14_15 Depth=1
	ds_write_b32 v124, v150 offset:1664
.LBB14_24:                              ;   in Loop: Header=BB14_15 Depth=1
	s_andn2_saveexec_b64 s[4:5], s[4:5]
	s_cbranch_execz .LBB14_26
; %bb.25:                               ;   in Loop: Header=BB14_15 Depth=1
	v_mad_u64_u32 v[2:3], s[74:75], v78, s53, v[56:57]
	v_ashrrev_i32_e32 v3, 31, v2
	v_lshlrev_b64 v[2:3], 3, v[2:3]
	v_mov_b32_e32 v4, s40
	v_add_co_u32_e32 v2, vcc, s83, v2
	v_addc_co_u32_e32 v3, vcc, v4, v3, vcc
	global_load_dwordx2 v[2:3], v[2:3], off
	s_waitcnt vmcnt(0)
	v_cvt_f16_f32_e32 v2, v2
	v_cvt_f16_f32_e32 v3, v3
	v_pack_b32_f16 v2, v2, v3
	v_pk_mul_f16 v2, v47, v2
	ds_write_b32 v124, v2 offset:1664
.LBB14_26:                              ;   in Loop: Header=BB14_15 Depth=1
	s_or_b64 exec, exec, s[4:5]
	v_add_u32_e32 v77, s73, v111
	v_cmp_le_i32_e32 vcc, s28, v77
	s_or_b64 s[4:5], vcc, s[8:9]
	s_and_saveexec_b64 s[74:75], s[4:5]
	s_xor_b64 s[4:5], exec, s[74:75]
	s_cbranch_execz .LBB14_28
; %bb.27:                               ;   in Loop: Header=BB14_15 Depth=1
	ds_write_b32 v124, v150 offset:3328
.LBB14_28:                              ;   in Loop: Header=BB14_15 Depth=1
	s_andn2_saveexec_b64 s[4:5], s[4:5]
	s_cbranch_execz .LBB14_30
; %bb.29:                               ;   in Loop: Header=BB14_15 Depth=1
	v_mad_u64_u32 v[2:3], s[74:75], v77, s53, v[56:57]
	v_ashrrev_i32_e32 v3, 31, v2
	v_lshlrev_b64 v[2:3], 3, v[2:3]
	v_mov_b32_e32 v4, s40
	v_add_co_u32_e32 v2, vcc, s83, v2
	v_addc_co_u32_e32 v3, vcc, v4, v3, vcc
	global_load_dwordx2 v[2:3], v[2:3], off
	s_waitcnt vmcnt(0)
	v_cvt_f16_f32_e32 v2, v2
	v_cvt_f16_f32_e32 v3, v3
	v_pack_b32_f16 v2, v2, v3
	v_pk_mul_f16 v2, v47, v2
	ds_write_b32 v124, v2 offset:3328
.LBB14_30:                              ;   in Loop: Header=BB14_15 Depth=1
	;; [unrolled: 27-line block ×7, first 2 shown]
	s_or_b64 exec, exec, s[4:5]
	v_or_b32_e32 v70, s41, v48
	v_add_u32_e32 v66, s73, v116
	v_cmp_gt_i32_e64 s[4:5], s33, v70
	v_cmp_le_i32_e32 vcc, s28, v66
	s_xor_b64 s[4:5], s[4:5], -1
	s_or_b64 s[8:9], vcc, s[4:5]
	s_and_saveexec_b64 s[74:75], s[8:9]
	s_xor_b64 s[8:9], exec, s[74:75]
	s_cbranch_execz .LBB14_52
; %bb.51:                               ;   in Loop: Header=BB14_15 Depth=1
	ds_write_b32 v115, v150 offset:128
.LBB14_52:                              ;   in Loop: Header=BB14_15 Depth=1
	s_andn2_saveexec_b64 s[8:9], s[8:9]
	s_cbranch_execz .LBB14_54
; %bb.53:                               ;   in Loop: Header=BB14_15 Depth=1
	v_mad_u64_u32 v[2:3], s[74:75], v66, s53, v[50:51]
	v_ashrrev_i32_e32 v3, 31, v2
	v_lshlrev_b64 v[2:3], 3, v[2:3]
	v_mov_b32_e32 v4, s40
	v_add_co_u32_e32 v2, vcc, s83, v2
	v_addc_co_u32_e32 v3, vcc, v4, v3, vcc
	global_load_dwordx2 v[2:3], v[2:3], off
	s_waitcnt vmcnt(0)
	v_cvt_f16_f32_e32 v2, v2
	v_cvt_f16_f32_e32 v3, v3
	v_pack_b32_f16 v2, v2, v3
	v_pk_mul_f16 v2, v47, v2
	ds_write_b32 v115, v2 offset:128
.LBB14_54:                              ;   in Loop: Header=BB14_15 Depth=1
	s_or_b64 exec, exec, s[8:9]
	v_add_u32_e32 v61, s73, v117
	v_cmp_le_i32_e32 vcc, s28, v61
	s_or_b64 s[8:9], vcc, s[4:5]
	s_and_saveexec_b64 s[74:75], s[8:9]
	s_xor_b64 s[8:9], exec, s[74:75]
	s_cbranch_execz .LBB14_56
; %bb.55:                               ;   in Loop: Header=BB14_15 Depth=1
	ds_write_b32 v115, v150 offset:3456
.LBB14_56:                              ;   in Loop: Header=BB14_15 Depth=1
	s_andn2_saveexec_b64 s[8:9], s[8:9]
	s_cbranch_execz .LBB14_58
; %bb.57:                               ;   in Loop: Header=BB14_15 Depth=1
	v_mad_u64_u32 v[2:3], s[74:75], v61, s53, v[50:51]
	v_ashrrev_i32_e32 v3, 31, v2
	v_lshlrev_b64 v[2:3], 3, v[2:3]
	v_mov_b32_e32 v4, s40
	v_add_co_u32_e32 v2, vcc, s83, v2
	v_addc_co_u32_e32 v3, vcc, v4, v3, vcc
	global_load_dwordx2 v[2:3], v[2:3], off
	s_waitcnt vmcnt(0)
	v_cvt_f16_f32_e32 v2, v2
	v_cvt_f16_f32_e32 v3, v3
	v_pack_b32_f16 v2, v2, v3
	v_pk_mul_f16 v2, v47, v2
	ds_write_b32 v115, v2 offset:3456
.LBB14_58:                              ;   in Loop: Header=BB14_15 Depth=1
	s_or_b64 exec, exec, s[8:9]
	v_add_u32_e32 v29, s73, v118
	v_cmp_le_i32_e32 vcc, s28, v29
	;; [unrolled: 27-line block ×3, first 2 shown]
	s_or_b64 s[4:5], vcc, s[4:5]
	s_and_saveexec_b64 s[8:9], s[4:5]
	s_xor_b64 s[4:5], exec, s[8:9]
	s_cbranch_execz .LBB14_64
; %bb.63:                               ;   in Loop: Header=BB14_15 Depth=1
	ds_write_b32 v115, v150 offset:10112
.LBB14_64:                              ;   in Loop: Header=BB14_15 Depth=1
	s_andn2_saveexec_b64 s[4:5], s[4:5]
	s_cbranch_execz .LBB14_66
; %bb.65:                               ;   in Loop: Header=BB14_15 Depth=1
	v_mad_u64_u32 v[2:3], s[8:9], v57, s53, v[50:51]
	v_ashrrev_i32_e32 v3, 31, v2
	v_lshlrev_b64 v[2:3], 3, v[2:3]
	v_mov_b32_e32 v4, s40
	v_add_co_u32_e32 v2, vcc, s83, v2
	v_addc_co_u32_e32 v3, vcc, v4, v3, vcc
	global_load_dwordx2 v[2:3], v[2:3], off
	s_waitcnt vmcnt(0)
	v_cvt_f16_f32_e32 v2, v2
	v_cvt_f16_f32_e32 v3, v3
	v_pack_b32_f16 v2, v2, v3
	v_pk_mul_f16 v2, v47, v2
	ds_write_b32 v115, v2 offset:10112
.LBB14_66:                              ;   in Loop: Header=BB14_15 Depth=1
	s_or_b64 exec, exec, s[4:5]
	s_waitcnt lgkmcnt(0)
	s_barrier
	ds_read2_b64 v[10:13], v149 offset1:4
	ds_read2_b64 v[6:9], v149 offset0:8 offset1:12
	ds_read2_b64 v[2:5], v149 offset0:16 offset1:20
	s_add_i32 s8, s0, -1
	v_add_u32_e32 v15, s73, v49
	v_add_u32_e32 v14, s73, v152
	v_readlane_b32 s74, v217, 9
	s_cmp_gt_i32 s8, s72
	v_readlane_b32 s75, v217, 10
	v_mul_hi_u32 v17, s74, v15
	v_mul_hi_u32 v16, s74, v14
	s_waitcnt lgkmcnt(0)
	s_barrier
	s_cbranch_scc1 .LBB14_70
; %bb.67:                               ;   in Loop: Header=BB14_15 Depth=1
	v_add_u32_e32 v18, v15, v17
	v_lshrrev_b32_e32 v18, s75, v18
	v_mul_lo_u32 v18, v18, s28
	v_sub_u32_e32 v18, v15, v18
	v_mad_i64_i32 v[62:63], s[4:5], v18, s42, 0
	v_add_u32_e32 v18, v14, v16
	v_lshrrev_b32_e32 v18, s75, v18
	v_mul_lo_u32 v18, v18, s28
	v_sub_u32_e32 v18, v14, v18
	v_mad_i64_i32 v[64:65], s[4:5], v18, s42, 0
	v_and_b32_e32 v18, 64, v160
	s_mov_b32 s9, 0
	v_add_u32_e32 v163, 64, v18
	v_xor_b32_e32 v164, 32, v160
	v_xor_b32_e32 v165, 16, v160
	s_mov_b64 s[4:5], 0
	s_mov_b32 s73, 0xfeffffff
	s_branch .LBB14_71
.LBB14_68:                              ;   in Loop: Header=BB14_15 Depth=1
	s_mov_b64 s[8:9], 0
                                        ; implicit-def: $vgpr2_vgpr3
                                        ; implicit-def: $vgpr57
	s_cbranch_execnz .LBB14_137
.LBB14_69:                              ;   in Loop: Header=BB14_15 Depth=1
	v_readlane_b32 s51, v217, 36
	s_and_saveexec_b64 s[2:3], s[8:9]
	s_cbranch_execz .LBB14_14
	s_branch .LBB14_257
.LBB14_70:                              ;   in Loop: Header=BB14_15 Depth=1
	s_mov_b64 s[4:5], -1
                                        ; implicit-def: $sgpr9
                                        ; implicit-def: $sgpr73
                                        ; implicit-def: $vgpr62_vgpr63
                                        ; implicit-def: $vgpr64_vgpr65
                                        ; implicit-def: $vgpr163
                                        ; implicit-def: $vgpr164
                                        ; implicit-def: $vgpr165
.LBB14_71:                              ;   in Loop: Header=BB14_15 Depth=1
	s_andn2_b64 vcc, exec, s[4:5]
	v_mov_b32_e32 v181, s9
	v_mov_b32_e32 v23, s9
	;; [unrolled: 1-line block ×15, first 2 shown]
	s_cbranch_vccnz .LBB14_74
; %bb.72:                               ;   in Loop: Header=BB14_15 Depth=1
	v_readlane_b32 s74, v217, 9
	v_add_u32_e32 v17, v15, v17
	v_readlane_b32 s75, v217, 10
	v_lshrrev_b32_e32 v17, s75, v17
	v_mul_lo_u32 v17, v17, s28
	v_sub_u32_e32 v15, v15, v17
	v_mad_i64_i32 v[62:63], s[4:5], v15, s42, 0
	v_add_u32_e32 v15, v14, v16
	v_lshrrev_b32_e32 v15, s75, v15
	v_mul_lo_u32 v15, v15, s28
	v_lshlrev_b32_e32 v18, 1, v36
	v_sub_u32_e32 v14, v14, v15
	v_mbcnt_hi_u32_b32 v166, -1, v159
	v_add_co_u32_e32 v167, vcc, v60, v18
	v_mad_i64_i32 v[64:65], s[4:5], v14, s42, 0
	v_and_b32_e32 v14, 64, v166
	v_addc_co_u32_e32 v168, vcc, 0, v162, vcc
	v_add_u32_e32 v163, 64, v14
	v_xor_b32_e32 v164, 32, v166
	v_cmp_lt_i32_e32 vcc, v164, v163
	v_xor_b32_e32 v165, 16, v166
	v_cndmask_b32_e32 v14, v166, v164, vcc
	v_cmp_lt_i32_e32 vcc, v165, v163
	v_lshlrev_b32_e32 v169, 2, v14
	v_cndmask_b32_e32 v14, v166, v165, vcc
	v_mov_b32_e32 v177, 0
	v_lshlrev_b32_e32 v170, 2, v14
	s_lshl_b32 s4, s72, 6
	v_mov_b32_e32 v23, 0
	v_mov_b32_e32 v22, 0xfeffffff
	;; [unrolled: 1-line block ×13, first 2 shown]
.LBB14_73:                              ;   Parent Loop BB14_15 Depth=1
                                        ; =>  This Inner Loop Header: Depth=2
	s_ashr_i32 s5, s4, 31
	s_lshl_b64 s[74:75], s[4:5], 1
	s_nop 1
	v_add_co_u32_e32 v16, vcc, s74, v167
	v_mov_b32_e32 v14, s75
	v_addc_co_u32_e32 v17, vcc, v168, v14, vcc
	v_lshlrev_b64 v[14:15], 1, v[62:63]
	v_add_co_u32_e32 v14, vcc, v16, v14
	v_addc_co_u32_e32 v15, vcc, v17, v15, vcc
	global_load_dword v14, v[14:15], off
	v_add_u32_e32 v18, v123, v151
	s_mul_hi_i32 s75, s4, s34
	s_mul_i32 s74, s4, s34
	s_lshl_b64 s[74:75], s[74:75], 2
	s_add_u32 s5, s51, s74
	s_addc_u32 s9, s38, s75
	v_add_u32_e32 v185, 0x800, v51
	v_mov_b32_e32 v184, v22
	v_mov_b32_e32 v183, v23
	v_add_u32_e32 v194, 0x3400, v156
	s_mul_hi_i32 s75, s4, s30
	s_mul_i32 s74, s4, s30
	s_lshl_b64 s[74:75], s[74:75], 2
	s_waitcnt vmcnt(0)
	ds_write_b32 v18, v14 offset:13312
	v_lshlrev_b64 v[14:15], 1, v[64:65]
	v_add_co_u32_e32 v14, vcc, v16, v14
	v_addc_co_u32_e32 v15, vcc, v17, v15, vcc
	global_load_dword v14, v[14:15], off
	v_mov_b32_e32 v15, s9
	s_waitcnt vmcnt(0)
	ds_write_b32 v18, v14 offset:14464
	v_add_co_u32_e32 v14, vcc, s5, v34
	v_addc_co_u32_e32 v15, vcc, v15, v35, vcc
	v_add_co_u32_e32 v14, vcc, v14, v99
	v_addc_co_u32_e32 v15, vcc, 0, v15, vcc
	global_load_dwordx4 v[14:17], v[14:15], off offset:128
	s_waitcnt vmcnt(0)
	ds_write_b128 v59, v[14:17]
	v_add_co_u32_e32 v14, vcc, s5, v42
	v_mov_b32_e32 v15, s9
	v_addc_co_u32_e32 v15, vcc, v15, v43, vcc
	v_add_co_u32_e32 v14, vcc, v14, v101
	v_addc_co_u32_e32 v15, vcc, 0, v15, vcc
	global_load_dwordx4 v[14:17], v[14:15], off
	s_waitcnt vmcnt(0)
	ds_write_b128 v67, v[14:17]
	v_add_co_u32_e32 v14, vcc, s5, v44
	v_mov_b32_e32 v15, s9
	v_addc_co_u32_e32 v15, vcc, v15, v45, vcc
	v_add_co_u32_e32 v14, vcc, v14, v101
	v_addc_co_u32_e32 v15, vcc, 0, v15, vcc
	global_load_dwordx4 v[14:17], v[14:15], off
	s_add_u32 s5, s62, s74
	s_addc_u32 s9, s50, s75
	s_add_i32 s72, s72, 1
	s_add_i32 s4, s4, 64
	s_cmp_lt_i32 s72, s8
	s_waitcnt vmcnt(0)
	ds_write_b128 v153, v[14:17]
	s_waitcnt lgkmcnt(0)
	s_barrier
	ds_read2_b64 v[14:17], v51 offset1:4
	s_waitcnt lgkmcnt(0)
	v_mfma_f32_16x16x16f16 v[18:21], v[14:15], v[10:11], 0
	v_mfma_f32_16x16x16f16 v[14:17], v[16:17], v[12:13], v[18:21]
	s_nop 7
	s_nop 1
	ds_read2_b64 v[18:21], v51 offset0:8 offset1:12
	s_waitcnt lgkmcnt(0)
	v_mfma_f32_16x16x16f16 v[14:17], v[18:19], v[6:7], v[14:17]
	v_mfma_f32_16x16x16f16 v[14:17], v[20:21], v[8:9], v[14:17]
	ds_read2_b64 v[18:21], v51 offset0:16 offset1:20
	s_waitcnt lgkmcnt(0)
	v_mfma_f32_16x16x16f16 v[14:17], v[18:19], v[2:3], v[14:17]
	v_mfma_f32_16x16x16f16 v[14:17], v[20:21], v[4:5], v[14:17]
	;; [unrolled: 4-line block ×3, first 2 shown]
	s_nop 7
	s_nop 1
	ds_read2_b64 v[22:25], v185 offset0:168 offset1:172
	s_waitcnt lgkmcnt(0)
	v_mfma_f32_16x16x16f16 v[18:21], v[22:23], v[6:7], v[18:21]
	v_mfma_f32_16x16x16f16 v[18:21], v[24:25], v[8:9], v[18:21]
	ds_read2_b64 v[22:25], v185 offset0:176 offset1:180
	v_add_u32_e32 v185, 0x1800, v51
	s_waitcnt lgkmcnt(0)
	v_mfma_f32_16x16x16f16 v[18:21], v[22:23], v[2:3], v[18:21]
	v_mfma_f32_16x16x16f16 v[18:21], v[24:25], v[4:5], v[18:21]
	ds_read2_b64 v[22:25], v185 offset0:64 offset1:68
	s_waitcnt lgkmcnt(0)
	v_mfma_f32_16x16x16f16 v[186:189], v[22:23], v[10:11], 0
	v_mfma_f32_16x16x16f16 v[22:25], v[24:25], v[12:13], v[186:189]
	s_nop 7
	s_nop 1
	ds_read2_b64 v[186:189], v185 offset0:72 offset1:76
	s_waitcnt lgkmcnt(0)
	v_mfma_f32_16x16x16f16 v[22:25], v[186:187], v[6:7], v[22:25]
	v_mfma_f32_16x16x16f16 v[22:25], v[188:189], v[8:9], v[22:25]
	ds_read2_b64 v[186:189], v185 offset0:80 offset1:84
	v_add_u32_e32 v185, 0x2000, v51
	s_waitcnt lgkmcnt(0)
	v_mfma_f32_16x16x16f16 v[22:25], v[186:187], v[2:3], v[22:25]
	v_mfma_f32_16x16x16f16 v[22:25], v[188:189], v[4:5], v[22:25]
	ds_read2_b64 v[186:189], v185 offset0:224 offset1:228
	s_waitcnt lgkmcnt(0)
	v_mfma_f32_16x16x16f16 v[190:193], v[186:187], v[10:11], 0
	v_mfma_f32_16x16x16f16 v[186:189], v[188:189], v[12:13], v[190:193]
	s_nop 7
	s_nop 1
	ds_read2_b64 v[190:193], v185 offset0:232 offset1:236
	s_waitcnt lgkmcnt(0)
	v_mfma_f32_16x16x16f16 v[186:189], v[190:191], v[6:7], v[186:189]
	v_mfma_f32_16x16x16f16 v[186:189], v[192:193], v[8:9], v[186:189]
	ds_read2_b64 v[190:193], v185 offset0:240 offset1:244
	s_waitcnt lgkmcnt(0)
	s_barrier
	ds_read_b32 v185, v69 offset:13312
	ds_read_b32 v198, v73 offset:13312
	ds_read2_b32 v[194:195], v194 offset1:1
	s_waitcnt lgkmcnt(0)
	v_cvt_f32_f16_e32 v196, v195
	v_mfma_f32_16x16x16f16 v[186:189], v[190:191], v[2:3], v[186:189]
	v_add_u32_e32 v190, 0x3400, v154
	ds_read2_b32 v[190:191], v190 offset1:1
	v_cvt_f32_f16_sdwa v197, v195 dst_sel:DWORD dst_unused:UNUSED_PAD src0_sel:WORD_1
	v_mfma_f32_16x16x16f16 v[186:189], v[192:193], v[4:5], v[186:189]
	v_add_u32_e32 v192, 0x3400, v155
	ds_read2_b32 v[192:193], v192 offset1:1
	s_waitcnt lgkmcnt(0)
	v_cvt_f32_f16_sdwa v195, v193 dst_sel:DWORD dst_unused:UNUSED_PAD src0_sel:WORD_1
	s_nop 6
	v_pk_add_f32 v[188:189], v[188:189], v[196:197]
	v_cvt_f32_f16_e32 v196, v194
	v_cvt_f32_f16_sdwa v197, v194 dst_sel:DWORD dst_unused:UNUSED_PAD src0_sel:WORD_1
	v_cvt_f32_f16_e32 v194, v193
	v_add_f32_e32 v199, 0x40051340, v188
	v_add_f32_e32 v200, 0x40051340, v189
	v_pk_add_f32 v[186:187], v[186:187], v[196:197]
	v_pk_add_f32 v[24:25], v[24:25], v[194:195]
	v_cvt_f32_f16_e32 v194, v192
	v_cvt_f32_f16_sdwa v195, v192 dst_sel:DWORD dst_unused:UNUSED_PAD src0_sel:WORD_1
	v_add_f32_e32 v201, 0x40051340, v24
	v_add_f32_e32 v202, 0x40051340, v25
	;; [unrolled: 1-line block ×3, first 2 shown]
	v_pk_add_f32 v[192:193], v[22:23], v[194:195]
	v_cvt_f32_f16_e32 v22, v191
	v_cvt_f32_f16_sdwa v23, v191 dst_sel:DWORD dst_unused:UNUSED_PAD src0_sel:WORD_1
	v_add_f32_e32 v194, 0x40051340, v192
	v_add_f32_e32 v195, 0x40051340, v193
	;; [unrolled: 1-line block ×3, first 2 shown]
	v_pk_add_f32 v[20:21], v[20:21], v[22:23]
	v_cvt_f32_f16_e32 v22, v190
	v_cvt_f32_f16_sdwa v23, v190 dst_sel:DWORD dst_unused:UNUSED_PAD src0_sel:WORD_1
	v_add_f32_e32 v191, 0x40051340, v20
	v_add_f32_e32 v203, 0x40051340, v21
	v_pk_add_f32 v[18:19], v[18:19], v[22:23]
	v_cvt_f32_f16_sdwa v23, v198 dst_sel:DWORD dst_unused:UNUSED_PAD src0_sel:WORD_1
	v_cvt_f32_f16_e32 v22, v198
	v_add_f32_e32 v190, 0x40051340, v18
	v_add_f32_e32 v204, 0x40051340, v19
	v_pk_add_f32 v[16:17], v[16:17], v[22:23]
	v_cvt_f32_f16_sdwa v23, v185 dst_sel:DWORD dst_unused:UNUSED_PAD src0_sel:WORD_1
	v_cvt_f32_f16_e32 v22, v185
	v_add_f32_e32 v198, 0x40051340, v16
	v_add_f32_e32 v205, 0x40051340, v17
	v_pk_add_f32 v[14:15], v[14:15], v[22:23]
	v_add_f32_e32 v22, 0x40051340, v14
	v_add_f32_e32 v23, 0x40051340, v15
	v_max3_f32 v22, v184, v22, v23
	v_max3_f32 v22, v22, v198, v205
	;; [unrolled: 1-line block ×8, first 2 shown]
	ds_bpermute_b32 v23, v169, v22
	s_waitcnt lgkmcnt(0)
	v_max_f32_e32 v23, v23, v23
	v_max_f32_e32 v22, v22, v23
	ds_bpermute_b32 v23, v170, v22
	s_waitcnt lgkmcnt(0)
	v_max_f32_e32 v23, v23, v23
	v_max_f32_e32 v22, v22, v23
	v_pk_add_f32 v[14:15], v[14:15], v[22:23] op_sel_hi:[1,0] neg_lo:[0,1] neg_hi:[0,1]
	v_mul_f32_e32 v23, 0x3fb8aa3b, v15
	v_fma_f32 v185, v15, s43, -v23
	v_rndne_f32_e32 v190, v23
	v_fmac_f32_e32 v185, 0x32a5705f, v15
	v_sub_f32_e32 v23, v23, v190
	v_add_f32_e32 v23, v23, v185
	v_exp_f32_e32 v23, v23
	v_cvt_i32_f32_e32 v185, v190
	v_cmp_ngt_f32_e32 vcc, s63, v15
	v_ldexp_f32 v23, v23, v185
	v_cndmask_b32_e32 v23, 0, v23, vcc
	v_cmp_nlt_f32_e32 vcc, s10, v15
	v_mul_f32_e32 v15, 0x3fb8aa3b, v14
	v_cndmask_b32_e32 v185, v161, v23, vcc
	v_fma_f32 v23, v14, s43, -v15
	v_rndne_f32_e32 v190, v15
	v_fmac_f32_e32 v23, 0x32a5705f, v14
	v_sub_f32_e32 v15, v15, v190
	v_add_f32_e32 v15, v15, v23
	v_exp_f32_e32 v15, v15
	v_cvt_i32_f32_e32 v23, v190
	v_cmp_ngt_f32_e32 vcc, s63, v14
	v_ldexp_f32 v15, v15, v23
	v_cndmask_b32_e32 v15, 0, v15, vcc
	v_cmp_nlt_f32_e32 vcc, s10, v14
	v_cndmask_b32_e32 v190, v161, v15, vcc
	v_pk_add_f32 v[14:15], v[16:17], v[22:23] op_sel_hi:[1,0] neg_lo:[0,1] neg_hi:[0,1]
	v_mul_f32_e32 v16, 0x3fb8aa3b, v15
	v_fma_f32 v17, v15, s43, -v16
	v_rndne_f32_e32 v23, v16
	v_fmac_f32_e32 v17, 0x32a5705f, v15
	v_sub_f32_e32 v16, v16, v23
	v_add_f32_e32 v16, v16, v17
	v_exp_f32_e32 v16, v16
	v_cvt_i32_f32_e32 v17, v23
	v_cmp_ngt_f32_e32 vcc, s63, v15
	v_ldexp_f32 v16, v16, v17
	v_cndmask_b32_e32 v16, 0, v16, vcc
	v_cmp_nlt_f32_e32 vcc, s10, v15
	v_mul_f32_e32 v15, 0x3fb8aa3b, v14
	v_fma_f32 v17, v14, s43, -v15
	v_rndne_f32_e32 v23, v15
	v_fmac_f32_e32 v17, 0x32a5705f, v14
	v_sub_f32_e32 v15, v15, v23
	v_add_f32_e32 v15, v15, v17
	v_exp_f32_e32 v15, v15
	v_cvt_i32_f32_e32 v17, v23
	v_cndmask_b32_e32 v16, v161, v16, vcc
	v_cmp_ngt_f32_e32 vcc, s63, v14
	v_ldexp_f32 v15, v15, v17
	v_cndmask_b32_e32 v15, 0, v15, vcc
	v_cmp_nlt_f32_e32 vcc, s10, v14
	v_cndmask_b32_e32 v17, v161, v15, vcc
	v_pk_add_f32 v[14:15], v[18:19], v[22:23] op_sel_hi:[1,0] neg_lo:[0,1] neg_hi:[0,1]
	v_mul_f32_e32 v18, 0x3fb8aa3b, v15
	v_fma_f32 v19, v15, s43, -v18
	v_rndne_f32_e32 v23, v18
	v_fmac_f32_e32 v19, 0x32a5705f, v15
	v_sub_f32_e32 v18, v18, v23
	v_add_f32_e32 v18, v18, v19
	v_exp_f32_e32 v18, v18
	v_cvt_i32_f32_e32 v19, v23
	v_cmp_ngt_f32_e32 vcc, s63, v15
	v_ldexp_f32 v18, v18, v19
	v_cndmask_b32_e32 v18, 0, v18, vcc
	v_cmp_nlt_f32_e32 vcc, s10, v15
	v_mul_f32_e32 v15, 0x3fb8aa3b, v14
	v_fma_f32 v19, v14, s43, -v15
	v_rndne_f32_e32 v23, v15
	v_fmac_f32_e32 v19, 0x32a5705f, v14
	v_sub_f32_e32 v15, v15, v23
	v_add_f32_e32 v15, v15, v19
	v_exp_f32_e32 v15, v15
	v_cvt_i32_f32_e32 v19, v23
	v_cndmask_b32_e32 v18, v161, v18, vcc
	v_cmp_ngt_f32_e32 vcc, s63, v14
	v_ldexp_f32 v15, v15, v19
	v_cndmask_b32_e32 v15, 0, v15, vcc
	v_cmp_nlt_f32_e32 vcc, s10, v14
	v_cndmask_b32_e32 v19, v161, v15, vcc
	v_pk_add_f32 v[14:15], v[20:21], v[22:23] op_sel_hi:[1,0] neg_lo:[0,1] neg_hi:[0,1]
	v_mul_f32_e32 v20, 0x3fb8aa3b, v15
	v_fma_f32 v21, v15, s43, -v20
	v_rndne_f32_e32 v23, v20
	v_fmac_f32_e32 v21, 0x32a5705f, v15
	v_sub_f32_e32 v20, v20, v23
	v_add_f32_e32 v20, v20, v21
	v_exp_f32_e32 v20, v20
	v_cvt_i32_f32_e32 v21, v23
	v_cmp_ngt_f32_e32 vcc, s63, v15
	v_ldexp_f32 v20, v20, v21
	v_cndmask_b32_e32 v20, 0, v20, vcc
	v_cmp_nlt_f32_e32 vcc, s10, v15
	v_mul_f32_e32 v15, 0x3fb8aa3b, v14
	v_cndmask_b32_e32 v191, v161, v20, vcc
	v_fma_f32 v20, v14, s43, -v15
	v_rndne_f32_e32 v21, v15
	v_fmac_f32_e32 v20, 0x32a5705f, v14
	v_sub_f32_e32 v15, v15, v21
	v_add_f32_e32 v15, v15, v20
	v_exp_f32_e32 v15, v15
	v_cvt_i32_f32_e32 v20, v21
	v_cmp_ngt_f32_e32 vcc, s63, v14
	v_ldexp_f32 v15, v15, v20
	v_cndmask_b32_e32 v15, 0, v15, vcc
	v_cmp_nlt_f32_e32 vcc, s10, v14
	v_cndmask_b32_e32 v194, v161, v15, vcc
	v_pk_add_f32 v[14:15], v[192:193], v[22:23] op_sel_hi:[1,0] neg_lo:[0,1] neg_hi:[0,1]
	v_mul_f32_e32 v20, 0x3fb8aa3b, v15
	v_fma_f32 v21, v15, s43, -v20
	v_rndne_f32_e32 v23, v20
	v_fmac_f32_e32 v21, 0x32a5705f, v15
	v_sub_f32_e32 v20, v20, v23
	v_add_f32_e32 v20, v20, v21
	v_exp_f32_e32 v20, v20
	v_cvt_i32_f32_e32 v21, v23
	v_cmp_ngt_f32_e32 vcc, s63, v15
	v_ldexp_f32 v20, v20, v21
	v_cndmask_b32_e32 v20, 0, v20, vcc
	v_cmp_nlt_f32_e32 vcc, s10, v15
	v_mul_f32_e32 v15, 0x3fb8aa3b, v14
	v_cndmask_b32_e32 v192, v161, v20, vcc
	v_fma_f32 v20, v14, s43, -v15
	v_rndne_f32_e32 v21, v15
	v_fmac_f32_e32 v20, 0x32a5705f, v14
	v_sub_f32_e32 v15, v15, v21
	v_add_f32_e32 v15, v15, v20
	v_exp_f32_e32 v15, v15
	v_cvt_i32_f32_e32 v20, v21
	;; [unrolled: 27-line block ×4, first 2 shown]
	v_cmp_ngt_f32_e32 vcc, s63, v14
	v_ldexp_f32 v15, v15, v20
	v_cndmask_b32_e32 v15, 0, v15, vcc
	v_cmp_nlt_f32_e32 vcc, s10, v14
	v_cndmask_b32_e32 v187, v161, v15, vcc
	v_pk_add_f32 v[14:15], v[188:189], v[22:23] op_sel_hi:[1,0] neg_lo:[0,1] neg_hi:[0,1]
	v_mul_f32_e32 v20, 0x3fb8aa3b, v15
	v_fma_f32 v21, v15, s43, -v20
	v_rndne_f32_e32 v23, v20
	v_fmac_f32_e32 v21, 0x32a5705f, v15
	v_sub_f32_e32 v20, v20, v23
	v_add_f32_e32 v20, v20, v21
	v_exp_f32_e32 v20, v20
	v_cvt_i32_f32_e32 v21, v23
	v_cmp_ngt_f32_e32 vcc, s63, v15
	v_ldexp_f32 v20, v20, v21
	v_cndmask_b32_e32 v20, 0, v20, vcc
	v_cmp_nlt_f32_e32 vcc, s10, v15
	v_cndmask_b32_e32 v15, v161, v20, vcc
	v_mul_f32_e32 v20, 0x3fb8aa3b, v14
	v_fma_f32 v21, v14, s43, -v20
	v_rndne_f32_e32 v23, v20
	v_fmac_f32_e32 v21, 0x32a5705f, v14
	v_sub_f32_e32 v20, v20, v23
	v_add_f32_e32 v20, v20, v21
	v_exp_f32_e32 v20, v20
	v_cvt_i32_f32_e32 v21, v23
	v_cmp_ngt_f32_e32 vcc, s63, v14
	v_ldexp_f32 v20, v20, v21
	v_cndmask_b32_e32 v20, 0, v20, vcc
	v_cmp_nlt_f32_e32 vcc, s10, v14
	v_add_f32_e32 v14, v190, v185
	v_add_f32_e32 v14, v17, v14
	;; [unrolled: 1-line block ×12, first 2 shown]
	v_cndmask_b32_e32 v188, v161, v20, vcc
	v_add_f32_e32 v14, v186, v14
	v_add_f32_e32 v14, v188, v14
	;; [unrolled: 1-line block ×3, first 2 shown]
	v_sub_f32_e32 v14, v184, v22
	v_mul_f32_e32 v20, 0x3fb8aa3b, v14
	v_fma_f32 v21, v14, s43, -v20
	v_rndne_f32_e32 v24, v20
	v_fmac_f32_e32 v21, 0x32a5705f, v14
	v_sub_f32_e32 v20, v20, v24
	v_add_f32_e32 v20, v20, v21
	v_exp_f32_e32 v20, v20
	v_cvt_i32_f32_e32 v21, v24
	v_cmp_ngt_f32_e32 vcc, s63, v14
	v_cvt_f16_f32_e32 v15, v15
	v_ldexp_f32 v20, v20, v21
	v_cndmask_b32_e32 v20, 0, v20, vcc
	v_cmp_nlt_f32_e32 vcc, s10, v14
	v_cndmask_b32_e32 v20, v161, v20, vcc
	v_cmp_le_f32_e32 vcc, s11, v14
	v_cndmask_b32_e32 v14, 0, v20, vcc
	v_fmac_f32_e32 v23, v183, v14
	v_cvt_f16_f32_e32 v14, v14
	v_cvt_f16_f32_e32 v20, v190
	v_pk_mul_f16 v172, v14, v172 op_sel_hi:[0,1]
	v_pk_mul_f16 v171, v14, v171 op_sel_hi:[0,1]
	;; [unrolled: 1-line block ×12, first 2 shown]
	v_cvt_f16_f32_e32 v14, v185
	v_cvt_f16_f32_e32 v178, v187
	v_mov_b32_e32 v181, s9
	v_pack_b32_f16 v20, v20, v14
	v_cvt_f16_f32_e32 v14, v16
	v_cvt_f16_f32_e32 v16, v17
	;; [unrolled: 1-line block ×3, first 2 shown]
	v_pack_b32_f16 v21, v16, v14
	v_cvt_f16_f32_e32 v14, v18
	v_cvt_f16_f32_e32 v16, v19
	v_pack_b32_f16 v18, v16, v14
	v_cvt_f16_f32_e32 v14, v191
	v_cvt_f16_f32_e32 v16, v194
	;; [unrolled: 3-line block ×3, first 2 shown]
	v_pack_b32_f16 v16, v16, v14
	v_cvt_f16_f32_e32 v14, v195
	v_pack_b32_f16 v17, v17, v14
	v_cvt_f16_f32_e32 v14, v186
	;; [unrolled: 2-line block ×3, first 2 shown]
	v_pack_b32_f16 v15, v178, v15
	v_add_co_u32_e32 v178, vcc, s5, v32
	v_addc_co_u32_e32 v181, vcc, v181, v33, vcc
	v_add_co_u32_e32 v184, vcc, v178, v99
	v_addc_co_u32_e32 v185, vcc, 0, v181, vcc
	global_load_dwordx4 v[184:187], v[184:185], off offset:128
	v_add_co_u32_e32 v178, vcc, s5, v38
	v_mov_b32_e32 v181, s9
	v_addc_co_u32_e32 v181, vcc, v181, v39, vcc
	s_waitcnt vmcnt(0)
	ds_write_b128 v59, v[184:187]
	v_add_co_u32_e32 v184, vcc, v178, v101
	v_addc_co_u32_e32 v185, vcc, 0, v181, vcc
	global_load_dwordx4 v[184:187], v[184:185], off
	v_add_co_u32_e32 v178, vcc, s5, v40
	v_mov_b32_e32 v181, s9
	v_addc_co_u32_e32 v181, vcc, v181, v41, vcc
	s_waitcnt vmcnt(0)
	ds_write_b128 v67, v[184:187]
	v_add_co_u32_e32 v184, vcc, v178, v101
	v_addc_co_u32_e32 v185, vcc, 0, v181, vcc
	global_load_dwordx4 v[184:187], v[184:185], off
	s_waitcnt vmcnt(0)
	ds_write_b128 v153, v[184:187]
	s_waitcnt lgkmcnt(0)
	s_barrier
	ds_read_u16 v178, v81 offset:416
	v_cvt_f32_f16_e32 v186, v171
	v_cvt_f32_f16_sdwa v187, v171 dst_sel:DWORD dst_unused:UNUSED_PAD src0_sel:WORD_1
	ds_read_u16 v171, v82
	ds_read_u16 v181, v82 offset:32
	v_cvt_f32_f16_e32 v184, v172
	v_cvt_f32_f16_sdwa v185, v172 dst_sel:DWORD dst_unused:UNUSED_PAD src0_sel:WORD_1
	s_waitcnt lgkmcnt(1)
	v_perm_b32 v189, v171, v178, s54
	ds_read_u16 v171, v75
	ds_read_u16 v178, v75 offset:32
	ds_read_u16 v172, v81 offset:208
	;; [unrolled: 1-line block ×3, first 2 shown]
	s_waitcnt lgkmcnt(1)
	v_perm_b32 v188, v172, v171, s54
	s_nop 1
	v_mfma_f32_16x16x16f16 v[184:187], v[188:189], v[20:21], v[184:187]
	ds_read_u16 v188, v75 offset:3328
	ds_read_u16 v190, v81 offset:3536
	ds_read_u16 v189, v83 offset:416
	ds_read_u16 v191, v82 offset:3328
	s_waitcnt lgkmcnt(2)
	v_perm_b32 v188, v190, v188, s54
	s_waitcnt lgkmcnt(0)
	v_perm_b32 v189, v191, v189, s54
	s_nop 2
	v_cvt_f16_f32_e32 v171, v184
	v_cvt_f16_f32_e32 v172, v185
	v_cvt_f16_f32_e32 v186, v186
	v_cvt_f16_f32_e32 v187, v187
	v_cvt_f32_f16_e32 v184, v171
	v_cvt_f32_f16_e32 v185, v172
	v_cvt_f32_f16_e32 v186, v186
	v_cvt_f32_f16_e32 v187, v187
	s_nop 1
	v_mfma_f32_16x16x16f16 v[184:187], v[188:189], v[18:19], v[184:187]
	ds_read_u16 v188, v75 offset:6656
	ds_read_u16 v190, v81 offset:6864
	ds_read_u16 v189, v84 offset:416
	ds_read_u16 v191, v82 offset:6656
	s_waitcnt lgkmcnt(2)
	v_perm_b32 v188, v190, v188, s54
	s_waitcnt lgkmcnt(0)
	v_perm_b32 v189, v191, v189, s54
	s_nop 2
	v_cvt_f16_f32_e32 v171, v184
	v_cvt_f16_f32_e32 v172, v185
	v_cvt_f16_f32_e32 v186, v186
	v_cvt_f16_f32_e32 v187, v187
	v_cvt_f32_f16_e32 v184, v171
	v_cvt_f32_f16_e32 v185, v172
	v_cvt_f32_f16_e32 v186, v186
	v_cvt_f32_f16_e32 v187, v187
	;; [unrolled: 19-line block ×3, first 2 shown]
	s_nop 1
	v_mfma_f32_16x16x16f16 v[184:187], v[188:189], v[14:15], v[184:187]
	ds_read_u16 v188, v86 offset:416
	s_waitcnt lgkmcnt(0)
	v_perm_b32 v189, v181, v188, s54
	v_perm_b32 v188, v182, v178, s54
	s_nop 6
	v_cvt_f16_f32_e32 v171, v184
	v_cvt_f16_f32_e32 v172, v185
	;; [unrolled: 1-line block ×4, first 2 shown]
	v_cvt_f32_f16_e32 v186, v173
	v_pack_b32_f16 v172, v171, v172
	v_cvt_f32_f16_sdwa v187, v173 dst_sel:DWORD dst_unused:UNUSED_PAD src0_sel:WORD_1
	v_pack_b32_f16 v171, v184, v185
	v_cvt_f32_f16_e32 v184, v174
	v_cvt_f32_f16_sdwa v185, v174 dst_sel:DWORD dst_unused:UNUSED_PAD src0_sel:WORD_1
	s_nop 1
	v_mfma_f32_16x16x16f16 v[184:187], v[188:189], v[20:21], v[184:187]
	ds_read_u16 v182, v75 offset:3360
	ds_read_u16 v188, v81 offset:3568
	ds_read_u16 v189, v87 offset:416
	ds_read_u16 v190, v82 offset:3360
	s_waitcnt lgkmcnt(2)
	v_perm_b32 v188, v188, v182, s54
	s_waitcnt lgkmcnt(0)
	v_perm_b32 v189, v190, v189, s54
	s_nop 2
	v_cvt_f16_f32_e32 v173, v184
	v_cvt_f16_f32_e32 v174, v185
	v_cvt_f16_f32_e32 v178, v186
	v_cvt_f16_f32_e32 v181, v187
	v_cvt_f32_f16_e32 v184, v173
	v_cvt_f32_f16_e32 v185, v174
	v_cvt_f32_f16_e32 v186, v178
	v_cvt_f32_f16_e32 v187, v181
	s_nop 1
	v_mfma_f32_16x16x16f16 v[184:187], v[188:189], v[18:19], v[184:187]
	ds_read_u16 v182, v75 offset:6688
	ds_read_u16 v188, v81 offset:6896
	ds_read_u16 v189, v88 offset:416
	ds_read_u16 v190, v82 offset:6688
	s_waitcnt lgkmcnt(2)
	v_perm_b32 v188, v188, v182, s54
	s_waitcnt lgkmcnt(0)
	v_perm_b32 v189, v190, v189, s54
	s_nop 2
	v_cvt_f16_f32_e32 v173, v184
	v_cvt_f16_f32_e32 v174, v185
	v_cvt_f16_f32_e32 v178, v186
	v_cvt_f16_f32_e32 v181, v187
	v_cvt_f32_f16_e32 v184, v173
	v_cvt_f32_f16_e32 v185, v174
	v_cvt_f32_f16_e32 v186, v178
	v_cvt_f32_f16_e32 v187, v181
	;; [unrolled: 19-line block ×3, first 2 shown]
	s_nop 1
	v_mfma_f32_16x16x16f16 v[184:187], v[188:189], v[14:15], v[184:187]
	s_nop 7
	s_nop 2
	v_cvt_f16_f32_e32 v173, v184
	v_cvt_f16_f32_e32 v174, v185
	v_cvt_f16_f32_e32 v178, v186
	v_cvt_f16_f32_e32 v181, v187
	v_cvt_f32_f16_e32 v184, v176
	v_pack_b32_f16 v174, v173, v174
	v_cvt_f32_f16_sdwa v185, v176 dst_sel:DWORD dst_unused:UNUSED_PAD src0_sel:WORD_1
	v_pack_b32_f16 v173, v178, v181
	ds_read_u16 v178, v75 offset:64
	ds_read_u16 v181, v81 offset:272
	;; [unrolled: 1-line block ×4, first 2 shown]
	v_cvt_f32_f16_e32 v186, v175
	v_cvt_f32_f16_sdwa v187, v175 dst_sel:DWORD dst_unused:UNUSED_PAD src0_sel:WORD_1
	s_waitcnt lgkmcnt(0)
	v_perm_b32 v189, v188, v182, s54
	v_perm_b32 v188, v181, v178, s54
	s_nop 1
	v_mfma_f32_16x16x16f16 v[184:187], v[188:189], v[20:21], v[184:187]
	ds_read_u16 v182, v75 offset:3392
	ds_read_u16 v188, v81 offset:3600
	ds_read_u16 v189, v91 offset:416
	ds_read_u16 v190, v82 offset:3392
	s_waitcnt lgkmcnt(2)
	v_perm_b32 v188, v188, v182, s54
	s_waitcnt lgkmcnt(0)
	v_perm_b32 v189, v190, v189, s54
	s_nop 2
	v_cvt_f16_f32_e32 v175, v184
	v_cvt_f16_f32_e32 v176, v185
	;; [unrolled: 1-line block ×4, first 2 shown]
	v_cvt_f32_f16_e32 v184, v175
	v_cvt_f32_f16_e32 v185, v176
	;; [unrolled: 1-line block ×4, first 2 shown]
	s_nop 1
	v_mfma_f32_16x16x16f16 v[184:187], v[188:189], v[18:19], v[184:187]
	ds_read_u16 v182, v75 offset:6720
	ds_read_u16 v188, v81 offset:6928
	;; [unrolled: 1-line block ×4, first 2 shown]
	s_waitcnt lgkmcnt(2)
	v_perm_b32 v188, v188, v182, s54
	s_waitcnt lgkmcnt(0)
	v_perm_b32 v189, v190, v189, s54
	s_nop 2
	v_cvt_f16_f32_e32 v175, v184
	v_cvt_f16_f32_e32 v176, v185
	;; [unrolled: 1-line block ×4, first 2 shown]
	v_cvt_f32_f16_e32 v184, v175
	v_cvt_f32_f16_e32 v185, v176
	;; [unrolled: 1-line block ×4, first 2 shown]
	s_nop 1
	v_mfma_f32_16x16x16f16 v[184:187], v[188:189], v[16:17], v[184:187]
	ds_read_u16 v182, v75 offset:10048
	ds_read_u16 v188, v81 offset:10256
	;; [unrolled: 1-line block ×4, first 2 shown]
	s_waitcnt lgkmcnt(2)
	v_perm_b32 v188, v188, v182, s54
	v_cvt_f32_f16_e32 v182, v183
	s_waitcnt lgkmcnt(0)
	v_perm_b32 v189, v190, v189, s54
	v_cvt_f32_f16_sdwa v183, v183 dst_sel:DWORD dst_unused:UNUSED_PAD src0_sel:WORD_1
	s_nop 0
	v_cvt_f16_f32_e32 v175, v184
	v_cvt_f16_f32_e32 v176, v185
	;; [unrolled: 1-line block ×4, first 2 shown]
	v_cvt_f32_f16_e32 v184, v175
	v_cvt_f32_f16_e32 v185, v176
	;; [unrolled: 1-line block ×4, first 2 shown]
	s_nop 1
	v_mfma_f32_16x16x16f16 v[184:187], v[188:189], v[14:15], v[184:187]
	s_nop 7
	s_nop 2
	v_cvt_f16_f32_e32 v175, v184
	v_cvt_f16_f32_e32 v176, v185
	;; [unrolled: 1-line block ×4, first 2 shown]
	v_cvt_f32_f16_e32 v184, v177
	v_pack_b32_f16 v176, v175, v176
	v_cvt_f32_f16_sdwa v185, v177 dst_sel:DWORD dst_unused:UNUSED_PAD src0_sel:WORD_1
	v_pack_b32_f16 v175, v178, v181
	ds_read_u16 v178, v75 offset:96
	ds_read_u16 v181, v81 offset:304
	;; [unrolled: 1-line block ×4, first 2 shown]
	s_waitcnt lgkmcnt(0)
	v_perm_b32 v187, v187, v186, s54
	v_perm_b32 v186, v181, v178, s54
	s_nop 1
	v_mfma_f32_16x16x16f16 v[182:185], v[186:187], v[20:21], v[182:185]
	ds_read_u16 v186, v75 offset:3424
	ds_read_u16 v188, v81 offset:3632
	ds_read_u16 v187, v95 offset:416
	ds_read_u16 v189, v82 offset:3424
	s_waitcnt lgkmcnt(2)
	v_perm_b32 v186, v188, v186, s54
	s_waitcnt lgkmcnt(0)
	v_perm_b32 v187, v189, v187, s54
	s_nop 2
	v_cvt_f16_f32_e32 v177, v182
	v_cvt_f16_f32_e32 v178, v183
	v_cvt_f16_f32_e32 v181, v184
	v_cvt_f16_f32_e32 v185, v185
	v_cvt_f32_f16_e32 v182, v177
	v_cvt_f32_f16_e32 v183, v178
	v_cvt_f32_f16_e32 v184, v181
	v_cvt_f32_f16_e32 v185, v185
	s_nop 1
	v_mfma_f32_16x16x16f16 v[182:185], v[186:187], v[18:19], v[182:185]
	ds_read_u16 v186, v75 offset:6752
	ds_read_u16 v188, v81 offset:6960
	ds_read_u16 v187, v96 offset:416
	ds_read_u16 v189, v82 offset:6752
	s_waitcnt lgkmcnt(2)
	v_perm_b32 v186, v188, v186, s54
	s_waitcnt lgkmcnt(0)
	v_perm_b32 v187, v189, v187, s54
	s_nop 2
	v_cvt_f16_f32_e32 v177, v182
	v_cvt_f16_f32_e32 v178, v183
	v_cvt_f16_f32_e32 v181, v184
	v_cvt_f16_f32_e32 v185, v185
	v_cvt_f32_f16_e32 v182, v177
	v_cvt_f32_f16_e32 v183, v178
	v_cvt_f32_f16_e32 v184, v181
	v_cvt_f32_f16_e32 v185, v185
	;; [unrolled: 19-line block ×3, first 2 shown]
	s_nop 1
	v_mfma_f32_16x16x16f16 v[182:185], v[186:187], v[14:15], v[182:185]
	s_nop 7
	s_nop 2
	v_cvt_f16_f32_e32 v177, v182
	v_cvt_f16_f32_e32 v178, v183
	;; [unrolled: 1-line block ×4, first 2 shown]
	v_cvt_f32_f16_sdwa v183, v180 dst_sel:DWORD dst_unused:UNUSED_PAD src0_sel:WORD_1
	v_pack_b32_f16 v177, v177, v178
	v_cvt_f32_f16_e32 v184, v179
	v_pack_b32_f16 v178, v181, v182
	ds_read_u16 v186, v75 offset:128
	ds_read_u16 v187, v81 offset:336
	;; [unrolled: 1-line block ×4, first 2 shown]
	v_cvt_f32_f16_e32 v182, v180
	v_cvt_f32_f16_sdwa v185, v179 dst_sel:DWORD dst_unused:UNUSED_PAD src0_sel:WORD_1
	s_waitcnt lgkmcnt(2)
	v_perm_b32 v180, v187, v186, s54
	s_waitcnt lgkmcnt(0)
	v_perm_b32 v181, v188, v181, s54
	s_nop 1
	v_mfma_f32_16x16x16f16 v[180:183], v[180:181], v[20:21], v[182:185]
	s_nop 6
	ds_read_u16 v184, v75 offset:3456
	ds_read_u16 v186, v81 offset:3664
	;; [unrolled: 1-line block ×4, first 2 shown]
	s_waitcnt lgkmcnt(2)
	v_perm_b32 v184, v186, v184, s54
	s_waitcnt lgkmcnt(0)
	v_perm_b32 v185, v187, v185, s54
	v_cvt_f16_f32_e32 v179, v180
	v_cvt_f16_f32_e32 v181, v181
	;; [unrolled: 1-line block ×4, first 2 shown]
	v_cvt_f32_f16_e32 v180, v179
	v_cvt_f32_f16_e32 v181, v181
	;; [unrolled: 1-line block ×4, first 2 shown]
	s_nop 1
	v_mfma_f32_16x16x16f16 v[180:183], v[184:185], v[18:19], v[180:183]
	ds_read_u16 v184, v75 offset:6784
	ds_read_u16 v186, v81 offset:6992
	;; [unrolled: 1-line block ×4, first 2 shown]
	s_waitcnt lgkmcnt(2)
	v_perm_b32 v184, v186, v184, s54
	s_waitcnt lgkmcnt(0)
	v_perm_b32 v185, v187, v185, s54
	s_nop 2
	v_cvt_f16_f32_e32 v179, v180
	v_cvt_f16_f32_e32 v181, v181
	;; [unrolled: 1-line block ×4, first 2 shown]
	v_cvt_f32_f16_e32 v180, v179
	v_cvt_f32_f16_e32 v181, v181
	v_cvt_f32_f16_e32 v182, v182
	v_cvt_f32_f16_e32 v183, v183
	s_nop 1
	v_mfma_f32_16x16x16f16 v[180:183], v[184:185], v[16:17], v[180:183]
	ds_read_u16 v184, v75 offset:10112
	ds_read_u16 v186, v81 offset:10320
	;; [unrolled: 1-line block ×4, first 2 shown]
	s_waitcnt lgkmcnt(2)
	v_perm_b32 v184, v186, v184, s54
	s_waitcnt lgkmcnt(0)
	v_perm_b32 v185, v187, v185, s54
	s_nop 2
	v_cvt_f16_f32_e32 v179, v180
	v_cvt_f16_f32_e32 v181, v181
	;; [unrolled: 1-line block ×4, first 2 shown]
	v_cvt_f32_f16_e32 v180, v179
	v_cvt_f32_f16_e32 v181, v181
	;; [unrolled: 1-line block ×4, first 2 shown]
	s_nop 1
	v_mfma_f32_16x16x16f16 v[180:183], v[184:185], v[14:15], v[180:183]
	v_cvt_f32_f16_e32 v184, v24
	v_cvt_f32_f16_sdwa v185, v24 dst_sel:DWORD dst_unused:UNUSED_PAD src0_sel:WORD_1
	s_nop 7
	s_nop 0
	v_cvt_f16_f32_e32 v179, v180
	v_cvt_f16_f32_e32 v180, v181
	;; [unrolled: 1-line block ×4, first 2 shown]
	v_cvt_f32_f16_sdwa v183, v25 dst_sel:DWORD dst_unused:UNUSED_PAD src0_sel:WORD_1
	v_pack_b32_f16 v180, v179, v180
	v_pack_b32_f16 v179, v181, v182
	ds_read_u16 v181, v75 offset:160
	ds_read_u16 v186, v81 offset:368
	;; [unrolled: 1-line block ×4, first 2 shown]
	v_cvt_f32_f16_e32 v182, v25
	s_waitcnt lgkmcnt(2)
	v_perm_b32 v24, v186, v181, s54
	s_waitcnt lgkmcnt(0)
	v_perm_b32 v25, v188, v187, s54
	ds_read_u16 v181, v75 offset:3488
	ds_read_u16 v186, v81 offset:3696
	;; [unrolled: 1-line block ×4, first 2 shown]
	v_mfma_f32_16x16x16f16 v[182:185], v[24:25], v[20:21], v[182:185]
	s_nop 7
	s_nop 2
	v_cvt_f16_f32_e32 v20, v182
	v_cvt_f16_f32_e32 v21, v183
	;; [unrolled: 1-line block ×4, first 2 shown]
	v_cvt_f32_f16_e32 v182, v20
	v_cvt_f32_f16_e32 v183, v21
	s_waitcnt lgkmcnt(0)
	v_perm_b32 v21, v188, v187, s54
	v_perm_b32 v20, v186, v181, s54
	v_cvt_f32_f16_e32 v184, v24
	v_cvt_f32_f16_e32 v185, v25
	s_nop 1
	v_mfma_f32_16x16x16f16 v[18:21], v[20:21], v[18:19], v[182:185]
	ds_read_u16 v24, v75 offset:6816
	ds_read_u16 v181, v81 offset:7024
	;; [unrolled: 1-line block ×3, first 2 shown]
	s_nop 3
	ds_read_u16 v182, v82 offset:6816
	s_waitcnt lgkmcnt(2)
	v_perm_b32 v24, v181, v24, s54
	s_waitcnt lgkmcnt(0)
	v_perm_b32 v25, v182, v25, s54
	v_cvt_f16_f32_e32 v18, v18
	v_cvt_f16_f32_e32 v19, v19
	;; [unrolled: 1-line block ×4, first 2 shown]
	v_cvt_f32_f16_e32 v18, v18
	v_cvt_f32_f16_e32 v19, v19
	;; [unrolled: 1-line block ×4, first 2 shown]
	s_nop 1
	v_mfma_f32_16x16x16f16 v[16:19], v[24:25], v[16:17], v[18:21]
	s_nop 6
	ds_read_u16 v20, v75 offset:10144
	ds_read_u16 v24, v81 offset:10352
	;; [unrolled: 1-line block ×4, first 2 shown]
	s_waitcnt lgkmcnt(0)
	s_barrier
	v_perm_b32 v20, v24, v20, s54
	v_perm_b32 v21, v25, v21, s54
	v_cvt_f16_f32_e32 v16, v16
	v_cvt_f16_f32_e32 v17, v17
	;; [unrolled: 1-line block ×4, first 2 shown]
	v_cvt_f32_f16_e32 v16, v16
	v_cvt_f32_f16_e32 v17, v17
	;; [unrolled: 1-line block ×4, first 2 shown]
	s_nop 1
	v_mfma_f32_16x16x16f16 v[14:17], v[20:21], v[14:15], v[16:19]
	s_nop 7
	s_nop 2
	v_cvt_f16_f32_e32 v14, v14
	v_cvt_f16_f32_e32 v15, v15
	;; [unrolled: 1-line block ×4, first 2 shown]
	v_pack_b32_f16 v182, v14, v15
	v_pack_b32_f16 v181, v16, v17
	s_cbranch_scc1 .LBB14_73
.LBB14_74:                              ;   in Loop: Header=BB14_15 Depth=1
	s_lshl_b32 s4, s72, 6
	s_ashr_i32 s5, s4, 31
	s_lshl_b64 s[8:9], s[4:5], 1
	v_add_co_u32_e32 v14, vcc, s8, v60
	v_mov_b32_e32 v15, s9
	v_addc_co_u32_e32 v15, vcc, v162, v15, vcc
	v_lshlrev_b32_e32 v16, 1, v36
	v_add_co_u32_e32 v16, vcc, v14, v16
	v_addc_co_u32_e32 v17, vcc, 0, v15, vcc
	v_lshlrev_b64 v[14:15], 1, v[62:63]
	v_add_co_u32_e32 v14, vcc, v16, v14
	v_addc_co_u32_e32 v15, vcc, v17, v15, vcc
	global_load_dword v14, v[14:15], off
	v_add_u32_e32 v18, v123, v151
	s_mul_hi_i32 s9, s34, s4
	s_mul_i32 s8, s34, s4
	s_lshl_b64 s[8:9], s[8:9], 2
	s_add_u32 s5, s51, s8
	s_addc_u32 s8, s38, s9
	v_add_u32_e32 v24, 0x800, v51
	s_waitcnt vmcnt(0)
	ds_write_b32 v18, v14 offset:13312
	v_lshlrev_b64 v[14:15], 1, v[64:65]
	v_add_co_u32_e32 v14, vcc, v16, v14
	v_addc_co_u32_e32 v15, vcc, v17, v15, vcc
	global_load_dword v14, v[14:15], off
	v_mov_b32_e32 v15, s8
	s_waitcnt vmcnt(0)
	ds_write_b32 v18, v14 offset:14464
	v_add_co_u32_e32 v14, vcc, s5, v34
	v_addc_co_u32_e32 v15, vcc, v15, v35, vcc
	v_add_co_u32_e32 v14, vcc, v14, v99
	v_addc_co_u32_e32 v15, vcc, 0, v15, vcc
	global_load_dwordx4 v[14:17], v[14:15], off offset:128
	s_waitcnt vmcnt(0)
	ds_write_b128 v59, v[14:17]
	v_add_co_u32_e32 v14, vcc, s5, v42
	v_mov_b32_e32 v15, s8
	v_addc_co_u32_e32 v15, vcc, v15, v43, vcc
	v_add_co_u32_e32 v14, vcc, v14, v101
	v_addc_co_u32_e32 v15, vcc, 0, v15, vcc
	global_load_dwordx4 v[14:17], v[14:15], off
	s_waitcnt vmcnt(0)
	ds_write_b128 v67, v[14:17]
	v_add_co_u32_e32 v14, vcc, s5, v44
	v_mov_b32_e32 v15, s8
	v_addc_co_u32_e32 v15, vcc, v15, v45, vcc
	v_add_co_u32_e32 v14, vcc, v14, v101
	v_addc_co_u32_e32 v15, vcc, 0, v15, vcc
	global_load_dwordx4 v[14:17], v[14:15], off
	v_cmp_lt_i32_e32 vcc, v164, v163
	s_mul_hi_i32 s5, s30, s4
	s_mul_i32 s4, s30, s4
	s_lshl_b64 s[4:5], s[4:5], 2
	s_add_u32 s4, s62, s4
	s_addc_u32 s5, s50, s5
	s_cmp_lg_u64 s[70:71], 0
	s_waitcnt vmcnt(0)
	ds_write_b128 v153, v[14:17]
	s_waitcnt lgkmcnt(0)
	s_barrier
	ds_read2_b64 v[14:17], v51 offset1:4
	s_waitcnt lgkmcnt(0)
	v_mfma_f32_16x16x16f16 v[18:21], v[14:15], v[10:11], 0
	v_mfma_f32_16x16x16f16 v[14:17], v[16:17], v[12:13], v[18:21]
	s_nop 7
	s_nop 1
	ds_read2_b64 v[18:21], v51 offset0:8 offset1:12
	s_waitcnt lgkmcnt(0)
	v_mfma_f32_16x16x16f16 v[14:17], v[18:19], v[6:7], v[14:17]
	v_mfma_f32_16x16x16f16 v[14:17], v[20:21], v[8:9], v[14:17]
	ds_read2_b64 v[18:21], v51 offset0:16 offset1:20
	s_waitcnt lgkmcnt(0)
	v_mfma_f32_16x16x16f16 v[14:17], v[18:19], v[2:3], v[14:17]
	v_mfma_f32_16x16x16f16 v[14:17], v[20:21], v[4:5], v[14:17]
	;; [unrolled: 4-line block ×3, first 2 shown]
	s_nop 7
	s_nop 1
	ds_read2_b64 v[62:65], v24 offset0:168 offset1:172
	s_waitcnt lgkmcnt(0)
	v_mfma_f32_16x16x16f16 v[18:21], v[62:63], v[6:7], v[18:21]
	v_mfma_f32_16x16x16f16 v[18:21], v[64:65], v[8:9], v[18:21]
	ds_read2_b64 v[62:65], v24 offset0:176 offset1:180
	v_add_u32_e32 v24, 0x1800, v51
	s_waitcnt lgkmcnt(0)
	v_mfma_f32_16x16x16f16 v[18:21], v[62:63], v[2:3], v[18:21]
	v_mfma_f32_16x16x16f16 v[18:21], v[64:65], v[4:5], v[18:21]
	ds_read2_b64 v[62:65], v24 offset0:64 offset1:68
	s_waitcnt lgkmcnt(0)
	v_mfma_f32_16x16x16f16 v[184:187], v[62:63], v[10:11], 0
	v_mfma_f32_16x16x16f16 v[62:65], v[64:65], v[12:13], v[184:187]
	s_nop 7
	s_nop 1
	ds_read2_b64 v[184:187], v24 offset0:72 offset1:76
	s_waitcnt lgkmcnt(0)
	v_mfma_f32_16x16x16f16 v[62:65], v[184:185], v[6:7], v[62:65]
	v_mfma_f32_16x16x16f16 v[62:65], v[186:187], v[8:9], v[62:65]
	ds_read2_b64 v[184:187], v24 offset0:80 offset1:84
	v_add_u32_e32 v24, 0x2000, v51
	s_waitcnt lgkmcnt(0)
	v_mfma_f32_16x16x16f16 v[62:65], v[184:185], v[2:3], v[62:65]
	v_mfma_f32_16x16x16f16 v[62:65], v[186:187], v[4:5], v[62:65]
	ds_read2_b64 v[184:187], v24 offset0:224 offset1:228
	s_waitcnt lgkmcnt(0)
	v_mfma_f32_16x16x16f16 v[188:191], v[184:185], v[10:11], 0
	v_mfma_f32_16x16x16f16 v[10:13], v[186:187], v[12:13], v[188:191]
	ds_read2_b64 v[184:187], v24 offset0:232 offset1:236
	s_waitcnt lgkmcnt(0)
	v_mfma_f32_16x16x16f16 v[10:13], v[184:185], v[6:7], v[10:13]
	v_mfma_f32_16x16x16f16 v[6:9], v[186:187], v[8:9], v[10:13]
	s_nop 7
	s_nop 1
	ds_read2_b64 v[10:13], v24 offset0:240 offset1:244
	s_waitcnt lgkmcnt(0)
	v_mfma_f32_16x16x16f16 v[6:9], v[10:11], v[2:3], v[6:9]
	v_add_u32_e32 v3, 0x3400, v154
	s_barrier
	ds_read_b32 v2, v69 offset:13312
	ds_read_b32 v25, v73 offset:13312
	ds_read2_b32 v[168:169], v3 offset1:1
	v_add_u32_e32 v3, 0x3400, v155
	ds_read2_b32 v[10:11], v3 offset1:1
	v_add_u32_e32 v3, 0x3400, v156
	v_mfma_f32_16x16x16f16 v[6:9], v[12:13], v[4:5], v[6:9]
	ds_read2_b32 v[12:13], v3 offset1:1
	v_cndmask_b32_e32 v3, v166, v164, vcc
	v_cmp_lt_i32_e32 vcc, v165, v163
	v_lshlrev_b32_e32 v24, 2, v3
	v_cndmask_b32_e32 v3, v166, v165, vcc
	s_waitcnt lgkmcnt(0)
	v_cvt_f32_f16_e32 v4, v13
	v_cvt_f32_f16_sdwa v5, v13 dst_sel:DWORD dst_unused:UNUSED_PAD src0_sel:WORD_1
	v_cvt_f32_f16_sdwa v13, v10 dst_sel:DWORD dst_unused:UNUSED_PAD src0_sel:WORD_1
	v_lshlrev_b32_e32 v3, 2, v3
	s_nop 0
	v_pk_add_f32 v[4:5], v[8:9], v[4:5]
	v_cvt_f32_f16_e32 v8, v12
	v_cvt_f32_f16_sdwa v9, v12 dst_sel:DWORD dst_unused:UNUSED_PAD src0_sel:WORD_1
	v_cvt_f32_f16_e32 v12, v10
	v_add_f32_e32 v163, 0x40051340, v4
	v_add_f32_e32 v164, 0x40051340, v5
	v_pk_add_f32 v[6:7], v[6:7], v[8:9]
	v_cvt_f32_f16_e32 v8, v11
	v_cvt_f32_f16_sdwa v9, v11 dst_sel:DWORD dst_unused:UNUSED_PAD src0_sel:WORD_1
	v_pk_add_f32 v[10:11], v[62:63], v[12:13]
	v_cvt_f32_f16_e32 v12, v169
	v_cvt_f32_f16_sdwa v13, v169 dst_sel:DWORD dst_unused:UNUSED_PAD src0_sel:WORD_1
	v_pk_add_f32 v[8:9], v[64:65], v[8:9]
	v_add_f32_e32 v62, 0x40051340, v10
	v_add_f32_e32 v63, 0x40051340, v11
	v_pk_add_f32 v[12:13], v[20:21], v[12:13]
	v_cvt_f32_f16_e32 v20, v168
	v_cvt_f32_f16_sdwa v21, v168 dst_sel:DWORD dst_unused:UNUSED_PAD src0_sel:WORD_1
	v_add_f32_e32 v167, 0x40051340, v12
	v_add_f32_e32 v169, 0x40051340, v13
	;; [unrolled: 1-line block ×3, first 2 shown]
	v_pk_add_f32 v[18:19], v[18:19], v[20:21]
	v_cvt_f32_f16_sdwa v21, v25 dst_sel:DWORD dst_unused:UNUSED_PAD src0_sel:WORD_1
	v_cvt_f32_f16_e32 v20, v25
	v_add_f32_e32 v168, 0x40051340, v18
	v_add_f32_e32 v170, 0x40051340, v19
	;; [unrolled: 1-line block ×3, first 2 shown]
	v_pk_add_f32 v[16:17], v[16:17], v[20:21]
	v_cvt_f32_f16_sdwa v21, v2 dst_sel:DWORD dst_unused:UNUSED_PAD src0_sel:WORD_1
	v_cvt_f32_f16_e32 v20, v2
	v_add_f32_e32 v25, 0x40051340, v16
	v_add_f32_e32 v183, 0x40051340, v17
	;; [unrolled: 1-line block ×3, first 2 shown]
	v_pk_add_f32 v[14:15], v[14:15], v[20:21]
	v_add_f32_e32 v2, 0x40051340, v14
	v_add_f32_e32 v20, 0x40051340, v15
	v_max3_f32 v2, v22, v2, v20
	v_max3_f32 v2, v2, v25, v183
	;; [unrolled: 1-line block ×5, first 2 shown]
	v_add_f32_e32 v166, 0x40051340, v7
	v_max3_f32 v2, v2, v64, v65
	v_max3_f32 v2, v2, v165, v166
	v_max3_f32 v2, v2, v163, v164
	ds_bpermute_b32 v20, v24, v2
	s_waitcnt lgkmcnt(0)
	v_max_f32_e32 v20, v20, v20
	v_max_f32_e32 v2, v2, v20
	ds_bpermute_b32 v20, v3, v2
	s_waitcnt lgkmcnt(0)
	v_max_f32_e32 v20, v20, v20
	v_max_f32_e32 v2, v2, v20
	v_pk_add_f32 v[20:21], v[14:15], v[2:3] op_sel_hi:[1,0] neg_lo:[0,1] neg_hi:[0,1]
	v_mul_f32_e32 v14, 0x3fb8aa3b, v21
	v_fma_f32 v15, v21, s43, -v14
	v_rndne_f32_e32 v25, v14
	v_fmac_f32_e32 v15, 0x32a5705f, v21
	v_sub_f32_e32 v14, v14, v25
	v_add_f32_e32 v14, v14, v15
	v_exp_f32_e32 v14, v14
	v_cvt_i32_f32_e32 v15, v25
	v_cmp_ngt_f32_e32 vcc, s63, v21
	v_pk_add_f32 v[16:17], v[16:17], v[2:3] op_sel_hi:[1,0] neg_lo:[0,1] neg_hi:[0,1]
	v_pk_add_f32 v[12:13], v[12:13], v[2:3] op_sel_hi:[1,0] neg_lo:[0,1] neg_hi:[0,1]
	v_ldexp_f32 v14, v14, v15
	v_mul_f32_e32 v15, 0x3fb8aa3b, v20
	v_cndmask_b32_e32 v14, 0, v14, vcc
	v_cmp_nlt_f32_e32 vcc, s10, v21
	v_fma_f32 v21, v20, s43, -v15
	v_rndne_f32_e32 v25, v15
	v_fmac_f32_e32 v21, 0x32a5705f, v20
	v_sub_f32_e32 v15, v15, v25
	v_add_f32_e32 v15, v15, v21
	v_exp_f32_e32 v15, v15
	v_cvt_i32_f32_e32 v21, v25
	v_cndmask_b32_e32 v14, v161, v14, vcc
	v_cmp_ngt_f32_e32 vcc, s63, v20
	v_pk_add_f32 v[10:11], v[10:11], v[2:3] op_sel_hi:[1,0] neg_lo:[0,1] neg_hi:[0,1]
	v_ldexp_f32 v15, v15, v21
	v_cndmask_b32_e32 v15, 0, v15, vcc
	v_cmp_nlt_f32_e32 vcc, s10, v20
	v_mul_f32_e32 v20, 0x3fb8aa3b, v17
	v_fma_f32 v21, v17, s43, -v20
	v_rndne_f32_e32 v25, v20
	v_fmac_f32_e32 v21, 0x32a5705f, v17
	v_sub_f32_e32 v20, v20, v25
	v_add_f32_e32 v20, v20, v21
	v_exp_f32_e32 v20, v20
	v_cvt_i32_f32_e32 v21, v25
	v_cndmask_b32_e32 v15, v161, v15, vcc
	v_cmp_ngt_f32_e32 vcc, s63, v17
	v_pk_add_f32 v[8:9], v[8:9], v[2:3] op_sel_hi:[1,0] neg_lo:[0,1] neg_hi:[0,1]
	v_ldexp_f32 v20, v20, v21
	v_cndmask_b32_e32 v20, 0, v20, vcc
	v_cmp_nlt_f32_e32 vcc, s10, v17
	v_mul_f32_e32 v17, 0x3fb8aa3b, v16
	v_cndmask_b32_e32 v62, v161, v20, vcc
	v_fma_f32 v20, v16, s43, -v17
	v_rndne_f32_e32 v21, v17
	v_fmac_f32_e32 v20, 0x32a5705f, v16
	v_sub_f32_e32 v17, v17, v21
	v_add_f32_e32 v17, v17, v20
	v_exp_f32_e32 v17, v17
	v_cvt_i32_f32_e32 v20, v21
	v_cmp_ngt_f32_e32 vcc, s63, v16
	v_pk_add_f32 v[6:7], v[6:7], v[2:3] op_sel_hi:[1,0] neg_lo:[0,1] neg_hi:[0,1]
	v_pk_add_f32 v[4:5], v[4:5], v[2:3] op_sel_hi:[1,0] neg_lo:[0,1] neg_hi:[0,1]
	v_ldexp_f32 v17, v17, v20
	v_cndmask_b32_e32 v17, 0, v17, vcc
	v_cmp_nlt_f32_e32 vcc, s10, v16
	v_cndmask_b32_e32 v63, v161, v17, vcc
	v_pk_add_f32 v[16:17], v[18:19], v[2:3] op_sel_hi:[1,0] neg_lo:[0,1] neg_hi:[0,1]
	v_mul_f32_e32 v18, 0x3fb8aa3b, v17
	v_fma_f32 v19, v17, s43, -v18
	v_rndne_f32_e32 v20, v18
	v_fmac_f32_e32 v19, 0x32a5705f, v17
	v_sub_f32_e32 v18, v18, v20
	v_add_f32_e32 v18, v18, v19
	v_exp_f32_e32 v18, v18
	v_cvt_i32_f32_e32 v19, v20
	v_cmp_ngt_f32_e32 vcc, s63, v17
	v_ldexp_f32 v18, v18, v19
	v_cndmask_b32_e32 v18, 0, v18, vcc
	v_cmp_nlt_f32_e32 vcc, s10, v17
	v_mul_f32_e32 v17, 0x3fb8aa3b, v16
	v_cndmask_b32_e32 v64, v161, v18, vcc
	v_fma_f32 v18, v16, s43, -v17
	v_rndne_f32_e32 v19, v17
	v_fmac_f32_e32 v18, 0x32a5705f, v16
	v_sub_f32_e32 v17, v17, v19
	v_add_f32_e32 v17, v17, v18
	v_exp_f32_e32 v17, v17
	v_cvt_i32_f32_e32 v18, v19
	v_cmp_ngt_f32_e32 vcc, s63, v16
	v_ldexp_f32 v17, v17, v18
	v_cndmask_b32_e32 v17, 0, v17, vcc
	v_cmp_nlt_f32_e32 vcc, s10, v16
	v_mul_f32_e32 v16, 0x3fb8aa3b, v13
	v_cndmask_b32_e32 v65, v161, v17, vcc
	;; [unrolled: 13-line block ×6, first 2 shown]
	v_fma_f32 v11, v9, s43, -v10
	v_rndne_f32_e32 v12, v10
	v_fmac_f32_e32 v11, 0x32a5705f, v9
	v_sub_f32_e32 v10, v10, v12
	v_add_f32_e32 v10, v10, v11
	v_exp_f32_e32 v10, v10
	v_cvt_i32_f32_e32 v11, v12
	v_cmp_ngt_f32_e32 vcc, s63, v9
	v_ldexp_f32 v10, v10, v11
	v_cndmask_b32_e32 v10, 0, v10, vcc
	v_cmp_nlt_f32_e32 vcc, s10, v9
	v_cndmask_b32_e32 v9, v161, v10, vcc
	v_mul_f32_e32 v10, 0x3fb8aa3b, v8
	v_fma_f32 v11, v8, s43, -v10
	v_rndne_f32_e32 v12, v10
	v_fmac_f32_e32 v11, 0x32a5705f, v8
	v_sub_f32_e32 v10, v10, v12
	v_add_f32_e32 v10, v10, v11
	v_exp_f32_e32 v10, v10
	v_cvt_i32_f32_e32 v11, v12
	v_cmp_ngt_f32_e32 vcc, s63, v8
	v_ldexp_f32 v10, v10, v11
	v_cndmask_b32_e32 v10, 0, v10, vcc
	v_cmp_nlt_f32_e32 vcc, s10, v8
	v_mul_f32_e32 v8, 0x3fb8aa3b, v7
	v_cndmask_b32_e32 v167, v161, v10, vcc
	v_fma_f32 v10, v7, s43, -v8
	v_rndne_f32_e32 v11, v8
	v_fmac_f32_e32 v10, 0x32a5705f, v7
	v_sub_f32_e32 v8, v8, v11
	v_add_f32_e32 v8, v8, v10
	v_exp_f32_e32 v8, v8
	v_cvt_i32_f32_e32 v10, v11
	v_cmp_ngt_f32_e32 vcc, s63, v7
	v_ldexp_f32 v8, v8, v10
	v_cndmask_b32_e32 v8, 0, v8, vcc
	v_cmp_nlt_f32_e32 vcc, s10, v7
	v_mul_f32_e32 v7, 0x3fb8aa3b, v6
	v_cndmask_b32_e32 v168, v161, v8, vcc
	;; [unrolled: 13-line block ×3, first 2 shown]
	v_fma_f32 v7, v5, s43, -v6
	v_rndne_f32_e32 v8, v6
	v_fmac_f32_e32 v7, 0x32a5705f, v5
	v_sub_f32_e32 v6, v6, v8
	v_add_f32_e32 v6, v6, v7
	v_exp_f32_e32 v6, v6
	v_cvt_i32_f32_e32 v7, v8
	v_cmp_ngt_f32_e32 vcc, s63, v5
	v_ldexp_f32 v6, v6, v7
	v_cndmask_b32_e32 v6, 0, v6, vcc
	v_cmp_nlt_f32_e32 vcc, s10, v5
	v_cndmask_b32_e32 v5, v161, v6, vcc
	v_mul_f32_e32 v6, 0x3fb8aa3b, v4
	v_fma_f32 v7, v4, s43, -v6
	v_rndne_f32_e32 v8, v6
	v_fmac_f32_e32 v7, 0x32a5705f, v4
	v_sub_f32_e32 v6, v6, v8
	v_add_f32_e32 v6, v6, v7
	v_exp_f32_e32 v6, v6
	v_cvt_i32_f32_e32 v7, v8
	v_cmp_ngt_f32_e32 vcc, s63, v4
	v_ldexp_f32 v6, v6, v7
	v_cndmask_b32_e32 v6, 0, v6, vcc
	v_cmp_nlt_f32_e32 vcc, s10, v4
	v_add_f32_e32 v4, v15, v14
	v_add_f32_e32 v4, v63, v4
	;; [unrolled: 1-line block ×12, first 2 shown]
	v_cndmask_b32_e32 v170, v161, v6, vcc
	v_add_f32_e32 v4, v168, v4
	v_add_f32_e32 v4, v170, v4
	;; [unrolled: 1-line block ×3, first 2 shown]
	v_sub_f32_e32 v4, v22, v2
	v_mul_f32_e32 v6, 0x3fb8aa3b, v4
	v_fma_f32 v7, v4, s43, -v6
	v_rndne_f32_e32 v8, v6
	v_fmac_f32_e32 v7, 0x32a5705f, v4
	v_sub_f32_e32 v6, v6, v8
	v_add_f32_e32 v6, v6, v7
	v_exp_f32_e32 v6, v6
	v_cvt_i32_f32_e32 v7, v8
	v_cmp_ngt_f32_e32 vcc, s63, v4
	v_cvt_f16_f32_e32 v8, v15
	v_cvt_f16_f32_e32 v5, v5
	v_ldexp_f32 v6, v6, v7
	v_cndmask_b32_e32 v6, 0, v6, vcc
	v_cmp_nlt_f32_e32 vcc, s10, v4
	v_cndmask_b32_e32 v6, v161, v6, vcc
	v_cmp_le_f32_e32 vcc, s11, v4
	v_cndmask_b32_e32 v4, 0, v6, vcc
	v_fmac_f32_e32 v25, v23, v4
	v_cvt_f16_f32_e32 v4, v4
	v_pk_mul_f16 v7, v4, v172 op_sel_hi:[0,1]
	v_pk_mul_f16 v6, v4, v171 op_sel_hi:[0,1]
	;; [unrolled: 1-line block ×12, first 2 shown]
	v_cvt_f16_f32_e32 v4, v14
	v_pack_b32_f16 v14, v8, v4
	v_cvt_f16_f32_e32 v4, v62
	v_cvt_f16_f32_e32 v8, v63
	;; [unrolled: 1-line block ×3, first 2 shown]
	v_mov_b32_e32 v63, s5
	v_pack_b32_f16 v15, v8, v4
	v_cvt_f16_f32_e32 v4, v64
	v_cvt_f16_f32_e32 v8, v65
	v_pack_b32_f16 v10, v8, v4
	v_cvt_f16_f32_e32 v4, v163
	v_cvt_f16_f32_e32 v8, v164
	v_cvt_f32_f16_e32 v164, v7
	v_pack_b32_f16 v11, v8, v4
	v_cvt_f16_f32_e32 v4, v165
	v_cvt_f16_f32_e32 v8, v166
	v_cvt_f32_f16_e32 v166, v6
	v_cvt_f32_f16_sdwa v165, v7 dst_sel:DWORD dst_unused:UNUSED_PAD src0_sel:WORD_1
	v_pack_b32_f16 v8, v8, v4
	v_cvt_f16_f32_e32 v4, v9
	v_cvt_f16_f32_e32 v9, v167
	v_cvt_f32_f16_sdwa v167, v6 dst_sel:DWORD dst_unused:UNUSED_PAD src0_sel:WORD_1
	v_pack_b32_f16 v9, v9, v4
	v_cvt_f16_f32_e32 v4, v168
	v_pack_b32_f16 v4, v62, v4
	v_cvt_f16_f32_e32 v62, v170
	v_pack_b32_f16 v5, v62, v5
	v_add_co_u32_e32 v62, vcc, s4, v32
	v_addc_co_u32_e32 v63, vcc, v63, v33, vcc
	v_add_co_u32_e32 v62, vcc, v62, v99
	v_addc_co_u32_e32 v63, vcc, 0, v63, vcc
	global_load_dwordx4 v[62:65], v[62:63], off offset:128
	s_waitcnt vmcnt(0)
	ds_write_b128 v59, v[62:65]
	v_add_co_u32_e32 v62, vcc, s4, v38
	v_mov_b32_e32 v63, s5
	v_addc_co_u32_e32 v63, vcc, v63, v39, vcc
	v_add_co_u32_e32 v62, vcc, v62, v101
	v_addc_co_u32_e32 v63, vcc, 0, v63, vcc
	global_load_dwordx4 v[62:65], v[62:63], off
	s_waitcnt vmcnt(0)
	ds_write_b128 v67, v[62:65]
	v_add_co_u32_e32 v62, vcc, s4, v40
	v_mov_b32_e32 v63, s5
	v_addc_co_u32_e32 v63, vcc, v63, v41, vcc
	v_add_co_u32_e32 v62, vcc, v62, v101
	v_addc_co_u32_e32 v63, vcc, 0, v63, vcc
	global_load_dwordx4 v[62:65], v[62:63], off
	s_waitcnt vmcnt(0)
	ds_write_b128 v153, v[62:65]
	s_waitcnt lgkmcnt(0)
	s_barrier
	ds_read_u16 v64, v81 offset:416
	v_add_u32_e32 v62, v80, v55
	ds_read_u16 v6, v62
	ds_read_u16 v65, v62 offset:32
	v_add_u32_e32 v63, v80, v53
	s_waitcnt lgkmcnt(1)
	v_perm_b32 v7, v6, v64, s54
	ds_read_u16 v6, v75
	ds_read_u16 v64, v75 offset:32
	ds_read_u16 v163, v63 offset:208
	ds_read_u16 v168, v63 offset:240
	ds_read_u16 v169, v75 offset:3328
	ds_read_u16 v170, v63 offset:3536
	ds_read_u16 v171, v83 offset:416
	ds_read_u16 v172, v62 offset:3328
	s_waitcnt lgkmcnt(5)
	v_perm_b32 v6, v163, v6, s54
	s_nop 1
	v_mfma_f32_16x16x16f16 v[164:167], v[6:7], v[14:15], v[164:167]
	s_nop 7
	s_nop 2
	v_cvt_f16_f32_e32 v6, v164
	v_cvt_f16_f32_e32 v7, v165
	;; [unrolled: 1-line block ×4, first 2 shown]
	v_cvt_f32_f16_e32 v164, v6
	v_cvt_f32_f16_e32 v165, v7
	s_waitcnt lgkmcnt(0)
	v_perm_b32 v7, v172, v171, s54
	v_perm_b32 v6, v170, v169, s54
	v_cvt_f32_f16_e32 v166, v163
	v_cvt_f32_f16_e32 v167, v167
	ds_read_u16 v169, v75 offset:6656
	ds_read_u16 v170, v63 offset:6864
	;; [unrolled: 1-line block ×4, first 2 shown]
	v_mfma_f32_16x16x16f16 v[164:167], v[6:7], v[10:11], v[164:167]
	s_nop 7
	s_nop 2
	v_cvt_f16_f32_e32 v6, v164
	v_cvt_f16_f32_e32 v7, v165
	;; [unrolled: 1-line block ×4, first 2 shown]
	v_cvt_f32_f16_e32 v164, v6
	v_cvt_f32_f16_e32 v165, v7
	s_waitcnt lgkmcnt(0)
	v_perm_b32 v7, v172, v171, s54
	v_perm_b32 v6, v170, v169, s54
	v_cvt_f32_f16_e32 v166, v163
	v_cvt_f32_f16_e32 v167, v167
	ds_read_u16 v169, v75 offset:9984
	ds_read_u16 v170, v63 offset:10192
	;; [unrolled: 1-line block ×4, first 2 shown]
	v_mfma_f32_16x16x16f16 v[164:167], v[6:7], v[8:9], v[164:167]
	s_nop 7
	s_nop 2
	v_cvt_f16_f32_e32 v6, v164
	v_cvt_f16_f32_e32 v7, v165
	;; [unrolled: 1-line block ×4, first 2 shown]
	v_cvt_f32_f16_e32 v164, v6
	v_cvt_f32_f16_e32 v165, v7
	s_waitcnt lgkmcnt(0)
	v_perm_b32 v7, v172, v171, s54
	v_perm_b32 v6, v170, v169, s54
	v_cvt_f32_f16_e32 v166, v163
	v_cvt_f32_f16_e32 v167, v167
	s_nop 1
	v_mfma_f32_16x16x16f16 v[164:167], v[6:7], v[4:5], v[164:167]
	s_nop 7
	s_nop 2
	v_cvt_f16_f32_e32 v6, v164
	v_cvt_f16_f32_e32 v7, v165
	;; [unrolled: 1-line block ×4, first 2 shown]
	v_cvt_f32_f16_sdwa v165, v13 dst_sel:DWORD dst_unused:UNUSED_PAD src0_sel:WORD_1
	v_pack_b32_f16 v6, v6, v7
	v_cvt_f32_f16_e32 v166, v12
	v_pack_b32_f16 v7, v163, v164
	ds_read_u16 v163, v86 offset:416
	v_cvt_f32_f16_e32 v164, v13
	v_cvt_f32_f16_sdwa v167, v12 dst_sel:DWORD dst_unused:UNUSED_PAD src0_sel:WORD_1
	v_perm_b32 v12, v168, v64, s54
	s_waitcnt lgkmcnt(0)
	v_perm_b32 v13, v65, v163, s54
	ds_read_u16 v163, v75 offset:3360
	ds_read_u16 v168, v63 offset:3568
	ds_read_u16 v169, v87 offset:416
	ds_read_u16 v170, v62 offset:3360
	v_mfma_f32_16x16x16f16 v[164:167], v[12:13], v[14:15], v[164:167]
	s_nop 7
	s_nop 2
	v_cvt_f16_f32_e32 v12, v164
	v_cvt_f16_f32_e32 v13, v165
	v_cvt_f16_f32_e32 v64, v166
	v_cvt_f16_f32_e32 v65, v167
	v_cvt_f32_f16_e32 v164, v12
	v_cvt_f32_f16_e32 v165, v13
	s_waitcnt lgkmcnt(0)
	v_perm_b32 v13, v170, v169, s54
	v_perm_b32 v12, v168, v163, s54
	v_cvt_f32_f16_e32 v166, v64
	v_cvt_f32_f16_e32 v167, v65
	ds_read_u16 v163, v75 offset:6688
	ds_read_u16 v168, v63 offset:6896
	ds_read_u16 v169, v88 offset:416
	ds_read_u16 v170, v62 offset:6688
	v_mfma_f32_16x16x16f16 v[164:167], v[12:13], v[10:11], v[164:167]
	s_nop 7
	s_nop 2
	v_cvt_f16_f32_e32 v12, v164
	v_cvt_f16_f32_e32 v13, v165
	v_cvt_f16_f32_e32 v64, v166
	v_cvt_f16_f32_e32 v65, v167
	v_cvt_f32_f16_e32 v164, v12
	v_cvt_f32_f16_e32 v165, v13
	s_waitcnt lgkmcnt(0)
	v_perm_b32 v13, v170, v169, s54
	v_perm_b32 v12, v168, v163, s54
	v_cvt_f32_f16_e32 v166, v64
	v_cvt_f32_f16_e32 v167, v65
	;; [unrolled: 18-line block ×3, first 2 shown]
	s_nop 1
	v_mfma_f32_16x16x16f16 v[164:167], v[12:13], v[4:5], v[164:167]
	s_nop 7
	s_nop 2
	v_cvt_f16_f32_e32 v12, v164
	v_cvt_f16_f32_e32 v13, v165
	;; [unrolled: 1-line block ×4, first 2 shown]
	v_cvt_f32_f16_e32 v164, v17
	v_pack_b32_f16 v12, v12, v13
	v_cvt_f32_f16_sdwa v165, v17 dst_sel:DWORD dst_unused:UNUSED_PAD src0_sel:WORD_1
	v_pack_b32_f16 v13, v64, v65
	ds_read_u16 v64, v75 offset:64
	ds_read_u16 v65, v63 offset:272
	;; [unrolled: 1-line block ×4, first 2 shown]
	v_cvt_f32_f16_e32 v166, v16
	v_cvt_f32_f16_sdwa v167, v16 dst_sel:DWORD dst_unused:UNUSED_PAD src0_sel:WORD_1
	s_waitcnt lgkmcnt(2)
	v_perm_b32 v16, v65, v64, s54
	s_waitcnt lgkmcnt(0)
	v_perm_b32 v17, v168, v163, s54
	ds_read_u16 v163, v75 offset:3392
	ds_read_u16 v168, v63 offset:3600
	ds_read_u16 v169, v91 offset:416
	ds_read_u16 v170, v62 offset:3392
	v_mfma_f32_16x16x16f16 v[164:167], v[16:17], v[14:15], v[164:167]
	s_nop 7
	s_nop 2
	v_cvt_f16_f32_e32 v16, v164
	v_cvt_f16_f32_e32 v17, v165
	v_cvt_f16_f32_e32 v64, v166
	v_cvt_f16_f32_e32 v65, v167
	v_cvt_f32_f16_e32 v164, v16
	v_cvt_f32_f16_e32 v165, v17
	s_waitcnt lgkmcnt(0)
	v_perm_b32 v17, v170, v169, s54
	v_perm_b32 v16, v168, v163, s54
	v_cvt_f32_f16_e32 v166, v64
	v_cvt_f32_f16_e32 v167, v65
	ds_read_u16 v163, v75 offset:6720
	ds_read_u16 v168, v63 offset:6928
	ds_read_u16 v169, v92 offset:416
	ds_read_u16 v170, v62 offset:6720
	v_mfma_f32_16x16x16f16 v[164:167], v[16:17], v[10:11], v[164:167]
	s_nop 7
	s_nop 2
	v_cvt_f16_f32_e32 v16, v164
	v_cvt_f16_f32_e32 v17, v165
	v_cvt_f16_f32_e32 v64, v166
	v_cvt_f16_f32_e32 v65, v167
	v_cvt_f32_f16_e32 v164, v16
	v_cvt_f32_f16_e32 v165, v17
	s_waitcnt lgkmcnt(0)
	v_perm_b32 v17, v170, v169, s54
	v_perm_b32 v16, v168, v163, s54
	v_cvt_f32_f16_e32 v166, v64
	v_cvt_f32_f16_e32 v167, v65
	;; [unrolled: 18-line block ×3, first 2 shown]
	s_nop 1
	v_mfma_f32_16x16x16f16 v[164:167], v[16:17], v[4:5], v[164:167]
	s_nop 7
	s_nop 2
	v_cvt_f16_f32_e32 v16, v164
	v_cvt_f16_f32_e32 v17, v165
	;; [unrolled: 1-line block ×4, first 2 shown]
	v_cvt_f32_f16_e32 v164, v19
	v_pack_b32_f16 v16, v16, v17
	v_cvt_f32_f16_sdwa v165, v19 dst_sel:DWORD dst_unused:UNUSED_PAD src0_sel:WORD_1
	v_pack_b32_f16 v17, v64, v65
	ds_read_u16 v64, v75 offset:96
	ds_read_u16 v65, v63 offset:304
	;; [unrolled: 1-line block ×4, first 2 shown]
	v_cvt_f32_f16_e32 v166, v18
	v_cvt_f32_f16_sdwa v167, v18 dst_sel:DWORD dst_unused:UNUSED_PAD src0_sel:WORD_1
	s_waitcnt lgkmcnt(2)
	v_perm_b32 v18, v65, v64, s54
	s_waitcnt lgkmcnt(0)
	v_perm_b32 v19, v168, v163, s54
	ds_read_u16 v163, v75 offset:3424
	ds_read_u16 v168, v63 offset:3632
	ds_read_u16 v169, v95 offset:416
	ds_read_u16 v170, v62 offset:3424
	v_mfma_f32_16x16x16f16 v[164:167], v[18:19], v[14:15], v[164:167]
	s_nop 7
	s_nop 2
	v_cvt_f16_f32_e32 v18, v164
	v_cvt_f16_f32_e32 v19, v165
	v_cvt_f16_f32_e32 v64, v166
	v_cvt_f16_f32_e32 v65, v167
	v_cvt_f32_f16_e32 v164, v18
	v_cvt_f32_f16_e32 v165, v19
	s_waitcnt lgkmcnt(0)
	v_perm_b32 v19, v170, v169, s54
	v_perm_b32 v18, v168, v163, s54
	v_cvt_f32_f16_e32 v166, v64
	v_cvt_f32_f16_e32 v167, v65
	ds_read_u16 v163, v75 offset:6752
	ds_read_u16 v168, v63 offset:6960
	ds_read_u16 v169, v96 offset:416
	ds_read_u16 v170, v62 offset:6752
	v_mfma_f32_16x16x16f16 v[164:167], v[18:19], v[10:11], v[164:167]
	s_nop 7
	s_nop 2
	v_cvt_f16_f32_e32 v18, v164
	v_cvt_f16_f32_e32 v19, v165
	v_cvt_f16_f32_e32 v64, v166
	v_cvt_f16_f32_e32 v65, v167
	v_cvt_f32_f16_e32 v164, v18
	v_cvt_f32_f16_e32 v165, v19
	s_waitcnt lgkmcnt(0)
	v_perm_b32 v19, v170, v169, s54
	v_perm_b32 v18, v168, v163, s54
	v_cvt_f32_f16_e32 v166, v64
	v_cvt_f32_f16_e32 v167, v65
	ds_read_u16 v163, v75 offset:10080
	ds_read_u16 v168, v63 offset:10288
	ds_read_u16 v169, v98 offset:416
	ds_read_u16 v170, v62 offset:10080
	v_mfma_f32_16x16x16f16 v[164:167], v[18:19], v[8:9], v[164:167]
	s_nop 7
	s_nop 2
	v_cvt_f16_f32_e32 v18, v164
	v_cvt_f16_f32_e32 v19, v165
	v_cvt_f16_f32_e32 v64, v166
	v_cvt_f16_f32_e32 v65, v167
	v_cvt_f32_f16_e32 v164, v18
	v_cvt_f32_f16_e32 v165, v19
	s_waitcnt lgkmcnt(0)
	v_perm_b32 v19, v170, v169, s54
	v_perm_b32 v18, v168, v163, s54
	v_cvt_f32_f16_e32 v166, v64
	v_cvt_f32_f16_e32 v167, v65
	s_nop 1
	v_mfma_f32_16x16x16f16 v[164:167], v[18:19], v[4:5], v[164:167]
	s_nop 7
	s_nop 2
	v_cvt_f16_f32_e32 v18, v164
	v_cvt_f16_f32_e32 v19, v165
	;; [unrolled: 1-line block ×4, first 2 shown]
	v_cvt_f32_f16_e32 v164, v21
	v_pack_b32_f16 v18, v18, v19
	v_cvt_f32_f16_sdwa v165, v21 dst_sel:DWORD dst_unused:UNUSED_PAD src0_sel:WORD_1
	v_pack_b32_f16 v19, v64, v65
	ds_read_u16 v64, v75 offset:128
	ds_read_u16 v65, v63 offset:336
	;; [unrolled: 1-line block ×4, first 2 shown]
	v_cvt_f32_f16_e32 v166, v20
	v_cvt_f32_f16_sdwa v167, v20 dst_sel:DWORD dst_unused:UNUSED_PAD src0_sel:WORD_1
	s_waitcnt lgkmcnt(2)
	v_perm_b32 v20, v65, v64, s54
	s_waitcnt lgkmcnt(0)
	v_perm_b32 v21, v168, v163, s54
	ds_read_u16 v163, v75 offset:3456
	ds_read_u16 v168, v63 offset:3664
	ds_read_u16 v169, v102 offset:416
	ds_read_u16 v170, v62 offset:3456
	v_mfma_f32_16x16x16f16 v[164:167], v[20:21], v[14:15], v[164:167]
	s_nop 7
	s_nop 2
	v_cvt_f16_f32_e32 v20, v164
	v_cvt_f16_f32_e32 v21, v165
	v_cvt_f16_f32_e32 v64, v166
	v_cvt_f16_f32_e32 v65, v167
	v_cvt_f32_f16_e32 v164, v20
	v_cvt_f32_f16_e32 v165, v21
	s_waitcnt lgkmcnt(0)
	v_perm_b32 v21, v170, v169, s54
	v_perm_b32 v20, v168, v163, s54
	v_cvt_f32_f16_e32 v166, v64
	v_cvt_f32_f16_e32 v167, v65
	ds_read_u16 v163, v75 offset:6784
	ds_read_u16 v168, v63 offset:6992
	ds_read_u16 v169, v103 offset:416
	ds_read_u16 v170, v62 offset:6784
	v_mfma_f32_16x16x16f16 v[164:167], v[20:21], v[10:11], v[164:167]
	s_nop 7
	s_nop 2
	v_cvt_f16_f32_e32 v20, v164
	v_cvt_f16_f32_e32 v21, v165
	v_cvt_f16_f32_e32 v64, v166
	v_cvt_f16_f32_e32 v65, v167
	v_cvt_f32_f16_e32 v164, v20
	v_cvt_f32_f16_e32 v165, v21
	s_waitcnt lgkmcnt(0)
	v_perm_b32 v21, v170, v169, s54
	v_perm_b32 v20, v168, v163, s54
	v_cvt_f32_f16_e32 v166, v64
	v_cvt_f32_f16_e32 v167, v65
	;; [unrolled: 18-line block ×3, first 2 shown]
	s_nop 1
	v_mfma_f32_16x16x16f16 v[164:167], v[20:21], v[4:5], v[164:167]
	s_nop 7
	s_nop 2
	v_cvt_f16_f32_e32 v20, v164
	v_cvt_f16_f32_e32 v21, v165
	;; [unrolled: 1-line block ×4, first 2 shown]
	v_cvt_f32_f16_e32 v164, v23
	v_pack_b32_f16 v20, v20, v21
	v_cvt_f32_f16_sdwa v165, v23 dst_sel:DWORD dst_unused:UNUSED_PAD src0_sel:WORD_1
	v_pack_b32_f16 v21, v64, v65
	ds_read_u16 v64, v75 offset:160
	ds_read_u16 v65, v63 offset:368
	;; [unrolled: 1-line block ×4, first 2 shown]
	v_cvt_f32_f16_e32 v166, v22
	v_cvt_f32_f16_sdwa v167, v22 dst_sel:DWORD dst_unused:UNUSED_PAD src0_sel:WORD_1
	s_waitcnt lgkmcnt(2)
	v_perm_b32 v22, v65, v64, s54
	s_waitcnt lgkmcnt(0)
	v_perm_b32 v23, v168, v163, s54
	ds_read_u16 v64, v75 offset:3488
	ds_read_u16 v65, v63 offset:3696
	;; [unrolled: 1-line block ×4, first 2 shown]
	v_mfma_f32_16x16x16f16 v[164:167], v[22:23], v[14:15], v[164:167]
	s_nop 7
	s_nop 2
	v_cvt_f16_f32_e32 v14, v164
	v_cvt_f16_f32_e32 v15, v165
	v_cvt_f16_f32_e32 v22, v166
	v_cvt_f16_f32_e32 v23, v167
	v_cvt_f32_f16_e32 v164, v14
	v_cvt_f32_f16_e32 v165, v15
	s_waitcnt lgkmcnt(0)
	v_perm_b32 v15, v168, v163, s54
	v_perm_b32 v14, v65, v64, s54
	v_cvt_f32_f16_e32 v166, v22
	v_cvt_f32_f16_e32 v167, v23
	ds_read_u16 v22, v75 offset:6816
	ds_read_u16 v23, v63 offset:7024
	;; [unrolled: 1-line block ×4, first 2 shown]
	v_mfma_f32_16x16x16f16 v[164:167], v[14:15], v[10:11], v[164:167]
	s_nop 7
	s_nop 2
	v_cvt_f16_f32_e32 v10, v164
	v_cvt_f16_f32_e32 v11, v165
	;; [unrolled: 1-line block ×4, first 2 shown]
	v_cvt_f32_f16_e32 v164, v10
	v_cvt_f32_f16_e32 v165, v11
	s_waitcnt lgkmcnt(0)
	v_perm_b32 v11, v65, v64, s54
	v_perm_b32 v10, v23, v22, s54
	v_cvt_f32_f16_e32 v166, v14
	v_cvt_f32_f16_e32 v167, v15
	s_nop 1
	v_mfma_f32_16x16x16f16 v[164:167], v[10:11], v[8:9], v[164:167]
	ds_read_u16 v8, v75 offset:10144
	ds_read_u16 v9, v63 offset:10352
	;; [unrolled: 1-line block ×4, first 2 shown]
	s_waitcnt lgkmcnt(0)
	s_barrier
	s_nop 4
	v_cvt_f16_f32_e32 v11, v164
	v_cvt_f16_f32_e32 v14, v165
	;; [unrolled: 1-line block ×4, first 2 shown]
	v_cvt_f32_f16_e32 v62, v11
	v_perm_b32 v11, v23, v10, s54
	v_perm_b32 v10, v9, v8, s54
	v_cvt_f32_f16_e32 v63, v14
	v_cvt_f32_f16_e32 v64, v15
	;; [unrolled: 1-line block ×3, first 2 shown]
	s_nop 1
	v_mfma_f32_16x16x16f16 v[8:11], v[10:11], v[4:5], v[62:65]
	s_nop 7
	s_nop 2
	v_cvt_f16_f32_e32 v4, v8
	v_cvt_f16_f32_e32 v5, v9
	;; [unrolled: 1-line block ×4, first 2 shown]
	v_pack_b32_f16 v4, v4, v5
	v_pack_b32_f16 v5, v8, v9
	ds_bpermute_b32 v8, v24, v25
	s_waitcnt lgkmcnt(0)
	v_add_f32_e32 v8, v25, v8
	ds_bpermute_b32 v3, v3, v8
	s_waitcnt lgkmcnt(0)
	v_add_f32_e32 v3, v8, v3
	s_cbranch_scc0 .LBB14_193
; %bb.75:                               ;   in Loop: Header=BB14_15 Depth=1
	v_lshlrev_b32_e32 v8, 2, v28
	global_load_dword v9, v8, s[70:71]
	v_max_f32_e32 v8, v2, v2
	s_waitcnt vmcnt(0)
	v_max_f32_e32 v10, v9, v9
	v_max_f32_e32 v8, v8, v10
	v_sub_f32_e32 v10, v2, v8
	v_sub_f32_e32 v9, v9, v8
	v_mul_f32_e32 v11, 0x3fb8aa3b, v10
	v_mul_f32_e32 v14, 0x3fb8aa3b, v9
	v_fma_f32 v15, v10, s43, -v11
	v_rndne_f32_e32 v22, v11
	v_fma_f32 v23, v9, s43, -v14
	v_rndne_f32_e32 v24, v14
	v_fmac_f32_e32 v15, 0x32a5705f, v10
	v_sub_f32_e32 v11, v11, v22
	v_fmac_f32_e32 v23, 0x32a5705f, v9
	v_sub_f32_e32 v14, v14, v24
	v_add_f32_e32 v11, v11, v15
	v_cvt_i32_f32_e32 v22, v22
	v_add_f32_e32 v14, v14, v23
	v_exp_f32_e32 v11, v11
	v_cvt_i32_f32_e32 v24, v24
	v_exp_f32_e32 v14, v14
	v_cmp_ngt_f32_e32 vcc, s63, v10
	v_ldexp_f32 v11, v11, v22
	v_cndmask_b32_e32 v11, 0, v11, vcc
	v_ldexp_f32 v14, v14, v24
	v_cmp_ngt_f32_e32 vcc, s63, v9
	v_cndmask_b32_e32 v14, 0, v14, vcc
	v_cmp_nlt_f32_e32 vcc, s10, v10
	v_cndmask_b32_e32 v11, v161, v11, vcc
	v_cmp_le_f32_e32 vcc, s11, v10
	v_cndmask_b32_e32 v10, 0, v11, vcc
	v_cvt_f16_f32_e32 v65, v10
	v_cmp_nlt_f32_e32 vcc, s10, v9
	v_cndmask_b32_e32 v9, v161, v14, vcc
	v_fmac_f32_e32 v9, v3, v10
	v_pk_mul_f16 v10, v65, v6 op_sel_hi:[0,1]
	v_pk_mul_f16 v11, v65, v7 op_sel_hi:[0,1]
	;; [unrolled: 1-line block ×12, first 2 shown]
	s_cbranch_execnz .LBB14_77
.LBB14_76:                              ;   in Loop: Header=BB14_15 Depth=1
	v_pk_mov_b32 v[24:25], v[18:19], v[18:19] op_sel:[0,1]
	v_pk_mov_b32 v[22:23], v[16:17], v[16:17] op_sel:[0,1]
	;; [unrolled: 1-line block ×7, first 2 shown]
.LBB14_77:                              ;   in Loop: Header=BB14_15 Depth=1
	s_barrier
	s_mov_b64 s[4:5], exec
	v_readlane_b32 s8, v217, 24
	v_readlane_b32 s9, v217, 25
	s_and_b64 s[8:9], s[4:5], s[8:9]
	s_mov_b64 exec, s[8:9]
	s_cbranch_execz .LBB14_79
; %bb.78:                               ;   in Loop: Header=BB14_15 Depth=1
	global_store_dwordx2 v[30:31], v[8:9], off
.LBB14_79:                              ;   in Loop: Header=BB14_15 Depth=1
	s_or_b64 exec, exec, s[4:5]
	v_cmp_gt_i32_e64 s[4:5], s28, v79
	v_cmp_gt_i32_e64 s[8:9], s33, v27
	v_cmp_le_i32_e32 vcc, s33, v27
	s_and_b64 s[4:5], s[4:5], s[8:9]
	v_mov_b32_e32 v2, 50
	ds_write2_b32 v149, v10, v11 offset1:1
	ds_write2_b32 v149, v14, v15 offset0:8 offset1:9
	ds_write2_b32 v149, v22, v23 offset0:16 offset1:17
	;; [unrolled: 1-line block ×5, first 2 shown]
	s_waitcnt lgkmcnt(0)
	s_barrier
	s_and_saveexec_b64 s[8:9], s[4:5]
	s_cbranch_execz .LBB14_81
; %bb.80:                               ;   in Loop: Header=BB14_15 Depth=1
	ds_read_b32 v4, v124
	v_mad_u64_u32 v[2:3], s[4:5], v79, s29, v[54:55]
	v_mad_u64_u32 v[2:3], s[4:5], v2, 48, v[46:47]
	s_waitcnt lgkmcnt(0)
	v_cvt_f32_f16_sdwa v5, v4 dst_sel:DWORD dst_unused:UNUSED_PAD src0_sel:WORD_1
	v_cvt_f32_f16_e32 v4, v4
	v_ashrrev_i32_e32 v3, 31, v2
	v_lshlrev_b64 v[2:3], 3, v[2:3]
	v_mov_b32_e32 v6, s61
	v_add_co_u32_e64 v2, s[4:5], s60, v2
	v_addc_co_u32_e64 v3, s[4:5], v6, v3, s[4:5]
	v_pk_add_f32 v[4:5], v[4:5], 0 op_sel_hi:[1,0]
	global_store_dwordx2 v[2:3], v[4:5], off
	v_mov_b32_e32 v2, 0
.LBB14_81:                              ;   in Loop: Header=BB14_15 Depth=1
	s_or_b64 exec, exec, s[8:9]
	v_cmp_gt_i32_e64 s[4:5], 50, v2
	s_mov_b64 s[72:73], -1
	s_and_saveexec_b64 s[8:9], s[4:5]
; %bb.82:                               ;   in Loop: Header=BB14_15 Depth=1
	v_cmp_eq_u32_e64 s[4:5], 0, v2
	s_orn2_b64 s[72:73], s[4:5], exec
; %bb.83:                               ;   in Loop: Header=BB14_15 Depth=1
	s_or_b64 exec, exec, s[8:9]
	s_and_saveexec_b64 s[8:9], s[72:73]
	s_cbranch_execz .LBB14_116
; %bb.84:                               ;   in Loop: Header=BB14_15 Depth=1
	v_cmp_gt_i32_e64 s[4:5], s28, v78
	s_xor_b64 s[72:73], vcc, -1
	s_and_b64 s[74:75], s[4:5], s[72:73]
	v_mov_b32_e32 v2, 50
	s_and_saveexec_b64 s[4:5], s[74:75]
	s_cbranch_execz .LBB14_86
; %bb.85:                               ;   in Loop: Header=BB14_15 Depth=1
	ds_read_b32 v4, v124 offset:1664
	v_mad_u64_u32 v[2:3], s[74:75], v78, s29, v[54:55]
	v_mad_u64_u32 v[2:3], s[74:75], v2, 48, v[46:47]
	s_waitcnt lgkmcnt(0)
	v_cvt_f32_f16_sdwa v5, v4 dst_sel:DWORD dst_unused:UNUSED_PAD src0_sel:WORD_1
	v_cvt_f32_f16_e32 v4, v4
	v_ashrrev_i32_e32 v3, 31, v2
	v_lshlrev_b64 v[2:3], 3, v[2:3]
	v_mov_b32_e32 v6, s61
	v_add_co_u32_e32 v2, vcc, s60, v2
	v_addc_co_u32_e32 v3, vcc, v6, v3, vcc
	v_pk_add_f32 v[4:5], v[4:5], 0 op_sel_hi:[1,0]
	global_store_dwordx2 v[2:3], v[4:5], off
	v_mov_b32_e32 v2, 0
.LBB14_86:                              ;   in Loop: Header=BB14_15 Depth=1
	s_or_b64 exec, exec, s[4:5]
	v_cmp_gt_i32_e32 vcc, 50, v2
	s_mov_b64 s[4:5], -1
	s_and_saveexec_b64 s[74:75], vcc
; %bb.87:                               ;   in Loop: Header=BB14_15 Depth=1
	v_cmp_eq_u32_e32 vcc, 0, v2
	s_orn2_b64 s[4:5], vcc, exec
; %bb.88:                               ;   in Loop: Header=BB14_15 Depth=1
	s_or_b64 exec, exec, s[74:75]
	s_and_b64 exec, exec, s[4:5]
	s_cbranch_execz .LBB14_116
; %bb.89:                               ;   in Loop: Header=BB14_15 Depth=1
	v_cmp_gt_i32_e32 vcc, s28, v77
	s_and_b64 s[74:75], vcc, s[72:73]
	v_mov_b32_e32 v2, 50
	s_and_saveexec_b64 s[4:5], s[74:75]
	s_cbranch_execz .LBB14_91
; %bb.90:                               ;   in Loop: Header=BB14_15 Depth=1
	ds_read_b32 v4, v126
	v_mad_u64_u32 v[2:3], s[74:75], v77, s29, v[54:55]
	v_mad_u64_u32 v[2:3], s[74:75], v2, 48, v[46:47]
	s_waitcnt lgkmcnt(0)
	v_cvt_f32_f16_sdwa v5, v4 dst_sel:DWORD dst_unused:UNUSED_PAD src0_sel:WORD_1
	v_cvt_f32_f16_e32 v4, v4
	v_ashrrev_i32_e32 v3, 31, v2
	v_lshlrev_b64 v[2:3], 3, v[2:3]
	v_mov_b32_e32 v6, s61
	v_add_co_u32_e32 v2, vcc, s60, v2
	v_addc_co_u32_e32 v3, vcc, v6, v3, vcc
	v_pk_add_f32 v[4:5], v[4:5], 0 op_sel_hi:[1,0]
	global_store_dwordx2 v[2:3], v[4:5], off
	v_mov_b32_e32 v2, 0
.LBB14_91:                              ;   in Loop: Header=BB14_15 Depth=1
	s_or_b64 exec, exec, s[4:5]
	v_cmp_gt_i32_e32 vcc, 50, v2
	s_mov_b64 s[4:5], -1
	s_and_saveexec_b64 s[74:75], vcc
; %bb.92:                               ;   in Loop: Header=BB14_15 Depth=1
	v_cmp_eq_u32_e32 vcc, 0, v2
	s_orn2_b64 s[4:5], vcc, exec
; %bb.93:                               ;   in Loop: Header=BB14_15 Depth=1
	s_or_b64 exec, exec, s[74:75]
	s_and_b64 exec, exec, s[4:5]
	s_cbranch_execz .LBB14_116
; %bb.94:                               ;   in Loop: Header=BB14_15 Depth=1
	v_cmp_gt_i32_e32 vcc, s28, v76
	s_and_b64 s[74:75], vcc, s[72:73]
	v_mov_b32_e32 v2, 50
	s_and_saveexec_b64 s[4:5], s[74:75]
	s_cbranch_execz .LBB14_96
; %bb.95:                               ;   in Loop: Header=BB14_15 Depth=1
	ds_read_b32 v4, v124 offset:4992
	v_mad_u64_u32 v[2:3], s[74:75], v76, s29, v[54:55]
	v_mad_u64_u32 v[2:3], s[74:75], v2, 48, v[46:47]
	s_waitcnt lgkmcnt(0)
	v_cvt_f32_f16_sdwa v5, v4 dst_sel:DWORD dst_unused:UNUSED_PAD src0_sel:WORD_1
	v_cvt_f32_f16_e32 v4, v4
	v_ashrrev_i32_e32 v3, 31, v2
	v_lshlrev_b64 v[2:3], 3, v[2:3]
	v_mov_b32_e32 v6, s61
	v_add_co_u32_e32 v2, vcc, s60, v2
	v_addc_co_u32_e32 v3, vcc, v6, v3, vcc
	v_pk_add_f32 v[4:5], v[4:5], 0 op_sel_hi:[1,0]
	global_store_dwordx2 v[2:3], v[4:5], off
	v_mov_b32_e32 v2, 0
.LBB14_96:                              ;   in Loop: Header=BB14_15 Depth=1
	s_or_b64 exec, exec, s[4:5]
	v_cmp_gt_i32_e32 vcc, 50, v2
	s_mov_b64 s[4:5], -1
	s_and_saveexec_b64 s[74:75], vcc
; %bb.97:                               ;   in Loop: Header=BB14_15 Depth=1
	v_cmp_eq_u32_e32 vcc, 0, v2
	s_orn2_b64 s[4:5], vcc, exec
; %bb.98:                               ;   in Loop: Header=BB14_15 Depth=1
	s_or_b64 exec, exec, s[74:75]
	s_and_b64 exec, exec, s[4:5]
	s_cbranch_execz .LBB14_116
; %bb.99:                               ;   in Loop: Header=BB14_15 Depth=1
	v_cmp_gt_i32_e32 vcc, s28, v74
	s_and_b64 s[74:75], vcc, s[72:73]
	v_mov_b32_e32 v2, 50
	s_and_saveexec_b64 s[4:5], s[74:75]
	s_cbranch_execz .LBB14_101
; %bb.100:                              ;   in Loop: Header=BB14_15 Depth=1
	ds_read_b32 v4, v128
	v_mad_u64_u32 v[2:3], s[74:75], v74, s29, v[54:55]
	v_mad_u64_u32 v[2:3], s[74:75], v2, 48, v[46:47]
	s_waitcnt lgkmcnt(0)
	v_cvt_f32_f16_sdwa v5, v4 dst_sel:DWORD dst_unused:UNUSED_PAD src0_sel:WORD_1
	v_cvt_f32_f16_e32 v4, v4
	v_ashrrev_i32_e32 v3, 31, v2
	v_lshlrev_b64 v[2:3], 3, v[2:3]
	v_mov_b32_e32 v6, s61
	v_add_co_u32_e32 v2, vcc, s60, v2
	v_addc_co_u32_e32 v3, vcc, v6, v3, vcc
	v_pk_add_f32 v[4:5], v[4:5], 0 op_sel_hi:[1,0]
	global_store_dwordx2 v[2:3], v[4:5], off
	v_mov_b32_e32 v2, 0
.LBB14_101:                             ;   in Loop: Header=BB14_15 Depth=1
	s_or_b64 exec, exec, s[4:5]
	v_cmp_gt_i32_e32 vcc, 50, v2
	s_mov_b64 s[4:5], -1
	s_and_saveexec_b64 s[74:75], vcc
; %bb.102:                              ;   in Loop: Header=BB14_15 Depth=1
	v_cmp_eq_u32_e32 vcc, 0, v2
	s_orn2_b64 s[4:5], vcc, exec
; %bb.103:                              ;   in Loop: Header=BB14_15 Depth=1
	s_or_b64 exec, exec, s[74:75]
	s_and_b64 exec, exec, s[4:5]
	s_cbranch_execz .LBB14_116
; %bb.104:                              ;   in Loop: Header=BB14_15 Depth=1
	v_cmp_gt_i32_e32 vcc, s28, v72
	s_and_b64 s[74:75], vcc, s[72:73]
	v_mov_b32_e32 v2, 50
	s_and_saveexec_b64 s[4:5], s[74:75]
	s_cbranch_execz .LBB14_106
; %bb.105:                              ;   in Loop: Header=BB14_15 Depth=1
	ds_read_b32 v4, v124 offset:8320
	v_mad_u64_u32 v[2:3], s[74:75], v72, s29, v[54:55]
	v_mad_u64_u32 v[2:3], s[74:75], v2, 48, v[46:47]
	s_waitcnt lgkmcnt(0)
	v_cvt_f32_f16_sdwa v5, v4 dst_sel:DWORD dst_unused:UNUSED_PAD src0_sel:WORD_1
	v_cvt_f32_f16_e32 v4, v4
	v_ashrrev_i32_e32 v3, 31, v2
	v_lshlrev_b64 v[2:3], 3, v[2:3]
	v_mov_b32_e32 v6, s61
	v_add_co_u32_e32 v2, vcc, s60, v2
	v_addc_co_u32_e32 v3, vcc, v6, v3, vcc
	v_pk_add_f32 v[4:5], v[4:5], 0 op_sel_hi:[1,0]
	global_store_dwordx2 v[2:3], v[4:5], off
	v_mov_b32_e32 v2, 0
.LBB14_106:                             ;   in Loop: Header=BB14_15 Depth=1
	s_or_b64 exec, exec, s[4:5]
	v_cmp_gt_i32_e32 vcc, 50, v2
	s_mov_b64 s[4:5], -1
	s_and_saveexec_b64 s[74:75], vcc
; %bb.107:                              ;   in Loop: Header=BB14_15 Depth=1
	v_cmp_eq_u32_e32 vcc, 0, v2
	s_orn2_b64 s[4:5], vcc, exec
; %bb.108:                              ;   in Loop: Header=BB14_15 Depth=1
	s_or_b64 exec, exec, s[74:75]
	s_and_b64 exec, exec, s[4:5]
	s_cbranch_execz .LBB14_116
; %bb.109:                              ;   in Loop: Header=BB14_15 Depth=1
	v_cmp_gt_i32_e32 vcc, s28, v71
	s_and_b64 s[74:75], vcc, s[72:73]
	v_mov_b32_e32 v2, 50
	s_and_saveexec_b64 s[4:5], s[74:75]
	s_cbranch_execz .LBB14_111
; %bb.110:                              ;   in Loop: Header=BB14_15 Depth=1
	ds_read_b32 v4, v130
	v_mad_u64_u32 v[2:3], s[74:75], v71, s29, v[54:55]
	v_mad_u64_u32 v[2:3], s[74:75], v2, 48, v[46:47]
	s_waitcnt lgkmcnt(0)
	v_cvt_f32_f16_sdwa v5, v4 dst_sel:DWORD dst_unused:UNUSED_PAD src0_sel:WORD_1
	v_cvt_f32_f16_e32 v4, v4
	v_ashrrev_i32_e32 v3, 31, v2
	v_lshlrev_b64 v[2:3], 3, v[2:3]
	v_mov_b32_e32 v6, s61
	v_add_co_u32_e32 v2, vcc, s60, v2
	v_addc_co_u32_e32 v3, vcc, v6, v3, vcc
	v_pk_add_f32 v[4:5], v[4:5], 0 op_sel_hi:[1,0]
	global_store_dwordx2 v[2:3], v[4:5], off
	v_mov_b32_e32 v2, 0
.LBB14_111:                             ;   in Loop: Header=BB14_15 Depth=1
	s_or_b64 exec, exec, s[4:5]
	v_cmp_gt_i32_e32 vcc, 50, v2
	s_mov_b64 s[4:5], -1
	s_and_saveexec_b64 s[74:75], vcc
; %bb.112:                              ;   in Loop: Header=BB14_15 Depth=1
	v_cmp_eq_u32_e32 vcc, 0, v2
	s_orn2_b64 s[4:5], vcc, exec
; %bb.113:                              ;   in Loop: Header=BB14_15 Depth=1
	s_or_b64 exec, exec, s[74:75]
	s_and_b64 exec, exec, s[4:5]
	s_cbranch_execz .LBB14_116
; %bb.114:                              ;   in Loop: Header=BB14_15 Depth=1
	v_cmp_gt_i32_e32 vcc, s28, v68
	s_and_b64 s[4:5], vcc, s[72:73]
	s_and_b64 exec, exec, s[4:5]
	s_cbranch_execz .LBB14_116
; %bb.115:                              ;   in Loop: Header=BB14_15 Depth=1
	ds_read_b32 v4, v124 offset:11648
	v_mad_u64_u32 v[2:3], s[4:5], v68, s29, v[54:55]
	v_mad_u64_u32 v[2:3], s[4:5], v2, 48, v[46:47]
	s_waitcnt lgkmcnt(0)
	v_cvt_f32_f16_sdwa v5, v4 dst_sel:DWORD dst_unused:UNUSED_PAD src0_sel:WORD_1
	v_cvt_f32_f16_e32 v4, v4
	v_ashrrev_i32_e32 v3, 31, v2
	v_lshlrev_b64 v[2:3], 3, v[2:3]
	v_mov_b32_e32 v6, s61
	v_add_co_u32_e32 v2, vcc, s60, v2
	v_addc_co_u32_e32 v3, vcc, v6, v3, vcc
	v_pk_add_f32 v[4:5], v[4:5], 0 op_sel_hi:[1,0]
	global_store_dwordx2 v[2:3], v[4:5], off
.LBB14_116:                             ;   in Loop: Header=BB14_15 Depth=1
	s_or_b64 exec, exec, s[8:9]
	v_cmp_gt_i32_e64 s[4:5], s28, v66
	v_cmp_gt_i32_e64 s[8:9], s33, v70
	v_cmp_le_i32_e32 vcc, s33, v70
	s_and_b64 s[4:5], s[4:5], s[8:9]
	v_mov_b32_e32 v2, 50
	s_and_saveexec_b64 s[8:9], s[4:5]
	s_cbranch_execz .LBB14_118
; %bb.117:                              ;   in Loop: Header=BB14_15 Depth=1
	ds_read_b32 v4, v115 offset:128
	v_mad_u64_u32 v[2:3], s[4:5], v66, s29, v[48:49]
	v_mul_lo_u32 v2, v2, 48
	v_ashrrev_i32_e32 v3, 31, v2
	s_waitcnt lgkmcnt(0)
	v_cvt_f32_f16_sdwa v5, v4 dst_sel:DWORD dst_unused:UNUSED_PAD src0_sel:WORD_1
	v_cvt_f32_f16_e32 v4, v4
	v_or_b32_e32 v3, 0, v3
	v_or_b32_e32 v2, v2, v26
	v_lshlrev_b64 v[2:3], 3, v[2:3]
	v_mov_b32_e32 v6, s61
	v_add_co_u32_e64 v2, s[4:5], s60, v2
	v_addc_co_u32_e64 v3, s[4:5], v6, v3, s[4:5]
	v_pk_add_f32 v[4:5], v[4:5], 0 op_sel_hi:[1,0]
	global_store_dwordx2 v[2:3], v[4:5], off offset:256
	v_mov_b32_e32 v2, 0
.LBB14_118:                             ;   in Loop: Header=BB14_15 Depth=1
	s_or_b64 exec, exec, s[8:9]
	v_cmp_gt_i32_e64 s[4:5], 50, v2
	s_mov_b64 s[76:77], -1
	s_and_saveexec_b64 s[8:9], s[4:5]
; %bb.119:                              ;   in Loop: Header=BB14_15 Depth=1
	v_cmp_eq_u32_e64 s[4:5], 0, v2
	s_orn2_b64 s[76:77], s[4:5], exec
; %bb.120:                              ;   in Loop: Header=BB14_15 Depth=1
	s_or_b64 exec, exec, s[8:9]
	s_mov_b64 s[72:73], 0
	s_mov_b64 s[8:9], 0
                                        ; implicit-def: $vgpr2_vgpr3
	s_and_saveexec_b64 s[74:75], s[76:77]
	s_cbranch_execz .LBB14_136
; %bb.121:                              ;   in Loop: Header=BB14_15 Depth=1
	v_cmp_gt_i32_e64 s[4:5], s28, v61
	s_xor_b64 s[8:9], vcc, -1
	s_and_b64 s[76:77], s[4:5], s[8:9]
	v_mov_b32_e32 v2, 50
	s_and_saveexec_b64 s[4:5], s[76:77]
	s_cbranch_execz .LBB14_123
; %bb.122:                              ;   in Loop: Header=BB14_15 Depth=1
	ds_read_b32 v4, v120 offset:128
	v_mad_u64_u32 v[2:3], s[76:77], v61, s29, v[48:49]
	v_mul_lo_u32 v2, v2, 48
	v_ashrrev_i32_e32 v3, 31, v2
	s_waitcnt lgkmcnt(0)
	v_cvt_f32_f16_sdwa v5, v4 dst_sel:DWORD dst_unused:UNUSED_PAD src0_sel:WORD_1
	v_cvt_f32_f16_e32 v4, v4
	v_or_b32_e32 v3, 0, v3
	v_or_b32_e32 v2, v2, v26
	v_lshlrev_b64 v[2:3], 3, v[2:3]
	v_mov_b32_e32 v6, s61
	v_add_co_u32_e32 v2, vcc, s60, v2
	v_addc_co_u32_e32 v3, vcc, v6, v3, vcc
	v_pk_add_f32 v[4:5], v[4:5], 0 op_sel_hi:[1,0]
	global_store_dwordx2 v[2:3], v[4:5], off offset:256
	v_mov_b32_e32 v2, 0
.LBB14_123:                             ;   in Loop: Header=BB14_15 Depth=1
	s_or_b64 exec, exec, s[4:5]
	v_cmp_gt_i32_e32 vcc, 50, v2
	s_mov_b64 s[78:79], -1
	s_and_saveexec_b64 s[4:5], vcc
; %bb.124:                              ;   in Loop: Header=BB14_15 Depth=1
	v_cmp_eq_u32_e32 vcc, 0, v2
	s_orn2_b64 s[78:79], vcc, exec
; %bb.125:                              ;   in Loop: Header=BB14_15 Depth=1
	s_or_b64 exec, exec, s[4:5]
	s_mov_b64 s[76:77], 0
                                        ; implicit-def: $vgpr2_vgpr3
	s_and_saveexec_b64 s[4:5], s[78:79]
	s_cbranch_execz .LBB14_135
; %bb.126:                              ;   in Loop: Header=BB14_15 Depth=1
	v_cmp_gt_i32_e32 vcc, s28, v29
	s_and_b64 s[78:79], vcc, s[8:9]
	v_mov_b32_e32 v2, 50
	s_and_saveexec_b64 s[76:77], s[78:79]
	s_cbranch_execz .LBB14_128
; %bb.127:                              ;   in Loop: Header=BB14_15 Depth=1
	ds_read_b32 v4, v121 offset:128
	v_mad_u64_u32 v[2:3], s[78:79], v29, s29, v[48:49]
	v_mul_lo_u32 v2, v2, 48
	v_ashrrev_i32_e32 v3, 31, v2
	s_waitcnt lgkmcnt(0)
	v_cvt_f32_f16_sdwa v5, v4 dst_sel:DWORD dst_unused:UNUSED_PAD src0_sel:WORD_1
	v_cvt_f32_f16_e32 v4, v4
	v_or_b32_e32 v3, 0, v3
	v_or_b32_e32 v2, v2, v26
	v_lshlrev_b64 v[2:3], 3, v[2:3]
	v_mov_b32_e32 v6, s61
	v_add_co_u32_e32 v2, vcc, s60, v2
	v_addc_co_u32_e32 v3, vcc, v6, v3, vcc
	v_pk_add_f32 v[4:5], v[4:5], 0 op_sel_hi:[1,0]
	global_store_dwordx2 v[2:3], v[4:5], off offset:256
	v_mov_b32_e32 v2, 0
.LBB14_128:                             ;   in Loop: Header=BB14_15 Depth=1
	s_or_b64 exec, exec, s[76:77]
	v_cmp_gt_i32_e32 vcc, 50, v2
	s_mov_b64 s[80:81], -1
	s_and_saveexec_b64 s[76:77], vcc
; %bb.129:                              ;   in Loop: Header=BB14_15 Depth=1
	v_cmp_eq_u32_e32 vcc, 0, v2
	s_orn2_b64 s[80:81], vcc, exec
; %bb.130:                              ;   in Loop: Header=BB14_15 Depth=1
	s_or_b64 exec, exec, s[76:77]
	s_mov_b64 s[78:79], 0
                                        ; implicit-def: $vgpr2_vgpr3
	s_and_saveexec_b64 s[76:77], s[80:81]
	s_cbranch_execz .LBB14_134
; %bb.131:                              ;   in Loop: Header=BB14_15 Depth=1
	v_cmp_gt_i32_e32 vcc, s28, v57
	s_and_b64 s[78:79], vcc, s[8:9]
	s_mov_b64 s[8:9], 0
                                        ; implicit-def: $vgpr2_vgpr3
	s_and_saveexec_b64 s[80:81], s[78:79]
	s_xor_b64 s[78:79], exec, s[80:81]
	s_cbranch_execz .LBB14_133
; %bb.132:                              ;   in Loop: Header=BB14_15 Depth=1
	ds_read_b32 v2, v122 offset:128
	s_mov_b64 s[8:9], exec
	s_waitcnt lgkmcnt(0)
	v_cvt_f32_f16_sdwa v3, v2 dst_sel:DWORD dst_unused:UNUSED_PAD src0_sel:WORD_1
	v_cvt_f32_f16_e32 v2, v2
	v_pk_add_f32 v[2:3], v[2:3], 0 op_sel_hi:[1,0]
.LBB14_133:                             ;   in Loop: Header=BB14_15 Depth=1
	s_or_b64 exec, exec, s[78:79]
	s_and_b64 s[78:79], s[8:9], exec
.LBB14_134:                             ;   in Loop: Header=BB14_15 Depth=1
	s_or_b64 exec, exec, s[76:77]
	s_and_b64 s[76:77], s[78:79], exec
.LBB14_135:                             ;   in Loop: Header=BB14_15 Depth=1
	s_or_b64 exec, exec, s[4:5]
	s_and_b64 s[8:9], s[76:77], exec
.LBB14_136:                             ;   in Loop: Header=BB14_15 Depth=1
	s_or_b64 exec, exec, s[74:75]
	s_and_b64 vcc, exec, s[72:73]
	s_cbranch_vccz .LBB14_69
.LBB14_137:                             ;   in Loop: Header=BB14_15 Depth=1
	s_lshl_b32 s80, s84, 4
	v_add_u32_e32 v173, s80, v157
	v_cmp_gt_i32_e64 s[4:5], s28, v173
	v_cmp_gt_i32_e32 vcc, s33, v27
	s_and_b64 s[92:93], s[4:5], vcc
	s_xor_b64 s[4:5], s[92:93], -1
	s_and_saveexec_b64 s[72:73], s[4:5]
	s_xor_b64 s[4:5], exec, s[72:73]
	s_cbranch_execz .LBB14_139
; %bb.138:                              ;   in Loop: Header=BB14_15 Depth=1
	ds_write_b32 v124, v150
.LBB14_139:                             ;   in Loop: Header=BB14_15 Depth=1
	s_andn2_saveexec_b64 s[72:73], s[4:5]
	s_cbranch_execz .LBB14_141
; %bb.140:                              ;   in Loop: Header=BB14_15 Depth=1
	v_mad_u64_u32 v[2:3], s[4:5], v173, s53, v[56:57]
	v_ashrrev_i32_e32 v3, 31, v2
	v_lshlrev_b64 v[2:3], 3, v[2:3]
	v_mov_b32_e32 v4, s40
	v_add_co_u32_e64 v2, s[4:5], s83, v2
	v_addc_co_u32_e64 v3, s[4:5], v4, v3, s[4:5]
	global_load_dwordx2 v[2:3], v[2:3], off
	s_waitcnt vmcnt(0)
	v_cvt_f16_f32_e32 v2, v2
	v_cvt_f16_f32_e32 v3, v3
	v_pack_b32_f16 v2, v2, v3
	v_pk_mul_f16 v2, v47, v2
	ds_write_b32 v124, v2
.LBB14_141:                             ;   in Loop: Header=BB14_15 Depth=1
	s_or_b64 exec, exec, s[72:73]
	v_add_u32_e32 v172, s80, v158
	v_cmp_gt_i32_e64 s[4:5], s28, v172
	s_and_b64 s[90:91], s[4:5], vcc
	s_xor_b64 s[4:5], s[90:91], -1
	s_and_saveexec_b64 s[72:73], s[4:5]
	s_xor_b64 s[4:5], exec, s[72:73]
	s_cbranch_execz .LBB14_143
; %bb.142:                              ;   in Loop: Header=BB14_15 Depth=1
	ds_write_b32 v124, v150 offset:1664
.LBB14_143:                             ;   in Loop: Header=BB14_15 Depth=1
	s_andn2_saveexec_b64 s[72:73], s[4:5]
	s_cbranch_execz .LBB14_145
; %bb.144:                              ;   in Loop: Header=BB14_15 Depth=1
	v_mad_u64_u32 v[2:3], s[4:5], v172, s53, v[56:57]
	v_ashrrev_i32_e32 v3, 31, v2
	v_lshlrev_b64 v[2:3], 3, v[2:3]
	v_mov_b32_e32 v4, s40
	v_add_co_u32_e64 v2, s[4:5], s83, v2
	v_addc_co_u32_e64 v3, s[4:5], v4, v3, s[4:5]
	global_load_dwordx2 v[2:3], v[2:3], off
	s_waitcnt vmcnt(0)
	v_cvt_f16_f32_e32 v2, v2
	v_cvt_f16_f32_e32 v3, v3
	v_pack_b32_f16 v2, v2, v3
	v_pk_mul_f16 v2, v47, v2
	ds_write_b32 v124, v2 offset:1664
.LBB14_145:                             ;   in Loop: Header=BB14_15 Depth=1
	s_or_b64 exec, exec, s[72:73]
	v_add_u32_e32 v171, s80, v111
	v_cmp_gt_i32_e64 s[4:5], s28, v171
	s_and_b64 s[88:89], s[4:5], vcc
	s_xor_b64 s[4:5], s[88:89], -1
	s_and_saveexec_b64 s[72:73], s[4:5]
	s_xor_b64 s[4:5], exec, s[72:73]
	s_cbranch_execz .LBB14_147
; %bb.146:                              ;   in Loop: Header=BB14_15 Depth=1
	ds_write_b32 v124, v150 offset:3328
.LBB14_147:                             ;   in Loop: Header=BB14_15 Depth=1
	s_andn2_saveexec_b64 s[72:73], s[4:5]
	s_cbranch_execz .LBB14_149
; %bb.148:                              ;   in Loop: Header=BB14_15 Depth=1
	v_mad_u64_u32 v[2:3], s[4:5], v171, s53, v[56:57]
	v_ashrrev_i32_e32 v3, 31, v2
	v_lshlrev_b64 v[2:3], 3, v[2:3]
	v_mov_b32_e32 v4, s40
	v_add_co_u32_e64 v2, s[4:5], s83, v2
	v_addc_co_u32_e64 v3, s[4:5], v4, v3, s[4:5]
	global_load_dwordx2 v[2:3], v[2:3], off
	s_waitcnt vmcnt(0)
	v_cvt_f16_f32_e32 v2, v2
	v_cvt_f16_f32_e32 v3, v3
	v_pack_b32_f16 v2, v2, v3
	v_pk_mul_f16 v2, v47, v2
	ds_write_b32 v124, v2 offset:3328
.LBB14_149:                             ;   in Loop: Header=BB14_15 Depth=1
	;; [unrolled: 28-line block ×4, first 2 shown]
	s_or_b64 exec, exec, s[72:73]
	v_add_u32_e32 v168, s80, v110
	v_cmp_gt_i32_e64 s[4:5], s28, v168
	s_and_b64 s[4:5], s[4:5], vcc
	v_writelane_b32 v217, s4, 37
	v_writelane_b32 v217, s5, 38
	s_xor_b64 s[4:5], s[4:5], -1
	s_and_saveexec_b64 s[72:73], s[4:5]
	s_xor_b64 s[4:5], exec, s[72:73]
	s_cbranch_execz .LBB14_159
; %bb.158:                              ;   in Loop: Header=BB14_15 Depth=1
	ds_write_b32 v124, v150 offset:8320
.LBB14_159:                             ;   in Loop: Header=BB14_15 Depth=1
	s_andn2_saveexec_b64 s[72:73], s[4:5]
	s_cbranch_execz .LBB14_161
; %bb.160:                              ;   in Loop: Header=BB14_15 Depth=1
	v_mad_u64_u32 v[2:3], s[4:5], v168, s53, v[56:57]
	v_ashrrev_i32_e32 v3, 31, v2
	v_lshlrev_b64 v[2:3], 3, v[2:3]
	v_mov_b32_e32 v4, s40
	v_add_co_u32_e64 v2, s[4:5], s83, v2
	v_addc_co_u32_e64 v3, s[4:5], v4, v3, s[4:5]
	global_load_dwordx2 v[2:3], v[2:3], off
	s_waitcnt vmcnt(0)
	v_cvt_f16_f32_e32 v2, v2
	v_cvt_f16_f32_e32 v3, v3
	v_pack_b32_f16 v2, v2, v3
	v_pk_mul_f16 v2, v47, v2
	ds_write_b32 v124, v2 offset:8320
.LBB14_161:                             ;   in Loop: Header=BB14_15 Depth=1
	s_or_b64 exec, exec, s[72:73]
	v_add_u32_e32 v167, s80, v113
	v_cmp_gt_i32_e64 s[4:5], s28, v167
	s_and_b64 s[4:5], s[4:5], vcc
	v_writelane_b32 v217, s4, 39
	v_writelane_b32 v217, s5, 40
	s_xor_b64 s[4:5], s[4:5], -1
	s_and_saveexec_b64 s[72:73], s[4:5]
	s_xor_b64 s[4:5], exec, s[72:73]
	s_cbranch_execz .LBB14_163
; %bb.162:                              ;   in Loop: Header=BB14_15 Depth=1
	ds_write_b32 v124, v150 offset:9984
.LBB14_163:                             ;   in Loop: Header=BB14_15 Depth=1
	s_andn2_saveexec_b64 s[72:73], s[4:5]
	s_cbranch_execz .LBB14_165
; %bb.164:                              ;   in Loop: Header=BB14_15 Depth=1
	v_mad_u64_u32 v[2:3], s[4:5], v167, s53, v[56:57]
	v_ashrrev_i32_e32 v3, 31, v2
	v_lshlrev_b64 v[2:3], 3, v[2:3]
	v_mov_b32_e32 v4, s40
	v_add_co_u32_e64 v2, s[4:5], s83, v2
	v_addc_co_u32_e64 v3, s[4:5], v4, v3, s[4:5]
	global_load_dwordx2 v[2:3], v[2:3], off
	s_waitcnt vmcnt(0)
	v_cvt_f16_f32_e32 v2, v2
	v_cvt_f16_f32_e32 v3, v3
	v_pack_b32_f16 v2, v2, v3
	v_pk_mul_f16 v2, v47, v2
	ds_write_b32 v124, v2 offset:9984
.LBB14_165:                             ;   in Loop: Header=BB14_15 Depth=1
	s_or_b64 exec, exec, s[72:73]
	v_add_u32_e32 v166, s80, v114
	v_cmp_gt_i32_e64 s[4:5], s28, v166
	s_and_b64 s[4:5], s[4:5], vcc
	v_writelane_b32 v217, s4, 41
	v_writelane_b32 v217, s5, 42
	s_xor_b64 s[4:5], s[4:5], -1
	s_and_saveexec_b64 s[72:73], s[4:5]
	s_xor_b64 s[4:5], exec, s[72:73]
	s_cbranch_execz .LBB14_167
; %bb.166:                              ;   in Loop: Header=BB14_15 Depth=1
	ds_write_b32 v124, v150 offset:11648
.LBB14_167:                             ;   in Loop: Header=BB14_15 Depth=1
	s_andn2_saveexec_b64 s[4:5], s[4:5]
	s_cbranch_execz .LBB14_169
; %bb.168:                              ;   in Loop: Header=BB14_15 Depth=1
	v_mad_u64_u32 v[2:3], s[72:73], v166, s53, v[56:57]
	v_ashrrev_i32_e32 v3, 31, v2
	v_lshlrev_b64 v[2:3], 3, v[2:3]
	v_mov_b32_e32 v4, s40
	v_add_co_u32_e32 v2, vcc, s83, v2
	v_addc_co_u32_e32 v3, vcc, v4, v3, vcc
	global_load_dwordx2 v[2:3], v[2:3], off
	s_waitcnt vmcnt(0)
	v_cvt_f16_f32_e32 v2, v2
	v_cvt_f16_f32_e32 v3, v3
	v_pack_b32_f16 v2, v2, v3
	v_pk_mul_f16 v2, v47, v2
	ds_write_b32 v124, v2 offset:11648
.LBB14_169:                             ;   in Loop: Header=BB14_15 Depth=1
	s_or_b64 exec, exec, s[4:5]
	v_add_u32_e32 v165, s80, v116
	v_or_b32_e32 v2, s41, v48
	v_cmp_gt_i32_e64 s[4:5], s28, v165
	v_cmp_gt_i32_e32 vcc, s33, v2
	s_and_b64 s[76:77], s[4:5], vcc
	s_xor_b64 s[4:5], s[76:77], -1
	s_and_saveexec_b64 s[72:73], s[4:5]
	s_xor_b64 s[4:5], exec, s[72:73]
	s_cbranch_execz .LBB14_171
; %bb.170:                              ;   in Loop: Header=BB14_15 Depth=1
	ds_write_b32 v115, v150 offset:128
.LBB14_171:                             ;   in Loop: Header=BB14_15 Depth=1
	s_andn2_saveexec_b64 s[72:73], s[4:5]
	s_cbranch_execz .LBB14_173
; %bb.172:                              ;   in Loop: Header=BB14_15 Depth=1
	v_mad_u64_u32 v[2:3], s[4:5], v165, s53, v[50:51]
	v_ashrrev_i32_e32 v3, 31, v2
	v_lshlrev_b64 v[2:3], 3, v[2:3]
	v_mov_b32_e32 v4, s40
	v_add_co_u32_e64 v2, s[4:5], s83, v2
	v_addc_co_u32_e64 v3, s[4:5], v4, v3, s[4:5]
	global_load_dwordx2 v[2:3], v[2:3], off
	s_waitcnt vmcnt(0)
	v_cvt_f16_f32_e32 v2, v2
	v_cvt_f16_f32_e32 v3, v3
	v_pack_b32_f16 v2, v2, v3
	v_pk_mul_f16 v2, v47, v2
	ds_write_b32 v115, v2 offset:128
.LBB14_173:                             ;   in Loop: Header=BB14_15 Depth=1
	s_or_b64 exec, exec, s[72:73]
	v_add_u32_e32 v164, s80, v117
	v_cmp_gt_i32_e64 s[4:5], s28, v164
	s_and_b64 s[74:75], s[4:5], vcc
	s_xor_b64 s[4:5], s[74:75], -1
	s_and_saveexec_b64 s[72:73], s[4:5]
	s_xor_b64 s[4:5], exec, s[72:73]
	s_cbranch_execz .LBB14_175
; %bb.174:                              ;   in Loop: Header=BB14_15 Depth=1
	ds_write_b32 v115, v150 offset:3456
.LBB14_175:                             ;   in Loop: Header=BB14_15 Depth=1
	s_andn2_saveexec_b64 s[72:73], s[4:5]
	s_cbranch_execz .LBB14_177
; %bb.176:                              ;   in Loop: Header=BB14_15 Depth=1
	v_mad_u64_u32 v[2:3], s[4:5], v164, s53, v[50:51]
	v_ashrrev_i32_e32 v3, 31, v2
	v_lshlrev_b64 v[2:3], 3, v[2:3]
	v_mov_b32_e32 v4, s40
	v_add_co_u32_e64 v2, s[4:5], s83, v2
	v_addc_co_u32_e64 v3, s[4:5], v4, v3, s[4:5]
	global_load_dwordx2 v[2:3], v[2:3], off
	s_waitcnt vmcnt(0)
	v_cvt_f16_f32_e32 v2, v2
	v_cvt_f16_f32_e32 v3, v3
	v_pack_b32_f16 v2, v2, v3
	v_pk_mul_f16 v2, v47, v2
	ds_write_b32 v115, v2 offset:3456
.LBB14_177:                             ;   in Loop: Header=BB14_15 Depth=1
	s_or_b64 exec, exec, s[72:73]
	v_add_u32_e32 v163, s80, v118
	v_cmp_gt_i32_e64 s[4:5], s28, v163
	;; [unrolled: 28-line block ×3, first 2 shown]
	s_and_b64 s[4:5], s[4:5], vcc
	s_xor_b64 s[78:79], s[4:5], -1
	s_and_saveexec_b64 s[94:95], s[78:79]
	s_xor_b64 s[94:95], exec, s[94:95]
	s_cbranch_execz .LBB14_183
; %bb.182:                              ;   in Loop: Header=BB14_15 Depth=1
	ds_write_b32 v115, v150 offset:10112
.LBB14_183:                             ;   in Loop: Header=BB14_15 Depth=1
	s_andn2_saveexec_b64 s[94:95], s[94:95]
	s_cbranch_execz .LBB14_185
; %bb.184:                              ;   in Loop: Header=BB14_15 Depth=1
	v_mad_u64_u32 v[2:3], s[78:79], v57, s53, v[50:51]
	v_ashrrev_i32_e32 v3, 31, v2
	v_lshlrev_b64 v[2:3], 3, v[2:3]
	v_mov_b32_e32 v4, s40
	v_add_co_u32_e32 v2, vcc, s83, v2
	v_addc_co_u32_e32 v3, vcc, v4, v3, vcc
	global_load_dwordx2 v[2:3], v[2:3], off
	s_waitcnt vmcnt(0)
	v_cvt_f16_f32_e32 v2, v2
	v_cvt_f16_f32_e32 v3, v3
	v_pack_b32_f16 v2, v2, v3
	v_pk_mul_f16 v2, v47, v2
	ds_write_b32 v115, v2 offset:10112
.LBB14_185:                             ;   in Loop: Header=BB14_15 Depth=1
	s_or_b64 exec, exec, s[94:95]
	s_waitcnt lgkmcnt(0)
	s_barrier
	ds_read2_b64 v[10:13], v149 offset1:4
	ds_read2_b64 v[6:9], v149 offset0:8 offset1:12
	ds_read2_b64 v[2:5], v149 offset0:16 offset1:20
	s_cmp_gt_i32 s0, 1
	s_waitcnt lgkmcnt(0)
	s_barrier
	s_cbranch_scc1 .LBB14_187
; %bb.186:                              ;   in Loop: Header=BB14_15 Depth=1
	v_add_u32_e32 v14, s80, v49
	v_readlane_b32 s78, v217, 9
	v_mul_hi_u32 v15, s78, v14
	v_readlane_b32 s79, v217, 10
	v_add_u32_e32 v15, v14, v15
	v_lshrrev_b32_e32 v15, s79, v15
	v_mul_lo_u32 v15, v15, s28
	v_sub_u32_e32 v14, v14, v15
	v_mad_i64_i32 v[18:19], s[40:41], v14, s42, 0
	v_add_u32_e32 v14, s80, v152
	v_mul_hi_u32 v15, s78, v14
	v_add_u32_e32 v15, v14, v15
	v_lshrrev_b32_e32 v15, s79, v15
	v_mul_lo_u32 v15, v15, s28
	v_sub_u32_e32 v14, v14, v15
	v_mbcnt_hi_u32_b32 v174, -1, v159
	v_mad_i64_i32 v[20:21], s[40:41], v14, s42, 0
	v_and_b32_e32 v14, 64, v174
	s_mov_b32 s40, 0
	v_add_u32_e32 v175, 64, v14
	v_xor_b32_e32 v176, 32, v174
	v_xor_b32_e32 v177, 16, v174
	s_mov_b64 s[94:95], 0
	s_mov_b32 s41, 0xfeffffff
	s_branch .LBB14_188
.LBB14_187:                             ;   in Loop: Header=BB14_15 Depth=1
	s_mov_b64 s[94:95], -1
                                        ; implicit-def: $sgpr40
                                        ; implicit-def: $sgpr41
                                        ; implicit-def: $vgpr18_vgpr19
                                        ; implicit-def: $vgpr20_vgpr21
                                        ; implicit-def: $vgpr174
                                        ; implicit-def: $vgpr175
                                        ; implicit-def: $vgpr176
                                        ; implicit-def: $vgpr177
.LBB14_188:                             ;   in Loop: Header=BB14_15 Depth=1
	s_andn2_b64 vcc, exec, s[94:95]
	v_mov_b32_e32 v76, s40
	v_mov_b32_e32 v61, s40
	;; [unrolled: 1-line block ×14, first 2 shown]
	s_cbranch_vccnz .LBB14_191
; %bb.189:                              ;   in Loop: Header=BB14_15 Depth=1
	v_add_u32_e32 v14, s80, v49
	v_readlane_b32 s94, v217, 9
	v_mul_hi_u32 v15, s94, v14
	v_readlane_b32 s95, v217, 10
	v_add_u32_e32 v15, v14, v15
	v_lshrrev_b32_e32 v15, s95, v15
	v_mul_lo_u32 v15, v15, s28
	v_sub_u32_e32 v14, v14, v15
	v_add_u32_e32 v15, s80, v152
	v_mul_hi_u32 v16, s94, v15
	v_add_u32_e32 v16, v15, v16
	v_lshrrev_b32_e32 v16, s95, v16
	v_mul_lo_u32 v16, v16, s28
	v_mbcnt_hi_u32_b32 v174, -1, v159
	v_sub_u32_e32 v15, v15, v16
	v_and_b32_e32 v16, 64, v174
	v_add_u32_e32 v175, 64, v16
	v_xor_b32_e32 v176, 32, v174
	v_cmp_lt_i32_e32 vcc, v176, v175
	v_xor_b32_e32 v177, 16, v174
	v_cndmask_b32_e32 v16, v174, v176, vcc
	v_cmp_lt_i32_e32 vcc, v177, v175
	v_lshlrev_b32_e32 v178, 2, v16
	v_cndmask_b32_e32 v16, v174, v177, vcc
	v_lshlrev_b32_e32 v179, 2, v16
	v_mov_b32_e32 v16, s19
	v_addc_co_u32_e64 v61, vcc, v16, v1, s[2:3]
	v_readlane_b32 s2, v217, 32
	s_add_i32 s40, s0, -1
	v_readlane_b32 s3, v217, 33
	s_mov_b32 s0, s2
	v_mad_i64_i32 v[24:25], s[2:3], s0, v14, v[60:61]
	v_mad_i64_i32 v[62:63], s[2:3], s0, v15, v[60:61]
	s_add_u32 s0, s58, s48
	s_addc_u32 s2, s47, s82
	v_mov_b32_e32 v1, s2
	v_add_co_u32_e32 v64, vcc, s0, v136
	v_addc_co_u32_e32 v65, vcc, v137, v1, vcc
	v_add_co_u32_e32 v66, vcc, s0, v138
	v_addc_co_u32_e32 v1, vcc, v139, v1, vcc
	v_mad_i64_i32 v[18:19], s[78:79], v14, s42, 0
	v_mov_b32_e32 v14, s2
	v_add_co_u32_e32 v68, vcc, s0, v140
	s_add_u32 s0, s44, s45
	v_addc_co_u32_e32 v23, vcc, v141, v14, vcc
	s_addc_u32 s1, s1, s46
	v_mov_b32_e32 v14, s1
	v_add_co_u32_e32 v70, vcc, s0, v142
	v_addc_co_u32_e32 v71, vcc, v143, v14, vcc
	v_add_co_u32_e32 v72, vcc, s0, v144
	v_addc_co_u32_e32 v27, vcc, v145, v14, vcc
	v_add_co_u32_e32 v74, vcc, s0, v146
	v_mad_i64_i32 v[20:21], s[78:79], v15, s42, 0
	v_mov_b32_e32 v184, 0
	v_addc_co_u32_e32 v29, vcc, v147, v14, vcc
	v_mov_b32_e32 v61, 0
	v_mov_b32_e32 v22, 0xfeffffff
	s_mov_b32 s0, s40
	v_mov_b32_e32 v187, 0
	v_mov_b32_e32 v186, 0
	v_mov_b32_e32 v185, 0
	v_mov_b32_e32 v183, 0
	v_mov_b32_e32 v182, 0
	v_mov_b32_e32 v181, 0
	v_mov_b32_e32 v180, 0
	v_mov_b32_e32 v189, 0
	v_mov_b32_e32 v188, 0
	v_mov_b32_e32 v77, 0
	v_mov_b32_e32 v76, 0
.LBB14_190:                             ;   Parent Loop BB14_15 Depth=1
                                        ; =>  This Inner Loop Header: Depth=2
	v_add_co_u32_e32 v14, vcc, v24, v58
	v_addc_co_u32_e32 v15, vcc, 0, v25, vcc
	global_load_dword v14, v[14:15], off
	v_add_u32_e32 v16, v123, v151
	v_mov_b32_e32 v79, v22
	v_add_u32_e32 v22, 0x800, v51
	v_add_u32_e32 v206, 0x3400, v156
	v_mov_b32_e32 v78, v61
	s_add_i32 s0, s0, -1
	s_cmp_lg_u32 s0, 0
	s_waitcnt vmcnt(0)
	ds_write_b32 v16, v14 offset:13312
	v_add_co_u32_e32 v14, vcc, v62, v58
	v_addc_co_u32_e32 v15, vcc, 0, v63, vcc
	global_load_dword v14, v[14:15], off
	s_waitcnt vmcnt(0)
	ds_write_b32 v16, v14 offset:14464
	global_load_dwordx4 v[14:17], v[70:71], off
	s_waitcnt vmcnt(0)
	ds_write_b128 v59, v[14:17]
	v_add_co_u32_e32 v14, vcc, v72, v52
	v_addc_co_u32_e32 v15, vcc, 0, v27, vcc
	global_load_dwordx4 v[14:17], v[14:15], off
	s_waitcnt vmcnt(0)
	ds_write_b128 v67, v[14:17]
	v_add_co_u32_e32 v14, vcc, v74, v52
	v_addc_co_u32_e32 v15, vcc, 0, v29, vcc
	global_load_dwordx4 v[14:17], v[14:15], off
	s_waitcnt vmcnt(0)
	ds_write_b128 v153, v[14:17]
	s_waitcnt lgkmcnt(0)
	s_barrier
	ds_read2_b64 v[14:17], v51 offset1:4
	s_waitcnt lgkmcnt(0)
	v_mfma_f32_16x16x16f16 v[190:193], v[14:15], v[10:11], 0
	v_mfma_f32_16x16x16f16 v[14:17], v[16:17], v[12:13], v[190:193]
	s_nop 7
	s_nop 1
	ds_read2_b64 v[190:193], v51 offset0:8 offset1:12
	s_waitcnt lgkmcnt(0)
	v_mfma_f32_16x16x16f16 v[14:17], v[190:191], v[6:7], v[14:17]
	v_mfma_f32_16x16x16f16 v[14:17], v[192:193], v[8:9], v[14:17]
	ds_read2_b64 v[190:193], v51 offset0:16 offset1:20
	s_waitcnt lgkmcnt(0)
	v_mfma_f32_16x16x16f16 v[14:17], v[190:191], v[2:3], v[14:17]
	v_mfma_f32_16x16x16f16 v[14:17], v[192:193], v[4:5], v[14:17]
	;; [unrolled: 4-line block ×3, first 2 shown]
	s_nop 7
	s_nop 1
	ds_read2_b64 v[194:197], v22 offset0:168 offset1:172
	s_waitcnt lgkmcnt(0)
	v_mfma_f32_16x16x16f16 v[190:193], v[194:195], v[6:7], v[190:193]
	v_mfma_f32_16x16x16f16 v[190:193], v[196:197], v[8:9], v[190:193]
	ds_read2_b64 v[194:197], v22 offset0:176 offset1:180
	v_add_u32_e32 v22, 0x1800, v51
	s_waitcnt lgkmcnt(0)
	v_mfma_f32_16x16x16f16 v[190:193], v[194:195], v[2:3], v[190:193]
	v_mfma_f32_16x16x16f16 v[190:193], v[196:197], v[4:5], v[190:193]
	ds_read2_b64 v[194:197], v22 offset0:64 offset1:68
	s_waitcnt lgkmcnt(0)
	v_mfma_f32_16x16x16f16 v[198:201], v[194:195], v[10:11], 0
	v_mfma_f32_16x16x16f16 v[194:197], v[196:197], v[12:13], v[198:201]
	s_nop 7
	s_nop 1
	ds_read2_b64 v[198:201], v22 offset0:72 offset1:76
	s_waitcnt lgkmcnt(0)
	v_mfma_f32_16x16x16f16 v[194:197], v[198:199], v[6:7], v[194:197]
	v_mfma_f32_16x16x16f16 v[194:197], v[200:201], v[8:9], v[194:197]
	ds_read2_b64 v[198:201], v22 offset0:80 offset1:84
	v_add_u32_e32 v22, 0x2000, v51
	s_waitcnt lgkmcnt(0)
	v_mfma_f32_16x16x16f16 v[194:197], v[198:199], v[2:3], v[194:197]
	v_mfma_f32_16x16x16f16 v[194:197], v[200:201], v[4:5], v[194:197]
	ds_read2_b64 v[198:201], v22 offset0:224 offset1:228
	s_waitcnt lgkmcnt(0)
	v_mfma_f32_16x16x16f16 v[202:205], v[198:199], v[10:11], 0
	v_mfma_f32_16x16x16f16 v[198:201], v[200:201], v[12:13], v[202:205]
	s_nop 7
	s_nop 1
	ds_read2_b64 v[202:205], v22 offset0:232 offset1:236
	s_waitcnt lgkmcnt(0)
	v_mfma_f32_16x16x16f16 v[198:201], v[202:203], v[6:7], v[198:201]
	v_mfma_f32_16x16x16f16 v[198:201], v[204:205], v[8:9], v[198:201]
	ds_read2_b64 v[202:205], v22 offset0:240 offset1:244
	s_waitcnt lgkmcnt(0)
	s_barrier
	ds_read_b32 v22, v69 offset:13312
	ds_read_b32 v61, v73 offset:13312
	ds_read2_b32 v[206:207], v206 offset1:1
	s_waitcnt lgkmcnt(0)
	v_cvt_f32_f16_e32 v208, v207
	v_mfma_f32_16x16x16f16 v[198:201], v[202:203], v[2:3], v[198:201]
	v_add_u32_e32 v202, 0x3400, v154
	ds_read2_b32 v[202:203], v202 offset1:1
	v_cvt_f32_f16_sdwa v209, v207 dst_sel:DWORD dst_unused:UNUSED_PAD src0_sel:WORD_1
	v_mfma_f32_16x16x16f16 v[198:201], v[204:205], v[4:5], v[198:201]
	v_add_u32_e32 v204, 0x3400, v155
	ds_read2_b32 v[204:205], v204 offset1:1
	s_waitcnt lgkmcnt(0)
	v_cvt_f32_f16_sdwa v207, v205 dst_sel:DWORD dst_unused:UNUSED_PAD src0_sel:WORD_1
	s_nop 6
	v_pk_add_f32 v[200:201], v[200:201], v[208:209]
	v_cvt_f32_f16_e32 v208, v206
	v_cvt_f32_f16_sdwa v209, v206 dst_sel:DWORD dst_unused:UNUSED_PAD src0_sel:WORD_1
	v_cvt_f32_f16_e32 v206, v205
	v_cvt_f32_f16_sdwa v205, v203 dst_sel:DWORD dst_unused:UNUSED_PAD src0_sel:WORD_1
	v_add_f32_e32 v210, 0x40051340, v200
	v_pk_add_f32 v[198:199], v[198:199], v[208:209]
	v_pk_add_f32 v[196:197], v[196:197], v[206:207]
	v_cvt_f32_f16_e32 v206, v204
	v_cvt_f32_f16_sdwa v207, v204 dst_sel:DWORD dst_unused:UNUSED_PAD src0_sel:WORD_1
	v_cvt_f32_f16_e32 v204, v203
	v_cvt_f32_f16_sdwa v203, v61 dst_sel:DWORD dst_unused:UNUSED_PAD src0_sel:WORD_1
	v_add_f32_e32 v212, 0x40051340, v196
	v_pk_add_f32 v[194:195], v[194:195], v[206:207]
	v_pk_add_f32 v[192:193], v[192:193], v[204:205]
	v_cvt_f32_f16_e32 v204, v202
	v_cvt_f32_f16_sdwa v205, v202 dst_sel:DWORD dst_unused:UNUSED_PAD src0_sel:WORD_1
	v_cvt_f32_f16_e32 v202, v61
	v_add_f32_e32 v214, 0x40051340, v192
	v_add_f32_e32 v215, 0x40051340, v193
	v_pk_add_f32 v[190:191], v[190:191], v[204:205]
	v_pk_add_f32 v[16:17], v[16:17], v[202:203]
	v_cvt_f32_f16_sdwa v203, v22 dst_sel:DWORD dst_unused:UNUSED_PAD src0_sel:WORD_1
	v_cvt_f32_f16_e32 v202, v22
	v_add_f32_e32 v61, 0x40051340, v16
	v_add_f32_e32 v216, 0x40051340, v17
	;; [unrolled: 1-line block ×3, first 2 shown]
	v_pk_add_f32 v[14:15], v[14:15], v[202:203]
	v_add_f32_e32 v22, 0x40051340, v14
	v_add_f32_e32 v202, 0x40051340, v15
	v_max3_f32 v22, v79, v22, v202
	v_add_f32_e32 v205, 0x40051340, v191
	v_max3_f32 v22, v22, v61, v216
	v_max3_f32 v22, v22, v204, v205
	v_add_f32_e32 v206, 0x40051340, v194
	v_add_f32_e32 v207, 0x40051340, v195
	v_max3_f32 v22, v22, v214, v215
	v_add_f32_e32 v213, 0x40051340, v197
	v_max3_f32 v22, v22, v206, v207
	v_add_f32_e32 v208, 0x40051340, v198
	v_add_f32_e32 v209, 0x40051340, v199
	v_max3_f32 v22, v22, v212, v213
	v_add_f32_e32 v211, 0x40051340, v201
	v_max3_f32 v22, v22, v208, v209
	v_max3_f32 v22, v22, v210, v211
	ds_bpermute_b32 v61, v178, v22
	s_waitcnt lgkmcnt(0)
	v_max_f32_e32 v61, v61, v61
	v_max_f32_e32 v22, v22, v61
	ds_bpermute_b32 v61, v179, v22
	s_waitcnt lgkmcnt(0)
	v_max_f32_e32 v61, v61, v61
	v_max_f32_e32 v22, v22, v61
	v_pk_add_f32 v[14:15], v[14:15], v[22:23] op_sel_hi:[1,0] neg_lo:[0,1] neg_hi:[0,1]
	v_mul_f32_e32 v61, 0x3fb8aa3b, v15
	v_fma_f32 v202, v15, s43, -v61
	v_rndne_f32_e32 v203, v61
	v_fmac_f32_e32 v202, 0x32a5705f, v15
	v_sub_f32_e32 v61, v61, v203
	v_add_f32_e32 v61, v61, v202
	v_exp_f32_e32 v61, v61
	v_cvt_i32_f32_e32 v202, v203
	v_cmp_ngt_f32_e32 vcc, s63, v15
	v_ldexp_f32 v61, v61, v202
	v_cndmask_b32_e32 v61, 0, v61, vcc
	v_cmp_nlt_f32_e32 vcc, s10, v15
	v_mul_f32_e32 v15, 0x3fb8aa3b, v14
	v_cndmask_b32_e32 v202, v161, v61, vcc
	v_fma_f32 v61, v14, s43, -v15
	v_rndne_f32_e32 v203, v15
	v_fmac_f32_e32 v61, 0x32a5705f, v14
	v_sub_f32_e32 v15, v15, v203
	v_add_f32_e32 v15, v15, v61
	v_exp_f32_e32 v15, v15
	v_cvt_i32_f32_e32 v61, v203
	v_cmp_ngt_f32_e32 vcc, s63, v14
	v_ldexp_f32 v15, v15, v61
	v_cndmask_b32_e32 v15, 0, v15, vcc
	v_cmp_nlt_f32_e32 vcc, s10, v14
	v_cndmask_b32_e32 v203, v161, v15, vcc
	v_pk_add_f32 v[14:15], v[16:17], v[22:23] op_sel_hi:[1,0] neg_lo:[0,1] neg_hi:[0,1]
	v_mul_f32_e32 v16, 0x3fb8aa3b, v15
	v_fma_f32 v17, v15, s43, -v16
	v_rndne_f32_e32 v61, v16
	v_fmac_f32_e32 v17, 0x32a5705f, v15
	v_sub_f32_e32 v16, v16, v61
	v_add_f32_e32 v16, v16, v17
	v_exp_f32_e32 v16, v16
	v_cvt_i32_f32_e32 v17, v61
	v_cmp_ngt_f32_e32 vcc, s63, v15
	v_ldexp_f32 v16, v16, v17
	v_cndmask_b32_e32 v16, 0, v16, vcc
	v_cmp_nlt_f32_e32 vcc, s10, v15
	v_mul_f32_e32 v15, 0x3fb8aa3b, v14
	v_fma_f32 v17, v14, s43, -v15
	v_rndne_f32_e32 v61, v15
	v_fmac_f32_e32 v17, 0x32a5705f, v14
	v_sub_f32_e32 v15, v15, v61
	v_add_f32_e32 v15, v15, v17
	v_exp_f32_e32 v15, v15
	v_cvt_i32_f32_e32 v17, v61
	v_cndmask_b32_e32 v16, v161, v16, vcc
	v_cmp_ngt_f32_e32 vcc, s63, v14
	v_ldexp_f32 v15, v15, v17
	v_cndmask_b32_e32 v15, 0, v15, vcc
	v_cmp_nlt_f32_e32 vcc, s10, v14
	v_cndmask_b32_e32 v17, v161, v15, vcc
	v_pk_add_f32 v[14:15], v[190:191], v[22:23] op_sel_hi:[1,0] neg_lo:[0,1] neg_hi:[0,1]
	v_mul_f32_e32 v61, 0x3fb8aa3b, v15
	v_fma_f32 v190, v15, s43, -v61
	v_rndne_f32_e32 v191, v61
	v_fmac_f32_e32 v190, 0x32a5705f, v15
	v_sub_f32_e32 v61, v61, v191
	v_add_f32_e32 v61, v61, v190
	v_exp_f32_e32 v61, v61
	v_cvt_i32_f32_e32 v190, v191
	v_cmp_ngt_f32_e32 vcc, s63, v15
	v_ldexp_f32 v61, v61, v190
	v_cndmask_b32_e32 v61, 0, v61, vcc
	v_cmp_nlt_f32_e32 vcc, s10, v15
	v_mul_f32_e32 v15, 0x3fb8aa3b, v14
	v_cndmask_b32_e32 v204, v161, v61, vcc
	v_fma_f32 v61, v14, s43, -v15
	v_rndne_f32_e32 v190, v15
	v_fmac_f32_e32 v61, 0x32a5705f, v14
	v_sub_f32_e32 v15, v15, v190
	v_add_f32_e32 v15, v15, v61
	v_exp_f32_e32 v15, v15
	v_cvt_i32_f32_e32 v61, v190
	v_cmp_ngt_f32_e32 vcc, s63, v14
	v_ldexp_f32 v15, v15, v61
	v_cndmask_b32_e32 v15, 0, v15, vcc
	v_cmp_nlt_f32_e32 vcc, s10, v14
	v_cndmask_b32_e32 v205, v161, v15, vcc
	v_pk_add_f32 v[14:15], v[192:193], v[22:23] op_sel_hi:[1,0] neg_lo:[0,1] neg_hi:[0,1]
	v_mul_f32_e32 v61, 0x3fb8aa3b, v15
	v_fma_f32 v190, v15, s43, -v61
	v_rndne_f32_e32 v191, v61
	v_fmac_f32_e32 v190, 0x32a5705f, v15
	v_sub_f32_e32 v61, v61, v191
	v_add_f32_e32 v61, v61, v190
	v_exp_f32_e32 v61, v61
	v_cvt_i32_f32_e32 v190, v191
	v_cmp_ngt_f32_e32 vcc, s63, v15
	v_ldexp_f32 v61, v61, v190
	v_cndmask_b32_e32 v61, 0, v61, vcc
	v_cmp_nlt_f32_e32 vcc, s10, v15
	v_mul_f32_e32 v15, 0x3fb8aa3b, v14
	v_cndmask_b32_e32 v193, v161, v61, vcc
	v_fma_f32 v61, v14, s43, -v15
	v_rndne_f32_e32 v190, v15
	v_fmac_f32_e32 v61, 0x32a5705f, v14
	v_sub_f32_e32 v15, v15, v190
	v_add_f32_e32 v15, v15, v61
	v_exp_f32_e32 v15, v15
	v_cvt_i32_f32_e32 v61, v190
	;; [unrolled: 27-line block ×5, first 2 shown]
	v_cmp_ngt_f32_e32 vcc, s63, v14
	v_ldexp_f32 v15, v15, v61
	v_cndmask_b32_e32 v15, 0, v15, vcc
	v_cmp_nlt_f32_e32 vcc, s10, v14
	v_cndmask_b32_e32 v199, v161, v15, vcc
	v_pk_add_f32 v[14:15], v[200:201], v[22:23] op_sel_hi:[1,0] neg_lo:[0,1] neg_hi:[0,1]
	v_mul_f32_e32 v61, 0x3fb8aa3b, v15
	v_fma_f32 v190, v15, s43, -v61
	v_rndne_f32_e32 v191, v61
	v_fmac_f32_e32 v190, 0x32a5705f, v15
	v_sub_f32_e32 v61, v61, v191
	v_add_f32_e32 v61, v61, v190
	v_exp_f32_e32 v61, v61
	v_cvt_i32_f32_e32 v190, v191
	v_cmp_ngt_f32_e32 vcc, s63, v15
	v_ldexp_f32 v61, v61, v190
	v_cndmask_b32_e32 v61, 0, v61, vcc
	v_cmp_nlt_f32_e32 vcc, s10, v15
	v_cndmask_b32_e32 v15, v161, v61, vcc
	v_mul_f32_e32 v61, 0x3fb8aa3b, v14
	v_fma_f32 v190, v14, s43, -v61
	v_rndne_f32_e32 v191, v61
	v_fmac_f32_e32 v190, 0x32a5705f, v14
	v_sub_f32_e32 v61, v61, v191
	v_add_f32_e32 v61, v61, v190
	v_exp_f32_e32 v61, v61
	v_cvt_i32_f32_e32 v190, v191
	v_cmp_ngt_f32_e32 vcc, s63, v14
	v_ldexp_f32 v61, v61, v190
	v_cndmask_b32_e32 v61, 0, v61, vcc
	v_cmp_nlt_f32_e32 vcc, s10, v14
	v_add_f32_e32 v14, v203, v202
	v_add_f32_e32 v14, v17, v14
	;; [unrolled: 1-line block ×12, first 2 shown]
	v_cndmask_b32_e32 v200, v161, v61, vcc
	v_add_f32_e32 v14, v198, v14
	v_add_f32_e32 v14, v200, v14
	;; [unrolled: 1-line block ×3, first 2 shown]
	v_sub_f32_e32 v14, v79, v22
	v_mul_f32_e32 v79, 0x3fb8aa3b, v14
	v_fma_f32 v190, v14, s43, -v79
	v_rndne_f32_e32 v191, v79
	v_fmac_f32_e32 v190, 0x32a5705f, v14
	v_sub_f32_e32 v79, v79, v191
	v_add_f32_e32 v79, v79, v190
	v_exp_f32_e32 v79, v79
	v_cvt_i32_f32_e32 v190, v191
	v_cmp_ngt_f32_e32 vcc, s63, v14
	v_cvt_f16_f32_e32 v15, v15
	v_ldexp_f32 v79, v79, v190
	v_cndmask_b32_e32 v79, 0, v79, vcc
	v_cmp_nlt_f32_e32 vcc, s10, v14
	v_cndmask_b32_e32 v79, v161, v79, vcc
	v_cmp_le_f32_e32 vcc, s11, v14
	v_cndmask_b32_e32 v14, 0, v79, vcc
	v_fmac_f32_e32 v61, v78, v14
	v_cvt_f16_f32_e32 v14, v14
	v_pk_mul_f16 v181, v14, v181 op_sel_hi:[0,1]
	v_pk_mul_f16 v180, v14, v180 op_sel_hi:[0,1]
	;; [unrolled: 1-line block ×12, first 2 shown]
	v_cvt_f16_f32_e32 v14, v202
	v_cvt_f16_f32_e32 v76, v203
	;; [unrolled: 1-line block ×3, first 2 shown]
	v_pack_b32_f16 v78, v76, v14
	v_cvt_f16_f32_e32 v14, v16
	v_cvt_f16_f32_e32 v16, v17
	;; [unrolled: 1-line block ×3, first 2 shown]
	v_pack_b32_f16 v79, v16, v14
	v_cvt_f16_f32_e32 v14, v204
	v_cvt_f16_f32_e32 v16, v205
	v_pack_b32_f16 v76, v16, v14
	v_cvt_f16_f32_e32 v14, v193
	v_cvt_f16_f32_e32 v16, v206
	;; [unrolled: 3-line block ×3, first 2 shown]
	v_pack_b32_f16 v16, v16, v14
	v_cvt_f16_f32_e32 v14, v196
	global_load_dwordx4 v[194:197], v[64:65], off
	v_pack_b32_f16 v17, v17, v14
	v_cvt_f16_f32_e32 v14, v198
	v_pack_b32_f16 v14, v187, v14
	v_cvt_f16_f32_e32 v187, v200
	v_pack_b32_f16 v15, v187, v15
	s_waitcnt vmcnt(0)
	ds_write_b128 v59, v[194:197]
	v_add_co_u32_e32 v194, vcc, v66, v52
	v_addc_co_u32_e32 v195, vcc, 0, v1, vcc
	global_load_dwordx4 v[194:197], v[194:195], off
	s_waitcnt vmcnt(0)
	ds_write_b128 v67, v[194:197]
	v_add_co_u32_e32 v194, vcc, v68, v52
	v_addc_co_u32_e32 v195, vcc, 0, v23, vcc
	global_load_dwordx4 v[194:197], v[194:195], off
	v_add_co_u32_e32 v24, vcc, s6, v24
	v_addc_co_u32_e32 v25, vcc, 0, v25, vcc
	v_add_co_u32_e32 v62, vcc, s6, v62
	v_addc_co_u32_e32 v63, vcc, 0, v63, vcc
	v_add_co_u32_e32 v64, vcc, s66, v64
	s_waitcnt vmcnt(0)
	ds_write_b128 v153, v[194:197]
	s_waitcnt lgkmcnt(0)
	s_barrier
	ds_read_u16 v187, v81 offset:416
	v_cvt_f32_f16_e32 v196, v180
	v_cvt_f32_f16_sdwa v197, v180 dst_sel:DWORD dst_unused:UNUSED_PAD src0_sel:WORD_1
	ds_read_u16 v180, v82
	ds_read_u16 v193, v82 offset:32
	v_cvt_f32_f16_e32 v194, v181
	v_cvt_f32_f16_sdwa v195, v181 dst_sel:DWORD dst_unused:UNUSED_PAD src0_sel:WORD_1
	s_waitcnt lgkmcnt(1)
	v_perm_b32 v181, v180, v187, s54
	ds_read_u16 v180, v75
	ds_read_u16 v187, v75 offset:32
	ds_read_u16 v198, v81 offset:208
	;; [unrolled: 1-line block ×3, first 2 shown]
	s_waitcnt lgkmcnt(1)
	v_perm_b32 v180, v198, v180, s54
	s_nop 1
	v_mfma_f32_16x16x16f16 v[194:197], v[180:181], v[78:79], v[194:197]
	ds_read_u16 v198, v75 offset:3328
	ds_read_u16 v200, v81 offset:3536
	;; [unrolled: 1-line block ×4, first 2 shown]
	s_nop 6
	v_cvt_f16_f32_e32 v180, v194
	v_cvt_f16_f32_e32 v181, v195
	;; [unrolled: 1-line block ×4, first 2 shown]
	v_cvt_f32_f16_e32 v194, v180
	v_cvt_f32_f16_e32 v195, v181
	s_waitcnt lgkmcnt(0)
	v_perm_b32 v181, v202, v201, s54
	v_perm_b32 v180, v200, v198, s54
	v_cvt_f32_f16_e32 v196, v196
	v_cvt_f32_f16_e32 v197, v197
	ds_read_u16 v198, v75 offset:6656
	ds_read_u16 v200, v81 offset:6864
	;; [unrolled: 1-line block ×4, first 2 shown]
	v_mfma_f32_16x16x16f16 v[194:197], v[180:181], v[76:77], v[194:197]
	s_nop 7
	s_nop 2
	v_cvt_f16_f32_e32 v180, v194
	v_cvt_f16_f32_e32 v181, v195
	;; [unrolled: 1-line block ×4, first 2 shown]
	v_cvt_f32_f16_e32 v194, v180
	v_cvt_f32_f16_e32 v195, v181
	s_waitcnt lgkmcnt(0)
	v_perm_b32 v181, v202, v201, s54
	v_perm_b32 v180, v200, v198, s54
	v_cvt_f32_f16_e32 v196, v196
	v_cvt_f32_f16_e32 v197, v197
	ds_read_u16 v198, v75 offset:9984
	ds_read_u16 v200, v81 offset:10192
	;; [unrolled: 1-line block ×4, first 2 shown]
	v_mfma_f32_16x16x16f16 v[194:197], v[180:181], v[16:17], v[194:197]
	s_nop 7
	s_nop 2
	v_cvt_f16_f32_e32 v180, v194
	v_cvt_f16_f32_e32 v181, v195
	;; [unrolled: 1-line block ×4, first 2 shown]
	v_cvt_f32_f16_e32 v194, v180
	v_cvt_f32_f16_e32 v195, v181
	s_waitcnt lgkmcnt(0)
	v_perm_b32 v181, v202, v201, s54
	v_perm_b32 v180, v200, v198, s54
	v_cvt_f32_f16_e32 v196, v196
	v_cvt_f32_f16_e32 v197, v197
	ds_read_u16 v198, v86 offset:416
	s_nop 0
	v_mfma_f32_16x16x16f16 v[194:197], v[180:181], v[14:15], v[194:197]
	s_nop 7
	s_nop 2
	v_cvt_f16_f32_e32 v180, v194
	v_cvt_f16_f32_e32 v181, v195
	;; [unrolled: 1-line block ×4, first 2 shown]
	v_cvt_f32_f16_e32 v196, v182
	v_pack_b32_f16 v181, v180, v181
	v_cvt_f32_f16_sdwa v197, v182 dst_sel:DWORD dst_unused:UNUSED_PAD src0_sel:WORD_1
	v_pack_b32_f16 v180, v194, v195
	v_cvt_f32_f16_e32 v194, v183
	v_cvt_f32_f16_sdwa v195, v183 dst_sel:DWORD dst_unused:UNUSED_PAD src0_sel:WORD_1
	s_waitcnt lgkmcnt(0)
	v_perm_b32 v183, v193, v198, s54
	v_perm_b32 v182, v199, v187, s54
	ds_read_u16 v198, v75 offset:3360
	ds_read_u16 v199, v81 offset:3568
	ds_read_u16 v200, v87 offset:416
	ds_read_u16 v201, v82 offset:3360
	v_mfma_f32_16x16x16f16 v[194:197], v[182:183], v[78:79], v[194:197]
	s_nop 7
	s_nop 2
	v_cvt_f16_f32_e32 v182, v194
	v_cvt_f16_f32_e32 v183, v195
	v_cvt_f16_f32_e32 v187, v196
	v_cvt_f16_f32_e32 v193, v197
	v_cvt_f32_f16_e32 v194, v182
	v_cvt_f32_f16_e32 v195, v183
	s_waitcnt lgkmcnt(0)
	v_perm_b32 v183, v201, v200, s54
	v_perm_b32 v182, v199, v198, s54
	v_cvt_f32_f16_e32 v196, v187
	v_cvt_f32_f16_e32 v197, v193
	ds_read_u16 v198, v75 offset:6688
	ds_read_u16 v199, v81 offset:6896
	ds_read_u16 v200, v88 offset:416
	ds_read_u16 v201, v82 offset:6688
	v_mfma_f32_16x16x16f16 v[194:197], v[182:183], v[76:77], v[194:197]
	s_nop 7
	s_nop 2
	v_cvt_f16_f32_e32 v182, v194
	v_cvt_f16_f32_e32 v183, v195
	v_cvt_f16_f32_e32 v187, v196
	v_cvt_f16_f32_e32 v193, v197
	v_cvt_f32_f16_e32 v194, v182
	v_cvt_f32_f16_e32 v195, v183
	s_waitcnt lgkmcnt(0)
	v_perm_b32 v183, v201, v200, s54
	v_perm_b32 v182, v199, v198, s54
	v_cvt_f32_f16_e32 v196, v187
	v_cvt_f32_f16_e32 v197, v193
	;; [unrolled: 18-line block ×3, first 2 shown]
	s_nop 1
	v_mfma_f32_16x16x16f16 v[194:197], v[182:183], v[14:15], v[194:197]
	s_nop 7
	s_nop 2
	v_cvt_f16_f32_e32 v182, v194
	v_cvt_f16_f32_e32 v183, v195
	;; [unrolled: 1-line block ×4, first 2 shown]
	v_cvt_f32_f16_e32 v194, v186
	v_pack_b32_f16 v183, v182, v183
	v_cvt_f32_f16_sdwa v195, v186 dst_sel:DWORD dst_unused:UNUSED_PAD src0_sel:WORD_1
	v_pack_b32_f16 v182, v187, v193
	ds_read_u16 v193, v75 offset:64
	ds_read_u16 v198, v81 offset:272
	;; [unrolled: 1-line block ×4, first 2 shown]
	v_cvt_f32_f16_e32 v196, v185
	v_cvt_f32_f16_sdwa v197, v185 dst_sel:DWORD dst_unused:UNUSED_PAD src0_sel:WORD_1
	s_waitcnt lgkmcnt(2)
	v_perm_b32 v186, v198, v193, s54
	s_waitcnt lgkmcnt(0)
	v_perm_b32 v187, v199, v187, s54
	ds_read_u16 v198, v75 offset:3392
	ds_read_u16 v199, v81 offset:3600
	ds_read_u16 v200, v91 offset:416
	ds_read_u16 v201, v82 offset:3392
	v_mfma_f32_16x16x16f16 v[194:197], v[186:187], v[78:79], v[194:197]
	s_nop 7
	s_nop 2
	v_cvt_f16_f32_e32 v186, v195
	v_cvt_f16_f32_e32 v187, v196
	v_cvt_f16_f32_e32 v185, v194
	v_cvt_f16_f32_e32 v193, v197
	v_cvt_f32_f16_e32 v195, v186
	v_cvt_f32_f16_e32 v196, v187
	s_waitcnt lgkmcnt(0)
	v_perm_b32 v187, v201, v200, s54
	v_perm_b32 v186, v199, v198, s54
	v_cvt_f32_f16_e32 v194, v185
	v_cvt_f32_f16_e32 v197, v193
	ds_read_u16 v198, v75 offset:6720
	ds_read_u16 v199, v81 offset:6928
	ds_read_u16 v200, v92 offset:416
	ds_read_u16 v201, v82 offset:6720
	v_mfma_f32_16x16x16f16 v[194:197], v[186:187], v[76:77], v[194:197]
	s_nop 7
	s_nop 2
	v_cvt_f16_f32_e32 v186, v195
	v_cvt_f16_f32_e32 v187, v196
	v_cvt_f16_f32_e32 v185, v194
	v_cvt_f16_f32_e32 v193, v197
	v_cvt_f32_f16_e32 v195, v186
	v_cvt_f32_f16_e32 v196, v187
	s_waitcnt lgkmcnt(0)
	v_perm_b32 v187, v201, v200, s54
	v_perm_b32 v186, v199, v198, s54
	v_cvt_f32_f16_e32 v194, v185
	v_cvt_f32_f16_e32 v197, v193
	;; [unrolled: 18-line block ×3, first 2 shown]
	s_nop 1
	v_mfma_f32_16x16x16f16 v[194:197], v[186:187], v[14:15], v[194:197]
	s_nop 7
	s_nop 2
	v_cvt_f16_f32_e32 v185, v194
	v_cvt_f16_f32_e32 v186, v195
	;; [unrolled: 1-line block ×4, first 2 shown]
	v_cvt_f32_f16_e32 v194, v192
	v_pack_b32_f16 v186, v185, v186
	v_cvt_f32_f16_sdwa v195, v192 dst_sel:DWORD dst_unused:UNUSED_PAD src0_sel:WORD_1
	v_pack_b32_f16 v185, v187, v193
	ds_read_u16 v187, v75 offset:96
	ds_read_u16 v198, v81 offset:304
	;; [unrolled: 1-line block ×4, first 2 shown]
	v_cvt_f32_f16_e32 v196, v184
	v_cvt_f32_f16_sdwa v197, v184 dst_sel:DWORD dst_unused:UNUSED_PAD src0_sel:WORD_1
	s_waitcnt lgkmcnt(2)
	v_perm_b32 v192, v198, v187, s54
	s_waitcnt lgkmcnt(0)
	v_perm_b32 v193, v199, v193, s54
	s_nop 1
	v_mfma_f32_16x16x16f16 v[192:195], v[192:193], v[78:79], v[194:197]
	s_nop 6
	ds_read_u16 v196, v75 offset:3424
	ds_read_u16 v198, v81 offset:3632
	;; [unrolled: 1-line block ×4, first 2 shown]
	s_waitcnt lgkmcnt(2)
	v_perm_b32 v196, v198, v196, s54
	s_waitcnt lgkmcnt(0)
	v_perm_b32 v197, v199, v197, s54
	v_cvt_f16_f32_e32 v184, v192
	v_cvt_f16_f32_e32 v187, v193
	;; [unrolled: 1-line block ×4, first 2 shown]
	v_cvt_f32_f16_e32 v192, v184
	v_cvt_f32_f16_e32 v193, v187
	;; [unrolled: 1-line block ×4, first 2 shown]
	s_nop 1
	v_mfma_f32_16x16x16f16 v[192:195], v[196:197], v[76:77], v[192:195]
	ds_read_u16 v196, v75 offset:6752
	ds_read_u16 v198, v81 offset:6960
	;; [unrolled: 1-line block ×4, first 2 shown]
	s_waitcnt lgkmcnt(2)
	v_perm_b32 v196, v198, v196, s54
	s_waitcnt lgkmcnt(0)
	v_perm_b32 v197, v199, v197, s54
	s_nop 2
	v_cvt_f16_f32_e32 v184, v192
	v_cvt_f16_f32_e32 v187, v193
	;; [unrolled: 1-line block ×4, first 2 shown]
	v_cvt_f32_f16_e32 v192, v184
	v_cvt_f32_f16_e32 v193, v187
	;; [unrolled: 1-line block ×4, first 2 shown]
	s_nop 1
	v_mfma_f32_16x16x16f16 v[192:195], v[196:197], v[16:17], v[192:195]
	ds_read_u16 v196, v75 offset:10080
	ds_read_u16 v198, v81 offset:10288
	;; [unrolled: 1-line block ×4, first 2 shown]
	s_waitcnt lgkmcnt(2)
	v_perm_b32 v196, v198, v196, s54
	s_waitcnt lgkmcnt(0)
	v_perm_b32 v197, v199, v197, s54
	s_nop 2
	v_cvt_f16_f32_e32 v184, v192
	v_cvt_f16_f32_e32 v187, v193
	;; [unrolled: 1-line block ×4, first 2 shown]
	v_cvt_f32_f16_e32 v192, v184
	v_cvt_f32_f16_e32 v193, v187
	v_cvt_f32_f16_e32 v194, v194
	v_cvt_f32_f16_e32 v195, v195
	s_nop 1
	v_mfma_f32_16x16x16f16 v[192:195], v[196:197], v[14:15], v[192:195]
	ds_read_u16 v196, v75 offset:128
	ds_read_u16 v197, v81 offset:336
	;; [unrolled: 1-line block ×4, first 2 shown]
	s_nop 6
	v_cvt_f16_f32_e32 v184, v192
	v_cvt_f16_f32_e32 v187, v193
	;; [unrolled: 1-line block ×4, first 2 shown]
	v_cvt_f32_f16_e32 v194, v188
	v_pack_b32_f16 v184, v184, v187
	v_cvt_f32_f16_sdwa v195, v188 dst_sel:DWORD dst_unused:UNUSED_PAD src0_sel:WORD_1
	v_pack_b32_f16 v187, v192, v193
	v_cvt_f32_f16_e32 v192, v189
	v_cvt_f32_f16_sdwa v193, v189 dst_sel:DWORD dst_unused:UNUSED_PAD src0_sel:WORD_1
	s_waitcnt lgkmcnt(0)
	v_perm_b32 v189, v199, v198, s54
	v_perm_b32 v188, v197, v196, s54
	ds_read_u16 v196, v75 offset:3456
	ds_read_u16 v197, v81 offset:3664
	ds_read_u16 v198, v102 offset:416
	ds_read_u16 v199, v82 offset:3456
	v_mfma_f32_16x16x16f16 v[192:195], v[188:189], v[78:79], v[192:195]
	s_nop 7
	s_nop 2
	v_cvt_f16_f32_e32 v188, v192
	v_cvt_f16_f32_e32 v189, v193
	v_cvt_f16_f32_e32 v194, v194
	v_cvt_f16_f32_e32 v195, v195
	v_cvt_f32_f16_e32 v192, v188
	v_cvt_f32_f16_e32 v193, v189
	s_waitcnt lgkmcnt(0)
	v_perm_b32 v189, v199, v198, s54
	v_perm_b32 v188, v197, v196, s54
	v_cvt_f32_f16_e32 v194, v194
	v_cvt_f32_f16_e32 v195, v195
	ds_read_u16 v196, v75 offset:6784
	ds_read_u16 v197, v81 offset:6992
	ds_read_u16 v198, v103 offset:416
	ds_read_u16 v199, v82 offset:6784
	v_mfma_f32_16x16x16f16 v[192:195], v[188:189], v[76:77], v[192:195]
	s_nop 7
	s_nop 2
	v_cvt_f16_f32_e32 v188, v192
	v_cvt_f16_f32_e32 v189, v193
	v_cvt_f16_f32_e32 v194, v194
	v_cvt_f16_f32_e32 v195, v195
	v_cvt_f32_f16_e32 v192, v188
	v_cvt_f32_f16_e32 v193, v189
	s_waitcnt lgkmcnt(0)
	v_perm_b32 v189, v199, v198, s54
	v_perm_b32 v188, v197, v196, s54
	v_cvt_f32_f16_e32 v194, v194
	v_cvt_f32_f16_e32 v195, v195
	;; [unrolled: 18-line block ×3, first 2 shown]
	ds_read_u16 v196, v75 offset:160
	ds_read_u16 v197, v81 offset:368
	;; [unrolled: 1-line block ×4, first 2 shown]
	v_mfma_f32_16x16x16f16 v[192:195], v[188:189], v[14:15], v[192:195]
	s_nop 7
	s_nop 2
	v_cvt_f16_f32_e32 v188, v192
	v_cvt_f16_f32_e32 v189, v193
	;; [unrolled: 1-line block ×4, first 2 shown]
	v_cvt_f32_f16_e32 v194, v190
	v_pack_b32_f16 v189, v188, v189
	v_cvt_f32_f16_sdwa v195, v190 dst_sel:DWORD dst_unused:UNUSED_PAD src0_sel:WORD_1
	v_pack_b32_f16 v188, v192, v193
	v_cvt_f32_f16_e32 v192, v191
	v_cvt_f32_f16_sdwa v193, v191 dst_sel:DWORD dst_unused:UNUSED_PAD src0_sel:WORD_1
	s_waitcnt lgkmcnt(0)
	v_perm_b32 v191, v199, v198, s54
	v_perm_b32 v190, v197, v196, s54
	s_nop 1
	v_mfma_f32_16x16x16f16 v[190:193], v[190:191], v[78:79], v[192:195]
	s_nop 6
	ds_read_u16 v194, v75 offset:3488
	ds_read_u16 v195, v81 offset:3696
	;; [unrolled: 1-line block ×4, first 2 shown]
	v_cvt_f16_f32_e32 v78, v190
	v_cvt_f16_f32_e32 v79, v191
	;; [unrolled: 1-line block ×4, first 2 shown]
	v_cvt_f32_f16_e32 v190, v78
	v_cvt_f32_f16_e32 v191, v79
	s_waitcnt lgkmcnt(0)
	v_perm_b32 v79, v197, v196, s54
	v_perm_b32 v78, v195, v194, s54
	v_cvt_f32_f16_e32 v192, v192
	v_cvt_f32_f16_e32 v193, v193
	s_nop 1
	v_mfma_f32_16x16x16f16 v[76:79], v[78:79], v[76:77], v[190:193]
	s_nop 6
	ds_read_u16 v190, v75 offset:6816
	ds_read_u16 v192, v81 offset:7024
	;; [unrolled: 1-line block ×4, first 2 shown]
	s_waitcnt lgkmcnt(2)
	v_perm_b32 v190, v192, v190, s54
	s_waitcnt lgkmcnt(0)
	v_perm_b32 v191, v193, v191, s54
	v_cvt_f16_f32_e32 v76, v76
	v_cvt_f16_f32_e32 v77, v77
	;; [unrolled: 1-line block ×4, first 2 shown]
	v_cvt_f32_f16_e32 v76, v76
	v_cvt_f32_f16_e32 v77, v77
	v_cvt_f32_f16_e32 v78, v78
	v_cvt_f32_f16_e32 v79, v79
	s_nop 1
	v_mfma_f32_16x16x16f16 v[76:79], v[190:191], v[16:17], v[76:79]
	ds_read_u16 v190, v75 offset:10144
	ds_read_u16 v191, v81 offset:10352
	;; [unrolled: 1-line block ×4, first 2 shown]
	s_waitcnt lgkmcnt(0)
	s_barrier
	s_nop 4
	v_cvt_f16_f32_e32 v16, v76
	v_cvt_f16_f32_e32 v17, v77
	;; [unrolled: 1-line block ×4, first 2 shown]
	v_cvt_f32_f16_e32 v76, v16
	v_cvt_f32_f16_e32 v77, v17
	v_perm_b32 v17, v193, v192, s54
	v_perm_b32 v16, v191, v190, s54
	v_cvt_f32_f16_e32 v78, v78
	v_cvt_f32_f16_e32 v79, v79
	s_nop 1
	v_mfma_f32_16x16x16f16 v[14:17], v[16:17], v[14:15], v[76:79]
	s_nop 7
	s_nop 2
	v_cvt_f16_f32_e32 v14, v14
	v_cvt_f16_f32_e32 v15, v15
	v_cvt_f16_f32_e32 v16, v16
	v_cvt_f16_f32_e32 v17, v17
	v_pack_b32_f16 v77, v14, v15
	v_mov_b32_e32 v14, s67
	v_addc_co_u32_e32 v65, vcc, v65, v14, vcc
	v_add_co_u32_e32 v66, vcc, s66, v66
	v_addc_co_u32_e32 v1, vcc, v1, v14, vcc
	v_add_co_u32_e32 v68, vcc, s66, v68
	;; [unrolled: 2-line block ×3, first 2 shown]
	v_mov_b32_e32 v14, s69
	v_addc_co_u32_e32 v71, vcc, v71, v14, vcc
	v_add_co_u32_e32 v72, vcc, s68, v72
	v_addc_co_u32_e32 v27, vcc, v27, v14, vcc
	v_add_co_u32_e32 v74, vcc, s68, v74
	v_pack_b32_f16 v76, v16, v17
	v_addc_co_u32_e32 v29, vcc, v29, v14, vcc
	s_cbranch_scc1 .LBB14_190
.LBB14_191:                             ;   in Loop: Header=BB14_15 Depth=1
	s_lshl_b32 s58, s40, 6
	s_lshl_b64 s[0:1], s[58:59], 1
	v_add_co_u32_e32 v1, vcc, s0, v60
	v_mov_b32_e32 v14, s1
	v_addc_co_u32_e32 v14, vcc, v162, v14, vcc
	v_lshlrev_b32_e32 v15, 1, v36
	v_add_co_u32_e32 v1, vcc, v1, v15
	v_addc_co_u32_e32 v16, vcc, 0, v14, vcc
	v_lshlrev_b64 v[14:15], 1, v[18:19]
	v_add_co_u32_e32 v14, vcc, v1, v14
	v_addc_co_u32_e32 v15, vcc, v16, v15, vcc
	global_load_dword v14, v[14:15], off
	v_add_u32_e32 v17, v123, v151
	s_mul_i32 s0, s35, s58
	s_mul_hi_u32 s1, s34, s58
	s_add_i32 s1, s1, s0
	s_mul_i32 s0, s34, s58
	s_lshl_b64 s[0:1], s[0:1], 2
	s_add_u32 s0, s51, s0
	s_addc_u32 s1, s38, s1
	s_waitcnt vmcnt(0)
	ds_write_b32 v17, v14 offset:13312
	v_lshlrev_b64 v[14:15], 1, v[20:21]
	v_add_co_u32_e32 v14, vcc, v1, v14
	v_addc_co_u32_e32 v15, vcc, v16, v15, vcc
	global_load_dword v1, v[14:15], off
	v_mov_b32_e32 v14, s1
	s_waitcnt vmcnt(0)
	ds_write_b32 v17, v1 offset:14464
	v_add_co_u32_e32 v1, vcc, s0, v34
	v_addc_co_u32_e32 v15, vcc, v14, v35, vcc
	v_add_co_u32_e32 v14, vcc, v1, v99
	v_addc_co_u32_e32 v15, vcc, 0, v15, vcc
	global_load_dwordx4 v[14:17], v[14:15], off offset:128
	v_add_co_u32_e32 v1, vcc, s0, v42
	s_waitcnt vmcnt(0)
	ds_write_b128 v59, v[14:17]
	v_mov_b32_e32 v14, s1
	v_addc_co_u32_e32 v15, vcc, v14, v43, vcc
	v_add_co_u32_e32 v14, vcc, v1, v101
	v_addc_co_u32_e32 v15, vcc, 0, v15, vcc
	global_load_dwordx4 v[14:17], v[14:15], off
	v_add_co_u32_e32 v1, vcc, s0, v44
	s_mul_i32 s0, s31, s58
	s_waitcnt vmcnt(0)
	ds_write_b128 v67, v[14:17]
	v_mov_b32_e32 v14, s1
	v_addc_co_u32_e32 v15, vcc, v14, v45, vcc
	v_add_co_u32_e32 v14, vcc, v1, v101
	v_addc_co_u32_e32 v15, vcc, 0, v15, vcc
	global_load_dwordx4 v[14:17], v[14:15], off
	v_add_u32_e32 v1, 0x800, v51
	v_cmp_lt_i32_e32 vcc, v176, v175
	s_mul_hi_u32 s1, s30, s58
	s_add_i32 s1, s1, s0
	s_mul_i32 s0, s30, s58
	s_lshl_b64 s[0:1], s[0:1], 2
	s_add_u32 s0, s62, s0
	s_addc_u32 s1, s50, s1
	s_cmp_lg_u64 s[70:71], 0
	s_waitcnt vmcnt(0)
	ds_write_b128 v153, v[14:17]
	s_waitcnt lgkmcnt(0)
	s_barrier
	ds_read2_b64 v[14:17], v51 offset1:4
	s_waitcnt lgkmcnt(0)
	v_mfma_f32_16x16x16f16 v[18:21], v[14:15], v[10:11], 0
	v_mfma_f32_16x16x16f16 v[14:17], v[16:17], v[12:13], v[18:21]
	s_nop 7
	s_nop 1
	ds_read2_b64 v[18:21], v51 offset0:8 offset1:12
	s_waitcnt lgkmcnt(0)
	v_mfma_f32_16x16x16f16 v[14:17], v[18:19], v[6:7], v[14:17]
	v_mfma_f32_16x16x16f16 v[14:17], v[20:21], v[8:9], v[14:17]
	ds_read2_b64 v[18:21], v51 offset0:16 offset1:20
	s_waitcnt lgkmcnt(0)
	v_mfma_f32_16x16x16f16 v[14:17], v[18:19], v[2:3], v[14:17]
	v_mfma_f32_16x16x16f16 v[14:17], v[20:21], v[4:5], v[14:17]
	;; [unrolled: 4-line block ×3, first 2 shown]
	s_nop 7
	s_nop 1
	ds_read2_b64 v[62:65], v1 offset0:168 offset1:172
	s_waitcnt lgkmcnt(0)
	v_mfma_f32_16x16x16f16 v[18:21], v[62:63], v[6:7], v[18:21]
	v_mfma_f32_16x16x16f16 v[18:21], v[64:65], v[8:9], v[18:21]
	ds_read2_b64 v[62:65], v1 offset0:176 offset1:180
	v_add_u32_e32 v1, 0x1800, v51
	s_waitcnt lgkmcnt(0)
	v_mfma_f32_16x16x16f16 v[18:21], v[62:63], v[2:3], v[18:21]
	v_mfma_f32_16x16x16f16 v[18:21], v[64:65], v[4:5], v[18:21]
	ds_read2_b64 v[62:65], v1 offset0:64 offset1:68
	s_waitcnt lgkmcnt(0)
	v_mfma_f32_16x16x16f16 v[190:193], v[62:63], v[10:11], 0
	v_mfma_f32_16x16x16f16 v[62:65], v[64:65], v[12:13], v[190:193]
	s_nop 7
	s_nop 1
	ds_read2_b64 v[190:193], v1 offset0:72 offset1:76
	s_waitcnt lgkmcnt(0)
	v_mfma_f32_16x16x16f16 v[62:65], v[190:191], v[6:7], v[62:65]
	v_mfma_f32_16x16x16f16 v[62:65], v[192:193], v[8:9], v[62:65]
	ds_read2_b64 v[190:193], v1 offset0:80 offset1:84
	v_add_u32_e32 v1, 0x2000, v51
	s_waitcnt lgkmcnt(0)
	v_mfma_f32_16x16x16f16 v[62:65], v[190:191], v[2:3], v[62:65]
	v_mfma_f32_16x16x16f16 v[62:65], v[192:193], v[4:5], v[62:65]
	ds_read2_b64 v[190:193], v1 offset0:224 offset1:228
	s_waitcnt lgkmcnt(0)
	v_mfma_f32_16x16x16f16 v[194:197], v[190:191], v[10:11], 0
	v_mfma_f32_16x16x16f16 v[10:13], v[192:193], v[12:13], v[194:197]
	ds_read2_b64 v[190:193], v1 offset0:232 offset1:236
	s_waitcnt lgkmcnt(0)
	v_mfma_f32_16x16x16f16 v[10:13], v[190:191], v[6:7], v[10:13]
	v_mfma_f32_16x16x16f16 v[6:9], v[192:193], v[8:9], v[10:13]
	s_nop 7
	s_nop 1
	ds_read2_b64 v[10:13], v1 offset0:240 offset1:244
	s_waitcnt lgkmcnt(0)
	v_mfma_f32_16x16x16f16 v[6:9], v[10:11], v[2:3], v[6:9]
	v_add_u32_e32 v1, 0x3400, v154
	s_barrier
	ds_read_b32 v2, v69 offset:13312
	ds_read_b32 v23, v73 offset:13312
	ds_read2_b32 v[24:25], v1 offset1:1
	v_add_u32_e32 v1, 0x3400, v155
	ds_read2_b32 v[10:11], v1 offset1:1
	v_add_u32_e32 v1, 0x3400, v156
	v_mfma_f32_16x16x16f16 v[6:9], v[12:13], v[4:5], v[6:9]
	ds_read2_b32 v[12:13], v1 offset1:1
	v_cndmask_b32_e32 v1, v174, v176, vcc
	v_lshlrev_b32_e32 v3, 2, v1
	v_cmp_lt_i32_e32 vcc, v177, v175
	v_cndmask_b32_e32 v1, v174, v177, vcc
	s_waitcnt lgkmcnt(0)
	v_cvt_f32_f16_e32 v4, v13
	v_cvt_f32_f16_sdwa v5, v13 dst_sel:DWORD dst_unused:UNUSED_PAD src0_sel:WORD_1
	v_cvt_f32_f16_sdwa v13, v10 dst_sel:DWORD dst_unused:UNUSED_PAD src0_sel:WORD_1
	v_lshlrev_b32_e32 v1, 2, v1
	s_nop 0
	v_pk_add_f32 v[4:5], v[8:9], v[4:5]
	v_cvt_f32_f16_e32 v8, v12
	v_cvt_f32_f16_sdwa v9, v12 dst_sel:DWORD dst_unused:UNUSED_PAD src0_sel:WORD_1
	v_cvt_f32_f16_e32 v12, v10
	v_add_f32_e32 v27, 0x40051340, v4
	v_add_f32_e32 v29, 0x40051340, v5
	v_pk_add_f32 v[6:7], v[6:7], v[8:9]
	v_cvt_f32_f16_e32 v8, v11
	v_cvt_f32_f16_sdwa v9, v11 dst_sel:DWORD dst_unused:UNUSED_PAD src0_sel:WORD_1
	v_pk_add_f32 v[10:11], v[62:63], v[12:13]
	v_cvt_f32_f16_e32 v12, v25
	v_cvt_f32_f16_sdwa v13, v25 dst_sel:DWORD dst_unused:UNUSED_PAD src0_sel:WORD_1
	v_pk_add_f32 v[8:9], v[64:65], v[8:9]
	v_add_f32_e32 v62, 0x40051340, v10
	v_add_f32_e32 v63, 0x40051340, v11
	v_pk_add_f32 v[12:13], v[20:21], v[12:13]
	v_cvt_f32_f16_e32 v20, v24
	v_cvt_f32_f16_sdwa v21, v24 dst_sel:DWORD dst_unused:UNUSED_PAD src0_sel:WORD_1
	v_add_f32_e32 v25, 0x40051340, v12
	v_add_f32_e32 v68, 0x40051340, v13
	;; [unrolled: 1-line block ×3, first 2 shown]
	v_pk_add_f32 v[18:19], v[18:19], v[20:21]
	v_cvt_f32_f16_sdwa v21, v23 dst_sel:DWORD dst_unused:UNUSED_PAD src0_sel:WORD_1
	v_cvt_f32_f16_e32 v20, v23
	v_add_f32_e32 v24, 0x40051340, v18
	v_add_f32_e32 v70, 0x40051340, v19
	v_add_f32_e32 v65, 0x40051340, v9
	v_pk_add_f32 v[16:17], v[16:17], v[20:21]
	v_cvt_f32_f16_sdwa v21, v2 dst_sel:DWORD dst_unused:UNUSED_PAD src0_sel:WORD_1
	v_cvt_f32_f16_e32 v20, v2
	v_add_f32_e32 v23, 0x40051340, v16
	v_add_f32_e32 v71, 0x40051340, v17
	v_add_f32_e32 v60, 0x40051340, v6
	v_pk_add_f32 v[14:15], v[14:15], v[20:21]
	v_add_f32_e32 v2, 0x40051340, v14
	v_add_f32_e32 v20, 0x40051340, v15
	v_max3_f32 v2, v22, v2, v20
	v_max3_f32 v2, v2, v23, v71
	;; [unrolled: 1-line block ×5, first 2 shown]
	v_add_f32_e32 v66, 0x40051340, v7
	v_max3_f32 v2, v2, v64, v65
	v_max3_f32 v2, v2, v60, v66
	v_max3_f32 v2, v2, v27, v29
	ds_bpermute_b32 v20, v3, v2
	s_waitcnt lgkmcnt(0)
	v_max_f32_e32 v20, v20, v20
	v_max_f32_e32 v2, v2, v20
	ds_bpermute_b32 v20, v1, v2
	s_waitcnt lgkmcnt(0)
	v_max_f32_e32 v20, v20, v20
	v_max_f32_e32 v2, v2, v20
	v_pk_add_f32 v[20:21], v[14:15], v[2:3] op_sel_hi:[1,0] neg_lo:[0,1] neg_hi:[0,1]
	v_mul_f32_e32 v14, 0x3fb8aa3b, v21
	v_fma_f32 v15, v21, s43, -v14
	v_rndne_f32_e32 v23, v14
	v_fmac_f32_e32 v15, 0x32a5705f, v21
	v_sub_f32_e32 v14, v14, v23
	v_add_f32_e32 v14, v14, v15
	v_exp_f32_e32 v14, v14
	v_cvt_i32_f32_e32 v15, v23
	v_cmp_ngt_f32_e32 vcc, s63, v21
	v_pk_add_f32 v[16:17], v[16:17], v[2:3] op_sel_hi:[1,0] neg_lo:[0,1] neg_hi:[0,1]
	v_pk_add_f32 v[12:13], v[12:13], v[2:3] op_sel_hi:[1,0] neg_lo:[0,1] neg_hi:[0,1]
	v_ldexp_f32 v14, v14, v15
	v_mul_f32_e32 v15, 0x3fb8aa3b, v20
	v_cndmask_b32_e32 v14, 0, v14, vcc
	v_cmp_nlt_f32_e32 vcc, s10, v21
	v_fma_f32 v21, v20, s43, -v15
	v_rndne_f32_e32 v23, v15
	v_fmac_f32_e32 v21, 0x32a5705f, v20
	v_sub_f32_e32 v15, v15, v23
	v_add_f32_e32 v15, v15, v21
	v_exp_f32_e32 v15, v15
	v_cvt_i32_f32_e32 v21, v23
	v_cndmask_b32_e32 v14, v161, v14, vcc
	v_cmp_ngt_f32_e32 vcc, s63, v20
	v_pk_add_f32 v[10:11], v[10:11], v[2:3] op_sel_hi:[1,0] neg_lo:[0,1] neg_hi:[0,1]
	v_ldexp_f32 v15, v15, v21
	v_cndmask_b32_e32 v15, 0, v15, vcc
	v_cmp_nlt_f32_e32 vcc, s10, v20
	v_mul_f32_e32 v20, 0x3fb8aa3b, v17
	v_fma_f32 v21, v17, s43, -v20
	v_rndne_f32_e32 v23, v20
	v_fmac_f32_e32 v21, 0x32a5705f, v17
	v_sub_f32_e32 v20, v20, v23
	v_add_f32_e32 v20, v20, v21
	v_exp_f32_e32 v20, v20
	v_cvt_i32_f32_e32 v21, v23
	v_cndmask_b32_e32 v15, v161, v15, vcc
	v_cmp_ngt_f32_e32 vcc, s63, v17
	v_pk_add_f32 v[8:9], v[8:9], v[2:3] op_sel_hi:[1,0] neg_lo:[0,1] neg_hi:[0,1]
	v_ldexp_f32 v20, v20, v21
	v_cndmask_b32_e32 v20, 0, v20, vcc
	v_cmp_nlt_f32_e32 vcc, s10, v17
	v_mul_f32_e32 v17, 0x3fb8aa3b, v16
	v_cndmask_b32_e32 v25, v161, v20, vcc
	v_fma_f32 v20, v16, s43, -v17
	v_rndne_f32_e32 v21, v17
	v_fmac_f32_e32 v20, 0x32a5705f, v16
	v_sub_f32_e32 v17, v17, v21
	v_add_f32_e32 v17, v17, v20
	v_exp_f32_e32 v17, v17
	v_cvt_i32_f32_e32 v20, v21
	v_cmp_ngt_f32_e32 vcc, s63, v16
	v_pk_add_f32 v[6:7], v[6:7], v[2:3] op_sel_hi:[1,0] neg_lo:[0,1] neg_hi:[0,1]
	v_pk_add_f32 v[4:5], v[4:5], v[2:3] op_sel_hi:[1,0] neg_lo:[0,1] neg_hi:[0,1]
	v_ldexp_f32 v17, v17, v20
	v_cndmask_b32_e32 v17, 0, v17, vcc
	v_cmp_nlt_f32_e32 vcc, s10, v16
	v_cndmask_b32_e32 v27, v161, v17, vcc
	v_pk_add_f32 v[16:17], v[18:19], v[2:3] op_sel_hi:[1,0] neg_lo:[0,1] neg_hi:[0,1]
	v_mul_f32_e32 v18, 0x3fb8aa3b, v17
	v_fma_f32 v19, v17, s43, -v18
	v_rndne_f32_e32 v20, v18
	v_fmac_f32_e32 v19, 0x32a5705f, v17
	v_sub_f32_e32 v18, v18, v20
	v_add_f32_e32 v18, v18, v19
	v_exp_f32_e32 v18, v18
	v_cvt_i32_f32_e32 v19, v20
	v_cmp_ngt_f32_e32 vcc, s63, v17
	v_ldexp_f32 v18, v18, v19
	v_cndmask_b32_e32 v18, 0, v18, vcc
	v_cmp_nlt_f32_e32 vcc, s10, v17
	v_mul_f32_e32 v17, 0x3fb8aa3b, v16
	v_cndmask_b32_e32 v29, v161, v18, vcc
	v_fma_f32 v18, v16, s43, -v17
	v_rndne_f32_e32 v19, v17
	v_fmac_f32_e32 v18, 0x32a5705f, v16
	v_sub_f32_e32 v17, v17, v19
	v_add_f32_e32 v17, v17, v18
	v_exp_f32_e32 v17, v17
	v_cvt_i32_f32_e32 v18, v19
	v_cmp_ngt_f32_e32 vcc, s63, v16
	v_ldexp_f32 v17, v17, v18
	v_cndmask_b32_e32 v17, 0, v17, vcc
	v_cmp_nlt_f32_e32 vcc, s10, v16
	v_mul_f32_e32 v16, 0x3fb8aa3b, v13
	v_cndmask_b32_e32 v60, v161, v17, vcc
	;; [unrolled: 13-line block ×6, first 2 shown]
	v_fma_f32 v11, v9, s43, -v10
	v_rndne_f32_e32 v12, v10
	v_fmac_f32_e32 v11, 0x32a5705f, v9
	v_sub_f32_e32 v10, v10, v12
	v_add_f32_e32 v10, v10, v11
	v_exp_f32_e32 v10, v10
	v_cvt_i32_f32_e32 v11, v12
	v_cmp_ngt_f32_e32 vcc, s63, v9
	v_ldexp_f32 v10, v10, v11
	v_cndmask_b32_e32 v10, 0, v10, vcc
	v_cmp_nlt_f32_e32 vcc, s10, v9
	v_cndmask_b32_e32 v9, v161, v10, vcc
	v_mul_f32_e32 v10, 0x3fb8aa3b, v8
	v_fma_f32 v11, v8, s43, -v10
	v_rndne_f32_e32 v12, v10
	v_fmac_f32_e32 v11, 0x32a5705f, v8
	v_sub_f32_e32 v10, v10, v12
	v_add_f32_e32 v10, v10, v11
	v_exp_f32_e32 v10, v10
	v_cvt_i32_f32_e32 v11, v12
	v_cmp_ngt_f32_e32 vcc, s63, v8
	v_ldexp_f32 v10, v10, v11
	v_cndmask_b32_e32 v10, 0, v10, vcc
	v_cmp_nlt_f32_e32 vcc, s10, v8
	v_mul_f32_e32 v8, 0x3fb8aa3b, v7
	v_cndmask_b32_e32 v66, v161, v10, vcc
	v_fma_f32 v10, v7, s43, -v8
	v_rndne_f32_e32 v11, v8
	v_fmac_f32_e32 v10, 0x32a5705f, v7
	v_sub_f32_e32 v8, v8, v11
	v_add_f32_e32 v8, v8, v10
	v_exp_f32_e32 v8, v8
	v_cvt_i32_f32_e32 v10, v11
	v_cmp_ngt_f32_e32 vcc, s63, v7
	v_ldexp_f32 v8, v8, v10
	v_cndmask_b32_e32 v8, 0, v8, vcc
	v_cmp_nlt_f32_e32 vcc, s10, v7
	v_mul_f32_e32 v7, 0x3fb8aa3b, v6
	v_cndmask_b32_e32 v68, v161, v8, vcc
	;; [unrolled: 13-line block ×3, first 2 shown]
	v_fma_f32 v7, v5, s43, -v6
	v_rndne_f32_e32 v8, v6
	v_fmac_f32_e32 v7, 0x32a5705f, v5
	v_sub_f32_e32 v6, v6, v8
	v_add_f32_e32 v6, v6, v7
	v_exp_f32_e32 v6, v6
	v_cvt_i32_f32_e32 v7, v8
	v_cmp_ngt_f32_e32 vcc, s63, v5
	v_ldexp_f32 v6, v6, v7
	v_cndmask_b32_e32 v6, 0, v6, vcc
	v_cmp_nlt_f32_e32 vcc, s10, v5
	v_cndmask_b32_e32 v5, v161, v6, vcc
	v_mul_f32_e32 v6, 0x3fb8aa3b, v4
	v_fma_f32 v7, v4, s43, -v6
	v_rndne_f32_e32 v8, v6
	v_fmac_f32_e32 v7, 0x32a5705f, v4
	v_sub_f32_e32 v6, v6, v8
	v_add_f32_e32 v6, v6, v7
	v_exp_f32_e32 v6, v6
	v_cvt_i32_f32_e32 v7, v8
	v_cmp_ngt_f32_e32 vcc, s63, v4
	v_ldexp_f32 v6, v6, v7
	v_cndmask_b32_e32 v6, 0, v6, vcc
	v_cmp_nlt_f32_e32 vcc, s10, v4
	v_add_f32_e32 v4, v15, v14
	v_add_f32_e32 v4, v27, v4
	v_add_f32_e32 v4, v25, v4
	v_add_f32_e32 v4, v60, v4
	v_add_f32_e32 v4, v29, v4
	v_add_f32_e32 v4, v63, v4
	v_add_f32_e32 v4, v62, v4
	v_add_f32_e32 v4, v65, v4
	v_add_f32_e32 v4, v64, v4
	v_add_f32_e32 v4, v66, v4
	v_add_f32_e32 v4, v9, v4
	v_add_f32_e32 v4, v70, v4
	v_cndmask_b32_e32 v71, v161, v6, vcc
	v_add_f32_e32 v4, v68, v4
	v_add_f32_e32 v4, v71, v4
	;; [unrolled: 1-line block ×3, first 2 shown]
	v_sub_f32_e32 v4, v22, v2
	v_mul_f32_e32 v6, 0x3fb8aa3b, v4
	v_fma_f32 v7, v4, s43, -v6
	v_rndne_f32_e32 v8, v6
	v_fmac_f32_e32 v7, 0x32a5705f, v4
	v_sub_f32_e32 v6, v6, v8
	v_add_f32_e32 v6, v6, v7
	v_exp_f32_e32 v6, v6
	v_cvt_i32_f32_e32 v7, v8
	v_cmp_ngt_f32_e32 vcc, s63, v4
	v_cvt_f16_f32_e32 v8, v15
	v_cvt_f16_f32_e32 v5, v5
	v_ldexp_f32 v6, v6, v7
	v_cndmask_b32_e32 v6, 0, v6, vcc
	v_cmp_nlt_f32_e32 vcc, s10, v4
	v_cndmask_b32_e32 v6, v161, v6, vcc
	v_cmp_le_f32_e32 vcc, s11, v4
	v_cndmask_b32_e32 v4, 0, v6, vcc
	v_fmac_f32_e32 v23, v61, v4
	v_cvt_f16_f32_e32 v4, v4
	ds_bpermute_b32 v3, v3, v23
	v_pk_mul_f16 v7, v4, v181 op_sel_hi:[0,1]
	v_pk_mul_f16 v6, v4, v180 op_sel_hi:[0,1]
	v_pk_mul_f16 v13, v4, v183 op_sel_hi:[0,1]
	v_pk_mul_f16 v12, v4, v182 op_sel_hi:[0,1]
	v_pk_mul_f16 v17, v4, v186 op_sel_hi:[0,1]
	v_pk_mul_f16 v16, v4, v185 op_sel_hi:[0,1]
	v_pk_mul_f16 v19, v4, v184 op_sel_hi:[0,1]
	v_pk_mul_f16 v18, v4, v187 op_sel_hi:[0,1]
	v_pk_mul_f16 v21, v4, v189 op_sel_hi:[0,1]
	v_pk_mul_f16 v20, v4, v188 op_sel_hi:[0,1]
	v_pk_mul_f16 v24, v4, v77 op_sel_hi:[0,1]
	v_pk_mul_f16 v22, v4, v76 op_sel_hi:[0,1]
	v_cvt_f16_f32_e32 v4, v14
	s_waitcnt lgkmcnt(0)
	v_add_f32_e32 v3, v23, v3
	ds_bpermute_b32 v1, v1, v3
	v_pack_b32_f16 v14, v8, v4
	v_cvt_f16_f32_e32 v4, v25
	v_cvt_f16_f32_e32 v8, v27
	;; [unrolled: 1-line block ×3, first 2 shown]
	v_mov_b32_e32 v27, s1
	s_waitcnt lgkmcnt(0)
	v_add_f32_e32 v3, v3, v1
	v_pack_b32_f16 v15, v8, v4
	v_cvt_f16_f32_e32 v4, v29
	v_cvt_f16_f32_e32 v8, v60
	v_pack_b32_f16 v10, v8, v4
	v_cvt_f16_f32_e32 v4, v62
	v_cvt_f16_f32_e32 v8, v63
	;; [unrolled: 3-line block ×4, first 2 shown]
	v_pack_b32_f16 v9, v9, v4
	v_cvt_f16_f32_e32 v4, v68
	v_pack_b32_f16 v4, v25, v4
	v_cvt_f16_f32_e32 v25, v71
	v_pack_b32_f16 v5, v25, v5
	v_add_co_u32_e32 v25, vcc, s0, v32
	v_addc_co_u32_e32 v27, vcc, v27, v33, vcc
	v_add_co_u32_e32 v60, vcc, v25, v99
	v_addc_co_u32_e32 v61, vcc, 0, v27, vcc
	global_load_dwordx4 v[60:63], v[60:61], off offset:128
	v_add_co_u32_e32 v25, vcc, s0, v38
	v_mov_b32_e32 v27, s1
	v_addc_co_u32_e32 v27, vcc, v27, v39, vcc
	s_waitcnt vmcnt(0)
	ds_write_b128 v59, v[60:63]
	v_add_co_u32_e32 v60, vcc, v25, v101
	v_addc_co_u32_e32 v61, vcc, 0, v27, vcc
	global_load_dwordx4 v[60:63], v[60:61], off
	v_add_co_u32_e32 v25, vcc, s0, v40
	v_mov_b32_e32 v27, s1
	v_addc_co_u32_e32 v27, vcc, v27, v41, vcc
	s_waitcnt vmcnt(0)
	ds_write_b128 v67, v[60:63]
	v_add_co_u32_e32 v60, vcc, v25, v101
	v_addc_co_u32_e32 v61, vcc, 0, v27, vcc
	global_load_dwordx4 v[60:63], v[60:61], off
	v_add_u32_e32 v25, v80, v55
	v_add_u32_e32 v27, v80, v53
	s_waitcnt vmcnt(0)
	ds_write_b128 v153, v[60:63]
	s_waitcnt lgkmcnt(0)
	s_barrier
	ds_read_u16 v29, v81 offset:416
	v_cvt_f32_f16_e32 v62, v6
	v_cvt_f32_f16_sdwa v63, v6 dst_sel:DWORD dst_unused:UNUSED_PAD src0_sel:WORD_1
	ds_read_u16 v6, v25
	ds_read_u16 v64, v25 offset:32
	v_cvt_f32_f16_e32 v60, v7
	v_cvt_f32_f16_sdwa v61, v7 dst_sel:DWORD dst_unused:UNUSED_PAD src0_sel:WORD_1
	s_waitcnt lgkmcnt(1)
	v_perm_b32 v7, v6, v29, s54
	ds_read_u16 v6, v75
	ds_read_u16 v29, v75 offset:32
	ds_read_u16 v65, v27 offset:208
	;; [unrolled: 1-line block ×3, first 2 shown]
	s_waitcnt lgkmcnt(1)
	v_perm_b32 v6, v65, v6, s54
	s_nop 1
	v_mfma_f32_16x16x16f16 v[60:63], v[6:7], v[14:15], v[60:63]
	ds_read_u16 v65, v75 offset:3328
	ds_read_u16 v68, v27 offset:3536
	;; [unrolled: 1-line block ×4, first 2 shown]
	s_nop 6
	v_cvt_f16_f32_e32 v6, v60
	v_cvt_f16_f32_e32 v7, v61
	v_cvt_f16_f32_e32 v62, v62
	v_cvt_f16_f32_e32 v63, v63
	v_cvt_f32_f16_e32 v60, v6
	v_cvt_f32_f16_e32 v61, v7
	s_waitcnt lgkmcnt(0)
	v_perm_b32 v7, v71, v70, s54
	v_perm_b32 v6, v68, v65, s54
	v_cvt_f32_f16_e32 v62, v62
	v_cvt_f32_f16_e32 v63, v63
	ds_read_u16 v65, v75 offset:6656
	ds_read_u16 v68, v27 offset:6864
	;; [unrolled: 1-line block ×4, first 2 shown]
	v_mfma_f32_16x16x16f16 v[60:63], v[6:7], v[10:11], v[60:63]
	s_nop 7
	s_nop 2
	v_cvt_f16_f32_e32 v6, v60
	v_cvt_f16_f32_e32 v7, v61
	;; [unrolled: 1-line block ×4, first 2 shown]
	v_cvt_f32_f16_e32 v60, v6
	v_cvt_f32_f16_e32 v61, v7
	s_waitcnt lgkmcnt(0)
	v_perm_b32 v7, v71, v70, s54
	v_perm_b32 v6, v68, v65, s54
	v_cvt_f32_f16_e32 v62, v62
	v_cvt_f32_f16_e32 v63, v63
	ds_read_u16 v65, v75 offset:9984
	ds_read_u16 v68, v27 offset:10192
	;; [unrolled: 1-line block ×4, first 2 shown]
	v_mfma_f32_16x16x16f16 v[60:63], v[6:7], v[8:9], v[60:63]
	s_nop 7
	s_nop 2
	v_cvt_f16_f32_e32 v6, v60
	v_cvt_f16_f32_e32 v7, v61
	;; [unrolled: 1-line block ×4, first 2 shown]
	v_cvt_f32_f16_e32 v60, v6
	v_cvt_f32_f16_e32 v61, v7
	s_waitcnt lgkmcnt(0)
	v_perm_b32 v7, v71, v70, s54
	v_perm_b32 v6, v68, v65, s54
	v_cvt_f32_f16_e32 v62, v62
	v_cvt_f32_f16_e32 v63, v63
	ds_read_u16 v65, v86 offset:416
	s_nop 0
	v_mfma_f32_16x16x16f16 v[60:63], v[6:7], v[4:5], v[60:63]
	s_nop 7
	s_nop 2
	v_cvt_f16_f32_e32 v6, v60
	v_cvt_f16_f32_e32 v7, v61
	;; [unrolled: 1-line block ×4, first 2 shown]
	v_cvt_f32_f16_e32 v62, v12
	v_pack_b32_f16 v6, v6, v7
	v_cvt_f32_f16_sdwa v63, v12 dst_sel:DWORD dst_unused:UNUSED_PAD src0_sel:WORD_1
	v_pack_b32_f16 v7, v60, v61
	v_cvt_f32_f16_e32 v60, v13
	v_cvt_f32_f16_sdwa v61, v13 dst_sel:DWORD dst_unused:UNUSED_PAD src0_sel:WORD_1
	s_waitcnt lgkmcnt(0)
	v_perm_b32 v13, v64, v65, s54
	v_perm_b32 v12, v66, v29, s54
	ds_read_u16 v64, v75 offset:3360
	ds_read_u16 v65, v27 offset:3568
	ds_read_u16 v66, v87 offset:416
	ds_read_u16 v68, v25 offset:3360
	v_mfma_f32_16x16x16f16 v[60:63], v[12:13], v[14:15], v[60:63]
	s_nop 7
	s_nop 2
	v_cvt_f16_f32_e32 v12, v60
	v_cvt_f16_f32_e32 v13, v61
	v_cvt_f16_f32_e32 v29, v62
	v_cvt_f16_f32_e32 v63, v63
	v_cvt_f32_f16_e32 v60, v12
	v_cvt_f32_f16_e32 v61, v13
	s_waitcnt lgkmcnt(0)
	v_perm_b32 v13, v68, v66, s54
	v_perm_b32 v12, v65, v64, s54
	v_cvt_f32_f16_e32 v62, v29
	v_cvt_f32_f16_e32 v63, v63
	ds_read_u16 v64, v75 offset:6688
	ds_read_u16 v65, v27 offset:6896
	ds_read_u16 v66, v88 offset:416
	ds_read_u16 v68, v25 offset:6688
	v_mfma_f32_16x16x16f16 v[60:63], v[12:13], v[10:11], v[60:63]
	s_nop 7
	s_nop 2
	v_cvt_f16_f32_e32 v12, v60
	v_cvt_f16_f32_e32 v13, v61
	v_cvt_f16_f32_e32 v29, v62
	v_cvt_f16_f32_e32 v63, v63
	v_cvt_f32_f16_e32 v60, v12
	v_cvt_f32_f16_e32 v61, v13
	s_waitcnt lgkmcnt(0)
	v_perm_b32 v13, v68, v66, s54
	v_perm_b32 v12, v65, v64, s54
	v_cvt_f32_f16_e32 v62, v29
	v_cvt_f32_f16_e32 v63, v63
	;; [unrolled: 18-line block ×3, first 2 shown]
	s_nop 1
	v_mfma_f32_16x16x16f16 v[60:63], v[12:13], v[4:5], v[60:63]
	s_nop 7
	s_nop 2
	v_cvt_f16_f32_e32 v12, v60
	v_cvt_f16_f32_e32 v13, v61
	;; [unrolled: 1-line block ×4, first 2 shown]
	v_cvt_f32_f16_sdwa v61, v17 dst_sel:DWORD dst_unused:UNUSED_PAD src0_sel:WORD_1
	v_pack_b32_f16 v12, v12, v13
	v_cvt_f32_f16_e32 v62, v16
	v_pack_b32_f16 v13, v29, v60
	ds_read_u16 v29, v75 offset:64
	ds_read_u16 v64, v27 offset:272
	ds_read_u16 v65, v90 offset:416
	ds_read_u16 v66, v25 offset:64
	v_cvt_f32_f16_e32 v60, v17
	v_cvt_f32_f16_sdwa v63, v16 dst_sel:DWORD dst_unused:UNUSED_PAD src0_sel:WORD_1
	s_waitcnt lgkmcnt(2)
	v_perm_b32 v16, v64, v29, s54
	s_waitcnt lgkmcnt(0)
	v_perm_b32 v17, v66, v65, s54
	ds_read_u16 v64, v75 offset:3392
	ds_read_u16 v65, v27 offset:3600
	ds_read_u16 v66, v91 offset:416
	ds_read_u16 v68, v25 offset:3392
	v_mfma_f32_16x16x16f16 v[60:63], v[16:17], v[14:15], v[60:63]
	s_nop 7
	s_nop 2
	v_cvt_f16_f32_e32 v16, v60
	v_cvt_f16_f32_e32 v17, v61
	v_cvt_f16_f32_e32 v29, v62
	v_cvt_f16_f32_e32 v63, v63
	v_cvt_f32_f16_e32 v60, v16
	v_cvt_f32_f16_e32 v61, v17
	s_waitcnt lgkmcnt(0)
	v_perm_b32 v17, v68, v66, s54
	v_perm_b32 v16, v65, v64, s54
	v_cvt_f32_f16_e32 v62, v29
	v_cvt_f32_f16_e32 v63, v63
	ds_read_u16 v64, v75 offset:6720
	ds_read_u16 v65, v27 offset:6928
	ds_read_u16 v66, v92 offset:416
	ds_read_u16 v68, v25 offset:6720
	v_mfma_f32_16x16x16f16 v[60:63], v[16:17], v[10:11], v[60:63]
	s_nop 7
	s_nop 2
	v_cvt_f16_f32_e32 v16, v60
	v_cvt_f16_f32_e32 v17, v61
	v_cvt_f16_f32_e32 v29, v62
	v_cvt_f16_f32_e32 v63, v63
	v_cvt_f32_f16_e32 v60, v16
	v_cvt_f32_f16_e32 v61, v17
	s_waitcnt lgkmcnt(0)
	v_perm_b32 v17, v68, v66, s54
	v_perm_b32 v16, v65, v64, s54
	v_cvt_f32_f16_e32 v62, v29
	v_cvt_f32_f16_e32 v63, v63
	;; [unrolled: 18-line block ×3, first 2 shown]
	s_nop 1
	v_mfma_f32_16x16x16f16 v[60:63], v[16:17], v[4:5], v[60:63]
	s_nop 7
	s_nop 2
	v_cvt_f16_f32_e32 v16, v60
	v_cvt_f16_f32_e32 v17, v61
	;; [unrolled: 1-line block ×4, first 2 shown]
	v_cvt_f32_f16_sdwa v61, v19 dst_sel:DWORD dst_unused:UNUSED_PAD src0_sel:WORD_1
	v_pack_b32_f16 v16, v16, v17
	v_cvt_f32_f16_e32 v62, v18
	v_pack_b32_f16 v17, v29, v60
	ds_read_u16 v29, v75 offset:96
	ds_read_u16 v64, v27 offset:304
	;; [unrolled: 1-line block ×4, first 2 shown]
	v_cvt_f32_f16_e32 v60, v19
	v_cvt_f32_f16_sdwa v63, v18 dst_sel:DWORD dst_unused:UNUSED_PAD src0_sel:WORD_1
	s_waitcnt lgkmcnt(2)
	v_perm_b32 v18, v64, v29, s54
	s_waitcnt lgkmcnt(0)
	v_perm_b32 v19, v66, v65, s54
	ds_read_u16 v64, v75 offset:3424
	ds_read_u16 v65, v27 offset:3632
	ds_read_u16 v66, v95 offset:416
	ds_read_u16 v68, v25 offset:3424
	v_mfma_f32_16x16x16f16 v[60:63], v[18:19], v[14:15], v[60:63]
	s_nop 7
	s_nop 2
	v_cvt_f16_f32_e32 v18, v60
	v_cvt_f16_f32_e32 v19, v61
	v_cvt_f16_f32_e32 v29, v62
	v_cvt_f16_f32_e32 v63, v63
	v_cvt_f32_f16_e32 v60, v18
	v_cvt_f32_f16_e32 v61, v19
	s_waitcnt lgkmcnt(0)
	v_perm_b32 v19, v68, v66, s54
	v_perm_b32 v18, v65, v64, s54
	v_cvt_f32_f16_e32 v62, v29
	v_cvt_f32_f16_e32 v63, v63
	ds_read_u16 v64, v75 offset:6752
	ds_read_u16 v65, v27 offset:6960
	ds_read_u16 v66, v96 offset:416
	ds_read_u16 v68, v25 offset:6752
	v_mfma_f32_16x16x16f16 v[60:63], v[18:19], v[10:11], v[60:63]
	s_nop 7
	s_nop 2
	v_cvt_f16_f32_e32 v18, v60
	v_cvt_f16_f32_e32 v19, v61
	v_cvt_f16_f32_e32 v29, v62
	v_cvt_f16_f32_e32 v63, v63
	v_cvt_f32_f16_e32 v60, v18
	v_cvt_f32_f16_e32 v61, v19
	s_waitcnt lgkmcnt(0)
	v_perm_b32 v19, v68, v66, s54
	v_perm_b32 v18, v65, v64, s54
	v_cvt_f32_f16_e32 v62, v29
	v_cvt_f32_f16_e32 v63, v63
	ds_read_u16 v64, v75 offset:10080
	ds_read_u16 v65, v27 offset:10288
	ds_read_u16 v66, v98 offset:416
	ds_read_u16 v68, v25 offset:10080
	v_mfma_f32_16x16x16f16 v[60:63], v[18:19], v[8:9], v[60:63]
	s_nop 7
	s_nop 2
	v_cvt_f16_f32_e32 v18, v60
	v_cvt_f16_f32_e32 v19, v61
	v_cvt_f16_f32_e32 v29, v62
	v_cvt_f16_f32_e32 v63, v63
	v_cvt_f32_f16_e32 v60, v18
	v_cvt_f32_f16_e32 v61, v19
	s_waitcnt lgkmcnt(0)
	v_perm_b32 v19, v68, v66, s54
	v_perm_b32 v18, v65, v64, s54
	v_cvt_f32_f16_e32 v62, v29
	v_cvt_f32_f16_e32 v63, v63
	s_nop 1
	v_mfma_f32_16x16x16f16 v[60:63], v[18:19], v[4:5], v[60:63]
	s_nop 7
	s_nop 2
	v_cvt_f16_f32_e32 v18, v60
	v_cvt_f16_f32_e32 v19, v61
	;; [unrolled: 1-line block ×4, first 2 shown]
	v_cvt_f32_f16_sdwa v61, v21 dst_sel:DWORD dst_unused:UNUSED_PAD src0_sel:WORD_1
	v_pack_b32_f16 v18, v18, v19
	v_cvt_f32_f16_e32 v62, v20
	v_pack_b32_f16 v19, v29, v60
	ds_read_u16 v29, v75 offset:128
	ds_read_u16 v64, v27 offset:336
	ds_read_u16 v65, v100 offset:416
	ds_read_u16 v66, v25 offset:128
	v_cvt_f32_f16_e32 v60, v21
	v_cvt_f32_f16_sdwa v63, v20 dst_sel:DWORD dst_unused:UNUSED_PAD src0_sel:WORD_1
	s_waitcnt lgkmcnt(2)
	v_perm_b32 v20, v64, v29, s54
	s_waitcnt lgkmcnt(0)
	v_perm_b32 v21, v66, v65, s54
	ds_read_u16 v64, v75 offset:3456
	ds_read_u16 v65, v27 offset:3664
	ds_read_u16 v66, v102 offset:416
	ds_read_u16 v68, v25 offset:3456
	v_mfma_f32_16x16x16f16 v[60:63], v[20:21], v[14:15], v[60:63]
	s_nop 7
	s_nop 2
	v_cvt_f16_f32_e32 v20, v60
	v_cvt_f16_f32_e32 v21, v61
	v_cvt_f16_f32_e32 v29, v62
	v_cvt_f16_f32_e32 v63, v63
	v_cvt_f32_f16_e32 v60, v20
	v_cvt_f32_f16_e32 v61, v21
	s_waitcnt lgkmcnt(0)
	v_perm_b32 v21, v68, v66, s54
	v_perm_b32 v20, v65, v64, s54
	v_cvt_f32_f16_e32 v62, v29
	v_cvt_f32_f16_e32 v63, v63
	ds_read_u16 v64, v75 offset:6784
	ds_read_u16 v65, v27 offset:6992
	ds_read_u16 v66, v103 offset:416
	ds_read_u16 v68, v25 offset:6784
	v_mfma_f32_16x16x16f16 v[60:63], v[20:21], v[10:11], v[60:63]
	s_nop 7
	s_nop 2
	v_cvt_f16_f32_e32 v20, v60
	v_cvt_f16_f32_e32 v21, v61
	v_cvt_f16_f32_e32 v29, v62
	v_cvt_f16_f32_e32 v63, v63
	v_cvt_f32_f16_e32 v60, v20
	v_cvt_f32_f16_e32 v61, v21
	s_waitcnt lgkmcnt(0)
	v_perm_b32 v21, v68, v66, s54
	v_perm_b32 v20, v65, v64, s54
	v_cvt_f32_f16_e32 v62, v29
	v_cvt_f32_f16_e32 v63, v63
	;; [unrolled: 18-line block ×3, first 2 shown]
	s_nop 1
	v_mfma_f32_16x16x16f16 v[60:63], v[20:21], v[4:5], v[60:63]
	s_nop 7
	s_nop 2
	v_cvt_f16_f32_e32 v20, v60
	v_cvt_f16_f32_e32 v21, v61
	;; [unrolled: 1-line block ×4, first 2 shown]
	v_cvt_f32_f16_sdwa v61, v24 dst_sel:DWORD dst_unused:UNUSED_PAD src0_sel:WORD_1
	v_pack_b32_f16 v20, v20, v21
	v_cvt_f32_f16_e32 v62, v22
	v_pack_b32_f16 v21, v29, v60
	ds_read_u16 v29, v75 offset:160
	ds_read_u16 v64, v27 offset:368
	;; [unrolled: 1-line block ×4, first 2 shown]
	v_cvt_f32_f16_e32 v60, v24
	v_cvt_f32_f16_sdwa v63, v22 dst_sel:DWORD dst_unused:UNUSED_PAD src0_sel:WORD_1
	s_waitcnt lgkmcnt(2)
	v_perm_b32 v64, v64, v29, s54
	s_waitcnt lgkmcnt(0)
	v_perm_b32 v65, v66, v65, s54
	s_nop 1
	v_mfma_f32_16x16x16f16 v[60:63], v[64:65], v[14:15], v[60:63]
	ds_read_u16 v29, v75 offset:3488
	ds_read_u16 v64, v27 offset:3696
	;; [unrolled: 1-line block ×4, first 2 shown]
	s_nop 6
	v_cvt_f16_f32_e32 v14, v60
	v_cvt_f16_f32_e32 v15, v61
	;; [unrolled: 1-line block ×4, first 2 shown]
	v_cvt_f32_f16_e32 v60, v14
	v_cvt_f32_f16_e32 v61, v15
	s_waitcnt lgkmcnt(0)
	v_perm_b32 v15, v66, v65, s54
	v_perm_b32 v14, v64, v29, s54
	v_cvt_f32_f16_e32 v62, v22
	v_cvt_f32_f16_e32 v63, v24
	ds_read_u16 v22, v75 offset:6816
	ds_read_u16 v24, v27 offset:7024
	;; [unrolled: 1-line block ×4, first 2 shown]
	v_mfma_f32_16x16x16f16 v[60:63], v[14:15], v[10:11], v[60:63]
	s_nop 7
	s_nop 2
	v_cvt_f16_f32_e32 v10, v60
	v_cvt_f16_f32_e32 v11, v61
	;; [unrolled: 1-line block ×4, first 2 shown]
	v_cvt_f32_f16_e32 v60, v10
	v_cvt_f32_f16_e32 v61, v11
	s_waitcnt lgkmcnt(0)
	v_perm_b32 v11, v64, v29, s54
	v_perm_b32 v10, v24, v22, s54
	v_cvt_f32_f16_e32 v62, v14
	v_cvt_f32_f16_e32 v63, v15
	s_nop 1
	v_mfma_f32_16x16x16f16 v[60:63], v[10:11], v[8:9], v[60:63]
	ds_read_u16 v8, v75 offset:10144
	ds_read_u16 v9, v27 offset:10352
	;; [unrolled: 1-line block ×4, first 2 shown]
	s_waitcnt lgkmcnt(0)
	s_barrier
	s_nop 4
	v_cvt_f16_f32_e32 v11, v60
	v_cvt_f16_f32_e32 v14, v61
	;; [unrolled: 1-line block ×4, first 2 shown]
	v_cvt_f32_f16_e32 v60, v11
	v_perm_b32 v11, v24, v10, s54
	v_perm_b32 v10, v9, v8, s54
	v_cvt_f32_f16_e32 v61, v14
	v_cvt_f32_f16_e32 v62, v15
	;; [unrolled: 1-line block ×3, first 2 shown]
	s_nop 1
	v_mfma_f32_16x16x16f16 v[8:11], v[10:11], v[4:5], v[60:63]
	s_nop 7
	s_nop 2
	v_cvt_f16_f32_e32 v4, v8
	v_cvt_f16_f32_e32 v5, v9
	;; [unrolled: 1-line block ×4, first 2 shown]
	v_pack_b32_f16 v4, v4, v5
	v_pack_b32_f16 v5, v8, v9
	s_cbranch_scc0 .LBB14_194
; %bb.192:                              ;   in Loop: Header=BB14_15 Depth=1
	v_lshlrev_b32_e32 v1, 2, v28
	global_load_dword v1, v1, s[70:71]
	v_max_f32_e32 v8, v2, v2
	s_mov_b64 s[2:3], 0
	s_waitcnt vmcnt(0)
	v_max_f32_e32 v9, v1, v1
	v_max_f32_e32 v8, v8, v9
	v_sub_f32_e32 v9, v2, v8
	v_sub_f32_e32 v1, v1, v8
	v_mul_f32_e32 v10, 0x3fb8aa3b, v9
	v_mul_f32_e32 v11, 0x3fb8aa3b, v1
	v_fma_f32 v14, v9, s43, -v10
	v_rndne_f32_e32 v15, v10
	v_fma_f32 v22, v1, s43, -v11
	v_rndne_f32_e32 v23, v11
	v_fmac_f32_e32 v14, 0x32a5705f, v9
	v_sub_f32_e32 v10, v10, v15
	v_fmac_f32_e32 v22, 0x32a5705f, v1
	v_sub_f32_e32 v11, v11, v23
	v_add_f32_e32 v10, v10, v14
	v_cvt_i32_f32_e32 v15, v15
	v_add_f32_e32 v11, v11, v22
	v_exp_f32_e32 v10, v10
	v_cvt_i32_f32_e32 v23, v23
	v_exp_f32_e32 v11, v11
	v_cmp_ngt_f32_e32 vcc, s63, v9
	v_ldexp_f32 v10, v10, v15
	v_cndmask_b32_e32 v10, 0, v10, vcc
	v_ldexp_f32 v11, v11, v23
	v_cmp_ngt_f32_e32 vcc, s63, v1
	v_cndmask_b32_e32 v11, 0, v11, vcc
	v_cmp_nlt_f32_e32 vcc, s10, v9
	v_cndmask_b32_e32 v10, v161, v10, vcc
	v_cmp_le_f32_e32 vcc, s11, v9
	v_cndmask_b32_e32 v10, 0, v10, vcc
	v_cvt_f16_f32_e32 v27, v10
	v_cmp_nlt_f32_e32 vcc, s10, v1
	v_cndmask_b32_e32 v9, v161, v11, vcc
	v_fmac_f32_e32 v9, v3, v10
	v_pk_mul_f16 v10, v27, v6 op_sel_hi:[0,1]
	v_pk_mul_f16 v11, v27, v7 op_sel_hi:[0,1]
	;; [unrolled: 1-line block ×12, first 2 shown]
	s_branch .LBB14_195
.LBB14_193:                             ;   in Loop: Header=BB14_15 Depth=1
                                        ; implicit-def: $vgpr8_vgpr9
                                        ; implicit-def: $vgpr64_vgpr65
                                        ; implicit-def: $vgpr62_vgpr63
                                        ; implicit-def: $vgpr10_vgpr11
                                        ; implicit-def: $vgpr14_vgpr15
                                        ; implicit-def: $vgpr22_vgpr23
                                        ; implicit-def: $vgpr24_vgpr25
	s_branch .LBB14_76
.LBB14_194:                             ;   in Loop: Header=BB14_15 Depth=1
	s_mov_b64 s[2:3], -1
                                        ; implicit-def: $vgpr8_vgpr9
                                        ; implicit-def: $vgpr62_vgpr63
                                        ; implicit-def: $vgpr60_vgpr61
                                        ; implicit-def: $vgpr10_vgpr11
                                        ; implicit-def: $vgpr14_vgpr15
                                        ; implicit-def: $vgpr22_vgpr23
                                        ; implicit-def: $vgpr24_vgpr25
.LBB14_195:                             ;   in Loop: Header=BB14_15 Depth=1
	v_readlane_b32 s51, v217, 36
	s_andn2_b64 vcc, exec, s[2:3]
	s_cbranch_vccnz .LBB14_197
; %bb.196:                              ;   in Loop: Header=BB14_15 Depth=1
	v_pk_mov_b32 v[24:25], v[18:19], v[18:19] op_sel:[0,1]
	v_pk_mov_b32 v[22:23], v[16:17], v[16:17] op_sel:[0,1]
	;; [unrolled: 1-line block ×7, first 2 shown]
.LBB14_197:                             ;   in Loop: Header=BB14_15 Depth=1
	s_mov_b64 s[2:3], exec
	v_readlane_b32 s0, v217, 24
	v_readlane_b32 s1, v217, 25
	s_and_b64 s[0:1], s[2:3], s[0:1]
	s_mov_b64 exec, s[0:1]
	s_cbranch_execz .LBB14_199
; %bb.198:                              ;   in Loop: Header=BB14_15 Depth=1
	ds_write2_b32 v148, v8, v9 offset0:48 offset1:49
.LBB14_199:                             ;   in Loop: Header=BB14_15 Depth=1
	s_or_b64 exec, exec, s[2:3]
	v_mov_b32_e32 v1, 50
	s_waitcnt lgkmcnt(0)
	s_barrier
	ds_write2_b32 v149, v10, v11 offset1:1
	ds_write2_b32 v149, v14, v15 offset0:8 offset1:9
	ds_write2_b32 v149, v22, v23 offset0:16 offset1:17
	;; [unrolled: 1-line block ×5, first 2 shown]
	s_waitcnt lgkmcnt(0)
	s_barrier
	s_and_saveexec_b64 s[2:3], s[92:93]
	s_cbranch_execz .LBB14_201
; %bb.200:                              ;   in Loop: Header=BB14_15 Depth=1
	ds_read_b32 v1, v125 offset:196
	ds_read_b32 v4, v124
	v_mad_u64_u32 v[2:3], s[0:1], v173, s29, v[54:55]
	v_mad_u64_u32 v[2:3], s[0:1], v2, 48, v[46:47]
	v_ashrrev_i32_e32 v3, 31, v2
	v_lshlrev_b64 v[2:3], 3, v[2:3]
	v_add_co_u32_e32 v2, vcc, s60, v2
	v_mov_b32_e32 v5, s61
	v_addc_co_u32_e32 v3, vcc, v5, v3, vcc
	s_waitcnt lgkmcnt(0)
	v_cvt_f32_f16_sdwa v5, v4 dst_sel:DWORD dst_unused:UNUSED_PAD src0_sel:WORD_1
	v_cvt_f32_f16_e32 v4, v4
	v_pk_add_f32 v[4:5], v[4:5], 0 op_sel_hi:[1,0]
	v_div_scale_f32 v6, s[0:1], v1, v1, v5
	v_rcp_f32_e32 v7, v6
	v_fma_f32 v8, -v6, v7, 1.0
	v_fmac_f32_e32 v7, v8, v7
	v_div_scale_f32 v8, vcc, v5, v1, v5
	v_mul_f32_e32 v9, v8, v7
	v_fma_f32 v10, -v6, v9, v8
	v_fmac_f32_e32 v9, v10, v7
	v_fma_f32 v6, -v6, v9, v8
	v_div_fmas_f32 v6, v6, v7, v9
	v_div_fixup_f32 v5, v6, v1, v5
	v_div_scale_f32 v6, s[0:1], v1, v1, v4
	v_rcp_f32_e32 v7, v6
	v_fma_f32 v8, -v6, v7, 1.0
	v_fmac_f32_e32 v7, v8, v7
	v_div_scale_f32 v8, vcc, v4, v1, v4
	v_mul_f32_e32 v9, v8, v7
	v_fma_f32 v10, -v6, v9, v8
	v_fmac_f32_e32 v9, v10, v7
	v_fma_f32 v6, -v6, v9, v8
	v_div_fmas_f32 v6, v6, v7, v9
	v_div_fixup_f32 v4, v6, v1, v4
	v_mov_b32_e32 v1, 0
	global_store_dwordx2 v[2:3], v[4:5], off
.LBB14_201:                             ;   in Loop: Header=BB14_15 Depth=1
	s_or_b64 exec, exec, s[2:3]
	v_cmp_gt_i32_e32 vcc, 50, v1
	s_mov_b64 s[70:71], -1
	s_and_saveexec_b64 s[2:3], vcc
; %bb.202:                              ;   in Loop: Header=BB14_15 Depth=1
	v_cmp_eq_u32_e32 vcc, 0, v1
	s_orn2_b64 s[70:71], vcc, exec
; %bb.203:                              ;   in Loop: Header=BB14_15 Depth=1
	s_or_b64 exec, exec, s[2:3]
	s_and_saveexec_b64 s[2:3], s[70:71]
	s_cbranch_execz .LBB14_236
; %bb.204:                              ;   in Loop: Header=BB14_15 Depth=1
	v_mov_b32_e32 v1, 50
	s_and_saveexec_b64 s[70:71], s[90:91]
	s_cbranch_execz .LBB14_206
; %bb.205:                              ;   in Loop: Header=BB14_15 Depth=1
	ds_read_b32 v1, v125 offset:1860
	ds_read_b32 v4, v124 offset:1664
	v_mad_u64_u32 v[2:3], s[0:1], v172, s29, v[54:55]
	v_mad_u64_u32 v[2:3], s[0:1], v2, 48, v[46:47]
	v_ashrrev_i32_e32 v3, 31, v2
	v_lshlrev_b64 v[2:3], 3, v[2:3]
	v_add_co_u32_e32 v2, vcc, s60, v2
	v_mov_b32_e32 v5, s61
	v_addc_co_u32_e32 v3, vcc, v5, v3, vcc
	s_waitcnt lgkmcnt(0)
	v_cvt_f32_f16_sdwa v5, v4 dst_sel:DWORD dst_unused:UNUSED_PAD src0_sel:WORD_1
	v_cvt_f32_f16_e32 v4, v4
	v_pk_add_f32 v[4:5], v[4:5], 0 op_sel_hi:[1,0]
	v_div_scale_f32 v6, s[0:1], v1, v1, v5
	v_rcp_f32_e32 v7, v6
	v_fma_f32 v8, -v6, v7, 1.0
	v_fmac_f32_e32 v7, v8, v7
	v_div_scale_f32 v8, vcc, v5, v1, v5
	v_mul_f32_e32 v9, v8, v7
	v_fma_f32 v10, -v6, v9, v8
	v_fmac_f32_e32 v9, v10, v7
	v_fma_f32 v6, -v6, v9, v8
	v_div_fmas_f32 v6, v6, v7, v9
	v_div_fixup_f32 v5, v6, v1, v5
	v_div_scale_f32 v6, s[0:1], v1, v1, v4
	v_rcp_f32_e32 v7, v6
	v_fma_f32 v8, -v6, v7, 1.0
	v_fmac_f32_e32 v7, v8, v7
	v_div_scale_f32 v8, vcc, v4, v1, v4
	v_mul_f32_e32 v9, v8, v7
	v_fma_f32 v10, -v6, v9, v8
	v_fmac_f32_e32 v9, v10, v7
	v_fma_f32 v6, -v6, v9, v8
	v_div_fmas_f32 v6, v6, v7, v9
	v_div_fixup_f32 v4, v6, v1, v4
	v_mov_b32_e32 v1, 0
	global_store_dwordx2 v[2:3], v[4:5], off
.LBB14_206:                             ;   in Loop: Header=BB14_15 Depth=1
	s_or_b64 exec, exec, s[70:71]
	v_cmp_gt_i32_e32 vcc, 50, v1
	s_mov_b64 s[70:71], -1
	s_and_saveexec_b64 s[90:91], vcc
; %bb.207:                              ;   in Loop: Header=BB14_15 Depth=1
	v_cmp_eq_u32_e32 vcc, 0, v1
	s_orn2_b64 s[70:71], vcc, exec
; %bb.208:                              ;   in Loop: Header=BB14_15 Depth=1
	s_or_b64 exec, exec, s[90:91]
	s_and_b64 exec, exec, s[70:71]
	s_cbranch_execz .LBB14_236
; %bb.209:                              ;   in Loop: Header=BB14_15 Depth=1
	v_mov_b32_e32 v1, 50
	s_and_saveexec_b64 s[70:71], s[88:89]
	s_cbranch_execz .LBB14_211
; %bb.210:                              ;   in Loop: Header=BB14_15 Depth=1
	ds_read_b32 v1, v127 offset:196
	ds_read_b32 v4, v126
	v_mad_u64_u32 v[2:3], s[0:1], v171, s29, v[54:55]
	v_mad_u64_u32 v[2:3], s[0:1], v2, 48, v[46:47]
	v_ashrrev_i32_e32 v3, 31, v2
	v_lshlrev_b64 v[2:3], 3, v[2:3]
	v_add_co_u32_e32 v2, vcc, s60, v2
	v_mov_b32_e32 v5, s61
	v_addc_co_u32_e32 v3, vcc, v5, v3, vcc
	s_waitcnt lgkmcnt(0)
	v_cvt_f32_f16_sdwa v5, v4 dst_sel:DWORD dst_unused:UNUSED_PAD src0_sel:WORD_1
	v_cvt_f32_f16_e32 v4, v4
	v_pk_add_f32 v[4:5], v[4:5], 0 op_sel_hi:[1,0]
	v_div_scale_f32 v6, s[0:1], v1, v1, v5
	v_rcp_f32_e32 v7, v6
	v_fma_f32 v8, -v6, v7, 1.0
	v_fmac_f32_e32 v7, v8, v7
	v_div_scale_f32 v8, vcc, v5, v1, v5
	v_mul_f32_e32 v9, v8, v7
	v_fma_f32 v10, -v6, v9, v8
	v_fmac_f32_e32 v9, v10, v7
	v_fma_f32 v6, -v6, v9, v8
	v_div_fmas_f32 v6, v6, v7, v9
	v_div_fixup_f32 v5, v6, v1, v5
	v_div_scale_f32 v6, s[0:1], v1, v1, v4
	v_rcp_f32_e32 v7, v6
	v_fma_f32 v8, -v6, v7, 1.0
	v_fmac_f32_e32 v7, v8, v7
	v_div_scale_f32 v8, vcc, v4, v1, v4
	v_mul_f32_e32 v9, v8, v7
	v_fma_f32 v10, -v6, v9, v8
	v_fmac_f32_e32 v9, v10, v7
	v_fma_f32 v6, -v6, v9, v8
	v_div_fmas_f32 v6, v6, v7, v9
	v_div_fixup_f32 v4, v6, v1, v4
	v_mov_b32_e32 v1, 0
	global_store_dwordx2 v[2:3], v[4:5], off
.LBB14_211:                             ;   in Loop: Header=BB14_15 Depth=1
	s_or_b64 exec, exec, s[70:71]
	v_cmp_gt_i32_e32 vcc, 50, v1
	s_mov_b64 s[70:71], -1
	s_and_saveexec_b64 s[88:89], vcc
; %bb.212:                              ;   in Loop: Header=BB14_15 Depth=1
	v_cmp_eq_u32_e32 vcc, 0, v1
	s_orn2_b64 s[70:71], vcc, exec
; %bb.213:                              ;   in Loop: Header=BB14_15 Depth=1
	s_or_b64 exec, exec, s[88:89]
	s_and_b64 exec, exec, s[70:71]
	s_cbranch_execz .LBB14_236
; %bb.214:                              ;   in Loop: Header=BB14_15 Depth=1
	v_mov_b32_e32 v1, 50
	s_and_saveexec_b64 s[70:71], s[86:87]
	s_cbranch_execz .LBB14_216
; %bb.215:                              ;   in Loop: Header=BB14_15 Depth=1
	ds_read_b32 v1, v125 offset:5188
	ds_read_b32 v4, v124 offset:4992
	v_mad_u64_u32 v[2:3], s[0:1], v170, s29, v[54:55]
	v_mad_u64_u32 v[2:3], s[0:1], v2, 48, v[46:47]
	v_ashrrev_i32_e32 v3, 31, v2
	v_lshlrev_b64 v[2:3], 3, v[2:3]
	v_add_co_u32_e32 v2, vcc, s60, v2
	v_mov_b32_e32 v5, s61
	v_addc_co_u32_e32 v3, vcc, v5, v3, vcc
	s_waitcnt lgkmcnt(0)
	v_cvt_f32_f16_sdwa v5, v4 dst_sel:DWORD dst_unused:UNUSED_PAD src0_sel:WORD_1
	v_cvt_f32_f16_e32 v4, v4
	v_pk_add_f32 v[4:5], v[4:5], 0 op_sel_hi:[1,0]
	v_div_scale_f32 v6, s[0:1], v1, v1, v5
	v_rcp_f32_e32 v7, v6
	v_fma_f32 v8, -v6, v7, 1.0
	v_fmac_f32_e32 v7, v8, v7
	v_div_scale_f32 v8, vcc, v5, v1, v5
	v_mul_f32_e32 v9, v8, v7
	v_fma_f32 v10, -v6, v9, v8
	v_fmac_f32_e32 v9, v10, v7
	v_fma_f32 v6, -v6, v9, v8
	v_div_fmas_f32 v6, v6, v7, v9
	v_div_fixup_f32 v5, v6, v1, v5
	v_div_scale_f32 v6, s[0:1], v1, v1, v4
	v_rcp_f32_e32 v7, v6
	v_fma_f32 v8, -v6, v7, 1.0
	v_fmac_f32_e32 v7, v8, v7
	v_div_scale_f32 v8, vcc, v4, v1, v4
	v_mul_f32_e32 v9, v8, v7
	v_fma_f32 v10, -v6, v9, v8
	v_fmac_f32_e32 v9, v10, v7
	v_fma_f32 v6, -v6, v9, v8
	v_div_fmas_f32 v6, v6, v7, v9
	v_div_fixup_f32 v4, v6, v1, v4
	v_mov_b32_e32 v1, 0
	global_store_dwordx2 v[2:3], v[4:5], off
.LBB14_216:                             ;   in Loop: Header=BB14_15 Depth=1
	s_or_b64 exec, exec, s[70:71]
	v_cmp_gt_i32_e32 vcc, 50, v1
	s_mov_b64 s[70:71], -1
	s_and_saveexec_b64 s[86:87], vcc
; %bb.217:                              ;   in Loop: Header=BB14_15 Depth=1
	v_cmp_eq_u32_e32 vcc, 0, v1
	s_orn2_b64 s[70:71], vcc, exec
; %bb.218:                              ;   in Loop: Header=BB14_15 Depth=1
	s_or_b64 exec, exec, s[86:87]
	s_and_b64 exec, exec, s[70:71]
	s_cbranch_execz .LBB14_236
; %bb.219:                              ;   in Loop: Header=BB14_15 Depth=1
	v_mov_b32_e32 v1, 50
	s_and_saveexec_b64 s[70:71], s[84:85]
	s_cbranch_execz .LBB14_221
; %bb.220:                              ;   in Loop: Header=BB14_15 Depth=1
	ds_read_b32 v1, v129 offset:196
	ds_read_b32 v4, v128
	v_mad_u64_u32 v[2:3], s[0:1], v169, s29, v[54:55]
	v_mad_u64_u32 v[2:3], s[0:1], v2, 48, v[46:47]
	v_ashrrev_i32_e32 v3, 31, v2
	v_lshlrev_b64 v[2:3], 3, v[2:3]
	v_add_co_u32_e32 v2, vcc, s60, v2
	v_mov_b32_e32 v5, s61
	v_addc_co_u32_e32 v3, vcc, v5, v3, vcc
	s_waitcnt lgkmcnt(0)
	v_cvt_f32_f16_sdwa v5, v4 dst_sel:DWORD dst_unused:UNUSED_PAD src0_sel:WORD_1
	v_cvt_f32_f16_e32 v4, v4
	v_pk_add_f32 v[4:5], v[4:5], 0 op_sel_hi:[1,0]
	v_div_scale_f32 v6, s[0:1], v1, v1, v5
	v_rcp_f32_e32 v7, v6
	v_fma_f32 v8, -v6, v7, 1.0
	v_fmac_f32_e32 v7, v8, v7
	v_div_scale_f32 v8, vcc, v5, v1, v5
	v_mul_f32_e32 v9, v8, v7
	v_fma_f32 v10, -v6, v9, v8
	v_fmac_f32_e32 v9, v10, v7
	v_fma_f32 v6, -v6, v9, v8
	v_div_fmas_f32 v6, v6, v7, v9
	v_div_fixup_f32 v5, v6, v1, v5
	v_div_scale_f32 v6, s[0:1], v1, v1, v4
	v_rcp_f32_e32 v7, v6
	v_fma_f32 v8, -v6, v7, 1.0
	v_fmac_f32_e32 v7, v8, v7
	v_div_scale_f32 v8, vcc, v4, v1, v4
	v_mul_f32_e32 v9, v8, v7
	v_fma_f32 v10, -v6, v9, v8
	v_fmac_f32_e32 v9, v10, v7
	v_fma_f32 v6, -v6, v9, v8
	v_div_fmas_f32 v6, v6, v7, v9
	v_div_fixup_f32 v4, v6, v1, v4
	v_mov_b32_e32 v1, 0
	global_store_dwordx2 v[2:3], v[4:5], off
.LBB14_221:                             ;   in Loop: Header=BB14_15 Depth=1
	s_or_b64 exec, exec, s[70:71]
	v_cmp_gt_i32_e32 vcc, 50, v1
	s_mov_b64 s[70:71], -1
	s_and_saveexec_b64 s[84:85], vcc
; %bb.222:                              ;   in Loop: Header=BB14_15 Depth=1
	v_cmp_eq_u32_e32 vcc, 0, v1
	s_orn2_b64 s[70:71], vcc, exec
; %bb.223:                              ;   in Loop: Header=BB14_15 Depth=1
	s_or_b64 exec, exec, s[84:85]
	s_and_b64 exec, exec, s[70:71]
	s_cbranch_execz .LBB14_236
; %bb.224:                              ;   in Loop: Header=BB14_15 Depth=1
	v_mov_b32_e32 v1, 50
	s_mov_b64 s[70:71], exec
	v_readlane_b32 s0, v217, 37
	v_readlane_b32 s1, v217, 38
	s_and_b64 s[0:1], s[70:71], s[0:1]
	s_mov_b64 exec, s[0:1]
	s_cbranch_execz .LBB14_226
; %bb.225:                              ;   in Loop: Header=BB14_15 Depth=1
	ds_read_b32 v1, v125 offset:8516
	ds_read_b32 v4, v124 offset:8320
	v_mad_u64_u32 v[2:3], s[0:1], v168, s29, v[54:55]
	v_mad_u64_u32 v[2:3], s[0:1], v2, 48, v[46:47]
	v_ashrrev_i32_e32 v3, 31, v2
	v_lshlrev_b64 v[2:3], 3, v[2:3]
	v_add_co_u32_e32 v2, vcc, s60, v2
	v_mov_b32_e32 v5, s61
	v_addc_co_u32_e32 v3, vcc, v5, v3, vcc
	s_waitcnt lgkmcnt(0)
	v_cvt_f32_f16_sdwa v5, v4 dst_sel:DWORD dst_unused:UNUSED_PAD src0_sel:WORD_1
	v_cvt_f32_f16_e32 v4, v4
	v_pk_add_f32 v[4:5], v[4:5], 0 op_sel_hi:[1,0]
	v_div_scale_f32 v6, s[0:1], v1, v1, v5
	v_rcp_f32_e32 v7, v6
	v_fma_f32 v8, -v6, v7, 1.0
	v_fmac_f32_e32 v7, v8, v7
	v_div_scale_f32 v8, vcc, v5, v1, v5
	v_mul_f32_e32 v9, v8, v7
	v_fma_f32 v10, -v6, v9, v8
	v_fmac_f32_e32 v9, v10, v7
	v_fma_f32 v6, -v6, v9, v8
	v_div_fmas_f32 v6, v6, v7, v9
	v_div_fixup_f32 v5, v6, v1, v5
	v_div_scale_f32 v6, s[0:1], v1, v1, v4
	v_rcp_f32_e32 v7, v6
	v_fma_f32 v8, -v6, v7, 1.0
	v_fmac_f32_e32 v7, v8, v7
	v_div_scale_f32 v8, vcc, v4, v1, v4
	v_mul_f32_e32 v9, v8, v7
	v_fma_f32 v10, -v6, v9, v8
	v_fmac_f32_e32 v9, v10, v7
	v_fma_f32 v6, -v6, v9, v8
	v_div_fmas_f32 v6, v6, v7, v9
	v_div_fixup_f32 v4, v6, v1, v4
	v_mov_b32_e32 v1, 0
	global_store_dwordx2 v[2:3], v[4:5], off
.LBB14_226:                             ;   in Loop: Header=BB14_15 Depth=1
	s_or_b64 exec, exec, s[70:71]
	v_cmp_gt_i32_e32 vcc, 50, v1
	s_mov_b64 s[70:71], -1
	s_and_saveexec_b64 s[82:83], vcc
; %bb.227:                              ;   in Loop: Header=BB14_15 Depth=1
	v_cmp_eq_u32_e32 vcc, 0, v1
	s_orn2_b64 s[70:71], vcc, exec
; %bb.228:                              ;   in Loop: Header=BB14_15 Depth=1
	s_or_b64 exec, exec, s[82:83]
	s_and_b64 exec, exec, s[70:71]
	s_cbranch_execz .LBB14_236
; %bb.229:                              ;   in Loop: Header=BB14_15 Depth=1
	v_mov_b32_e32 v1, 50
	s_mov_b64 s[70:71], exec
	v_readlane_b32 s0, v217, 39
	v_readlane_b32 s1, v217, 40
	s_and_b64 s[0:1], s[70:71], s[0:1]
	s_mov_b64 exec, s[0:1]
	s_cbranch_execz .LBB14_231
; %bb.230:                              ;   in Loop: Header=BB14_15 Depth=1
	ds_read_b32 v1, v131 offset:196
	ds_read_b32 v4, v130
	v_mad_u64_u32 v[2:3], s[0:1], v167, s29, v[54:55]
	v_mad_u64_u32 v[2:3], s[0:1], v2, 48, v[46:47]
	v_ashrrev_i32_e32 v3, 31, v2
	v_lshlrev_b64 v[2:3], 3, v[2:3]
	v_add_co_u32_e32 v2, vcc, s60, v2
	v_mov_b32_e32 v5, s61
	v_addc_co_u32_e32 v3, vcc, v5, v3, vcc
	s_waitcnt lgkmcnt(0)
	v_cvt_f32_f16_sdwa v5, v4 dst_sel:DWORD dst_unused:UNUSED_PAD src0_sel:WORD_1
	v_cvt_f32_f16_e32 v4, v4
	v_pk_add_f32 v[4:5], v[4:5], 0 op_sel_hi:[1,0]
	v_div_scale_f32 v6, s[0:1], v1, v1, v5
	v_rcp_f32_e32 v7, v6
	v_fma_f32 v8, -v6, v7, 1.0
	v_fmac_f32_e32 v7, v8, v7
	v_div_scale_f32 v8, vcc, v5, v1, v5
	v_mul_f32_e32 v9, v8, v7
	v_fma_f32 v10, -v6, v9, v8
	v_fmac_f32_e32 v9, v10, v7
	v_fma_f32 v6, -v6, v9, v8
	v_div_fmas_f32 v6, v6, v7, v9
	v_div_fixup_f32 v5, v6, v1, v5
	v_div_scale_f32 v6, s[0:1], v1, v1, v4
	v_rcp_f32_e32 v7, v6
	v_fma_f32 v8, -v6, v7, 1.0
	v_fmac_f32_e32 v7, v8, v7
	v_div_scale_f32 v8, vcc, v4, v1, v4
	v_mul_f32_e32 v9, v8, v7
	v_fma_f32 v10, -v6, v9, v8
	v_fmac_f32_e32 v9, v10, v7
	v_fma_f32 v6, -v6, v9, v8
	v_div_fmas_f32 v6, v6, v7, v9
	v_div_fixup_f32 v4, v6, v1, v4
	v_mov_b32_e32 v1, 0
	global_store_dwordx2 v[2:3], v[4:5], off
.LBB14_231:                             ;   in Loop: Header=BB14_15 Depth=1
	s_or_b64 exec, exec, s[70:71]
	v_cmp_gt_i32_e32 vcc, 50, v1
	s_mov_b64 s[70:71], -1
	s_and_saveexec_b64 s[80:81], vcc
; %bb.232:                              ;   in Loop: Header=BB14_15 Depth=1
	v_cmp_eq_u32_e32 vcc, 0, v1
	s_orn2_b64 s[70:71], vcc, exec
; %bb.233:                              ;   in Loop: Header=BB14_15 Depth=1
	s_or_b64 exec, exec, s[80:81]
	s_and_b64 exec, exec, s[70:71]
	s_cbranch_execz .LBB14_236
; %bb.234:                              ;   in Loop: Header=BB14_15 Depth=1
	v_readlane_b32 s0, v217, 41
	v_readlane_b32 s1, v217, 42
	s_and_b64 exec, exec, s[0:1]
	s_cbranch_execz .LBB14_236
; %bb.235:                              ;   in Loop: Header=BB14_15 Depth=1
	ds_read_b32 v1, v125 offset:11844
	ds_read_b32 v4, v124 offset:11648
	v_mad_u64_u32 v[2:3], s[0:1], v166, s29, v[54:55]
	v_mad_u64_u32 v[2:3], s[0:1], v2, 48, v[46:47]
	s_waitcnt lgkmcnt(0)
	v_cvt_f32_f16_sdwa v5, v4 dst_sel:DWORD dst_unused:UNUSED_PAD src0_sel:WORD_1
	v_cvt_f32_f16_e32 v4, v4
	v_ashrrev_i32_e32 v3, 31, v2
	v_lshlrev_b64 v[2:3], 3, v[2:3]
	v_mov_b32_e32 v6, s61
	v_pk_add_f32 v[4:5], v[4:5], 0 op_sel_hi:[1,0]
	v_div_scale_f32 v7, s[0:1], v1, v1, v5
	v_rcp_f32_e32 v8, v7
	v_add_co_u32_e32 v2, vcc, s60, v2
	v_addc_co_u32_e32 v3, vcc, v6, v3, vcc
	v_fma_f32 v6, -v7, v8, 1.0
	v_fmac_f32_e32 v8, v6, v8
	v_div_scale_f32 v6, vcc, v5, v1, v5
	v_mul_f32_e32 v9, v6, v8
	v_fma_f32 v10, -v7, v9, v6
	v_fmac_f32_e32 v9, v10, v8
	v_fma_f32 v6, -v7, v9, v6
	v_div_scale_f32 v7, s[0:1], v1, v1, v4
	v_rcp_f32_e32 v10, v7
	v_div_fmas_f32 v6, v6, v8, v9
	v_div_fixup_f32 v5, v6, v1, v5
	v_fma_f32 v6, -v7, v10, 1.0
	v_fmac_f32_e32 v10, v6, v10
	v_div_scale_f32 v6, vcc, v4, v1, v4
	v_mul_f32_e32 v8, v6, v10
	v_fma_f32 v9, -v7, v8, v6
	v_fmac_f32_e32 v8, v9, v10
	v_fma_f32 v6, -v7, v8, v6
	v_div_fmas_f32 v6, v6, v10, v8
	v_div_fixup_f32 v4, v6, v1, v4
	global_store_dwordx2 v[2:3], v[4:5], off
.LBB14_236:                             ;   in Loop: Header=BB14_15 Depth=1
	s_or_b64 exec, exec, s[2:3]
	v_mov_b32_e32 v1, 50
	s_and_saveexec_b64 s[2:3], s[76:77]
	s_cbranch_execz .LBB14_238
; %bb.237:                              ;   in Loop: Header=BB14_15 Depth=1
	ds_read_b32 v1, v132 offset:196
	ds_read_b32 v4, v115 offset:128
	v_mad_u64_u32 v[2:3], s[0:1], v165, s29, v[48:49]
	v_mul_lo_u32 v2, v2, 48
	v_ashrrev_i32_e32 v3, 31, v2
	s_waitcnt lgkmcnt(0)
	v_cvt_f32_f16_sdwa v5, v4 dst_sel:DWORD dst_unused:UNUSED_PAD src0_sel:WORD_1
	v_cvt_f32_f16_e32 v4, v4
	v_or_b32_e32 v3, 0, v3
	v_or_b32_e32 v2, v2, v26
	v_lshlrev_b64 v[2:3], 3, v[2:3]
	v_pk_add_f32 v[4:5], v[4:5], 0 op_sel_hi:[1,0]
	v_div_scale_f32 v7, s[0:1], v1, v1, v5
	v_rcp_f32_e32 v8, v7
	v_mov_b32_e32 v6, s61
	v_add_co_u32_e32 v2, vcc, s60, v2
	v_addc_co_u32_e32 v3, vcc, v6, v3, vcc
	v_fma_f32 v6, -v7, v8, 1.0
	v_fmac_f32_e32 v8, v6, v8
	v_div_scale_f32 v6, vcc, v5, v1, v5
	v_mul_f32_e32 v9, v6, v8
	v_fma_f32 v10, -v7, v9, v6
	v_fmac_f32_e32 v9, v10, v8
	v_fma_f32 v6, -v7, v9, v6
	v_div_scale_f32 v7, s[0:1], v1, v1, v4
	v_rcp_f32_e32 v10, v7
	v_div_fmas_f32 v6, v6, v8, v9
	v_div_fixup_f32 v5, v6, v1, v5
	v_fma_f32 v6, -v7, v10, 1.0
	v_fmac_f32_e32 v10, v6, v10
	v_div_scale_f32 v6, vcc, v4, v1, v4
	v_mul_f32_e32 v8, v6, v10
	v_fma_f32 v9, -v7, v8, v6
	v_fmac_f32_e32 v8, v9, v10
	v_fma_f32 v6, -v7, v8, v6
	v_div_fmas_f32 v6, v6, v10, v8
	v_div_fixup_f32 v4, v6, v1, v4
	v_mov_b32_e32 v1, 0
	global_store_dwordx2 v[2:3], v[4:5], off offset:256
.LBB14_238:                             ;   in Loop: Header=BB14_15 Depth=1
	s_or_b64 exec, exec, s[2:3]
	v_cmp_gt_i32_e32 vcc, 50, v1
	s_mov_b64 s[70:71], -1
	s_and_saveexec_b64 s[2:3], vcc
; %bb.239:                              ;   in Loop: Header=BB14_15 Depth=1
	v_cmp_eq_u32_e32 vcc, 0, v1
	s_orn2_b64 s[70:71], vcc, exec
; %bb.240:                              ;   in Loop: Header=BB14_15 Depth=1
	s_or_b64 exec, exec, s[2:3]
                                        ; implicit-def: $vgpr2_vgpr3
	s_and_saveexec_b64 s[2:3], s[70:71]
	s_cbranch_execz .LBB14_256
; %bb.241:                              ;   in Loop: Header=BB14_15 Depth=1
	v_mov_b32_e32 v1, 50
	s_and_saveexec_b64 s[70:71], s[74:75]
	s_cbranch_execz .LBB14_243
; %bb.242:                              ;   in Loop: Header=BB14_15 Depth=1
	ds_read_b32 v1, v133 offset:196
	ds_read_b32 v4, v120 offset:128
	v_mad_u64_u32 v[2:3], s[0:1], v164, s29, v[48:49]
	v_mul_lo_u32 v2, v2, 48
	v_ashrrev_i32_e32 v3, 31, v2
	s_waitcnt lgkmcnt(0)
	v_cvt_f32_f16_sdwa v5, v4 dst_sel:DWORD dst_unused:UNUSED_PAD src0_sel:WORD_1
	v_cvt_f32_f16_e32 v4, v4
	v_or_b32_e32 v3, 0, v3
	v_or_b32_e32 v2, v2, v26
	v_lshlrev_b64 v[2:3], 3, v[2:3]
	v_pk_add_f32 v[4:5], v[4:5], 0 op_sel_hi:[1,0]
	v_div_scale_f32 v7, s[0:1], v1, v1, v5
	v_rcp_f32_e32 v8, v7
	v_mov_b32_e32 v6, s61
	v_add_co_u32_e32 v2, vcc, s60, v2
	v_addc_co_u32_e32 v3, vcc, v6, v3, vcc
	v_fma_f32 v6, -v7, v8, 1.0
	v_fmac_f32_e32 v8, v6, v8
	v_div_scale_f32 v6, vcc, v5, v1, v5
	v_mul_f32_e32 v9, v6, v8
	v_fma_f32 v10, -v7, v9, v6
	v_fmac_f32_e32 v9, v10, v8
	v_fma_f32 v6, -v7, v9, v6
	v_div_scale_f32 v7, s[0:1], v1, v1, v4
	v_rcp_f32_e32 v10, v7
	v_div_fmas_f32 v6, v6, v8, v9
	v_div_fixup_f32 v5, v6, v1, v5
	v_fma_f32 v6, -v7, v10, 1.0
	v_fmac_f32_e32 v10, v6, v10
	v_div_scale_f32 v6, vcc, v4, v1, v4
	v_mul_f32_e32 v8, v6, v10
	v_fma_f32 v9, -v7, v8, v6
	v_fmac_f32_e32 v8, v9, v10
	v_fma_f32 v6, -v7, v8, v6
	v_div_fmas_f32 v6, v6, v10, v8
	v_div_fixup_f32 v4, v6, v1, v4
	v_mov_b32_e32 v1, 0
	global_store_dwordx2 v[2:3], v[4:5], off offset:256
.LBB14_243:                             ;   in Loop: Header=BB14_15 Depth=1
	s_or_b64 exec, exec, s[70:71]
	v_cmp_gt_i32_e32 vcc, 50, v1
	s_mov_b64 s[76:77], -1
	s_and_saveexec_b64 s[70:71], vcc
; %bb.244:                              ;   in Loop: Header=BB14_15 Depth=1
	v_cmp_eq_u32_e32 vcc, 0, v1
	s_orn2_b64 s[76:77], vcc, exec
; %bb.245:                              ;   in Loop: Header=BB14_15 Depth=1
	s_or_b64 exec, exec, s[70:71]
	s_mov_b64 s[74:75], s[8:9]
                                        ; implicit-def: $vgpr2_vgpr3
	s_and_saveexec_b64 s[70:71], s[76:77]
	s_cbranch_execz .LBB14_255
; %bb.246:                              ;   in Loop: Header=BB14_15 Depth=1
	v_mov_b32_e32 v1, 50
	s_and_saveexec_b64 s[74:75], s[72:73]
	s_cbranch_execz .LBB14_248
; %bb.247:                              ;   in Loop: Header=BB14_15 Depth=1
	ds_read_b32 v1, v134 offset:196
	ds_read_b32 v4, v121 offset:128
	v_mad_u64_u32 v[2:3], s[0:1], v163, s29, v[48:49]
	v_mul_lo_u32 v2, v2, 48
	v_ashrrev_i32_e32 v3, 31, v2
	s_waitcnt lgkmcnt(0)
	v_cvt_f32_f16_sdwa v5, v4 dst_sel:DWORD dst_unused:UNUSED_PAD src0_sel:WORD_1
	v_cvt_f32_f16_e32 v4, v4
	v_or_b32_e32 v3, 0, v3
	v_or_b32_e32 v2, v2, v26
	v_lshlrev_b64 v[2:3], 3, v[2:3]
	v_pk_add_f32 v[4:5], v[4:5], 0 op_sel_hi:[1,0]
	v_div_scale_f32 v7, s[0:1], v1, v1, v5
	v_rcp_f32_e32 v8, v7
	v_mov_b32_e32 v6, s61
	v_add_co_u32_e32 v2, vcc, s60, v2
	v_addc_co_u32_e32 v3, vcc, v6, v3, vcc
	v_fma_f32 v6, -v7, v8, 1.0
	v_fmac_f32_e32 v8, v6, v8
	v_div_scale_f32 v6, vcc, v5, v1, v5
	v_mul_f32_e32 v9, v6, v8
	v_fma_f32 v10, -v7, v9, v6
	v_fmac_f32_e32 v9, v10, v8
	v_fma_f32 v6, -v7, v9, v6
	v_div_scale_f32 v7, s[0:1], v1, v1, v4
	v_rcp_f32_e32 v10, v7
	v_div_fmas_f32 v6, v6, v8, v9
	v_div_fixup_f32 v5, v6, v1, v5
	v_fma_f32 v6, -v7, v10, 1.0
	v_fmac_f32_e32 v10, v6, v10
	v_div_scale_f32 v6, vcc, v4, v1, v4
	v_mul_f32_e32 v8, v6, v10
	v_fma_f32 v9, -v7, v8, v6
	v_fmac_f32_e32 v8, v9, v10
	v_fma_f32 v6, -v7, v8, v6
	v_div_fmas_f32 v6, v6, v10, v8
	v_div_fixup_f32 v4, v6, v1, v4
	v_mov_b32_e32 v1, 0
	global_store_dwordx2 v[2:3], v[4:5], off offset:256
.LBB14_248:                             ;   in Loop: Header=BB14_15 Depth=1
	s_or_b64 exec, exec, s[74:75]
	v_cmp_gt_i32_e32 vcc, 50, v1
	s_mov_b64 s[76:77], -1
	s_and_saveexec_b64 s[72:73], vcc
; %bb.249:                              ;   in Loop: Header=BB14_15 Depth=1
	v_cmp_eq_u32_e32 vcc, 0, v1
	s_orn2_b64 s[76:77], vcc, exec
; %bb.250:                              ;   in Loop: Header=BB14_15 Depth=1
	s_or_b64 exec, exec, s[72:73]
	s_mov_b64 s[74:75], s[8:9]
                                        ; implicit-def: $vgpr2_vgpr3
	s_and_saveexec_b64 s[72:73], s[76:77]
	s_cbranch_execz .LBB14_254
; %bb.251:                              ;   in Loop: Header=BB14_15 Depth=1
	s_mov_b64 s[76:77], s[8:9]
                                        ; implicit-def: $vgpr2_vgpr3
	s_and_saveexec_b64 s[74:75], s[4:5]
	s_cbranch_execz .LBB14_253
; %bb.252:                              ;   in Loop: Header=BB14_15 Depth=1
	ds_read_b32 v1, v122 offset:128
	s_or_b64 s[76:77], s[8:9], exec
	s_waitcnt lgkmcnt(0)
	v_cvt_f32_f16_sdwa v3, v1 dst_sel:DWORD dst_unused:UNUSED_PAD src0_sel:WORD_1
	v_cvt_f32_f16_e32 v2, v1
	ds_read_b32 v1, v135 offset:196
	v_pk_add_f32 v[2:3], v[2:3], 0 op_sel_hi:[1,0]
	s_waitcnt lgkmcnt(0)
	v_div_scale_f32 v4, s[0:1], v1, v1, v3
	v_rcp_f32_e32 v6, v4
	v_div_scale_f32 v5, s[0:1], v1, v1, v2
	v_div_scale_f32 v8, vcc, v3, v1, v3
	v_fma_f32 v9, -v4, v6, 1.0
	v_fmac_f32_e32 v6, v9, v6
	v_rcp_f32_e32 v7, v5
	v_mul_f32_e32 v9, v8, v6
	v_fma_f32 v11, -v4, v9, v8
	v_fmac_f32_e32 v9, v11, v6
	v_fma_f32 v4, -v4, v9, v8
	v_fma_f32 v10, -v5, v7, 1.0
	v_div_fmas_f32 v4, v4, v6, v9
	v_div_fixup_f32 v3, v4, v1, v3
	v_fmac_f32_e32 v7, v10, v7
	v_div_scale_f32 v4, vcc, v2, v1, v2
	v_mul_f32_e32 v6, v4, v7
	v_fma_f32 v8, -v5, v6, v4
	v_fmac_f32_e32 v6, v8, v7
	v_fma_f32 v4, -v5, v6, v4
	v_div_fmas_f32 v4, v4, v7, v6
	v_div_fixup_f32 v2, v4, v1, v2
.LBB14_253:                             ;   in Loop: Header=BB14_15 Depth=1
	s_or_b64 exec, exec, s[74:75]
	s_andn2_b64 s[0:1], s[8:9], exec
	s_and_b64 s[4:5], s[76:77], exec
	s_or_b64 s[74:75], s[0:1], s[4:5]
.LBB14_254:                             ;   in Loop: Header=BB14_15 Depth=1
	s_or_b64 exec, exec, s[72:73]
	s_andn2_b64 s[0:1], s[8:9], exec
	s_and_b64 s[4:5], s[74:75], exec
	s_or_b64 s[74:75], s[0:1], s[4:5]
.LBB14_255:                             ;   in Loop: Header=BB14_15 Depth=1
	s_or_b64 exec, exec, s[70:71]
	s_andn2_b64 s[0:1], s[8:9], exec
	s_and_b64 s[4:5], s[74:75], exec
	s_or_b64 s[8:9], s[0:1], s[4:5]
.LBB14_256:                             ;   in Loop: Header=BB14_15 Depth=1
	s_or_b64 exec, exec, s[2:3]
	s_and_saveexec_b64 s[2:3], s[8:9]
	s_cbranch_execz .LBB14_14
.LBB14_257:                             ;   in Loop: Header=BB14_15 Depth=1
	v_mad_u64_u32 v[4:5], s[0:1], v57, s29, v[48:49]
	v_mul_lo_u32 v1, v4, 48
	v_ashrrev_i32_e32 v4, 31, v1
	v_or_b32_e32 v5, 0, v4
	v_or_b32_e32 v4, v1, v26
	v_lshlrev_b64 v[4:5], 3, v[4:5]
	v_mov_b32_e32 v1, s61
	v_add_co_u32_e32 v4, vcc, s60, v4
	v_addc_co_u32_e32 v5, vcc, v1, v5, vcc
	global_store_dwordx2 v[4:5], v[2:3], off offset:256
	s_branch .LBB14_14
.LBB14_258:
	v_readlane_b32 s60, v217, 34
	v_readlane_b32 s61, v217, 35
	s_andn2_b64 vcc, exec, s[2:3]
	s_cbranch_vccnz .LBB14_12
.LBB14_259:
	v_readlane_b32 s7, v217, 3
	s_abs_i32 s1, s7
	v_cvt_f32_u32_e32 v1, s1
	s_sub_i32 s4, 0, s1
	s_abs_i32 s3, s52
	s_xor_b32 s2, s52, s7
	v_rcp_iflag_f32_e32 v1, v1
	s_ashr_i32 s2, s2, 31
	v_readlane_b32 s9, v217, 2
	v_readlane_b32 s10, v217, 1
	v_mul_f32_e32 v1, 0x4f7ffffe, v1
	v_cvt_u32_f32_e32 v1, v1
	v_mov_b32_e32 v12, s0
	v_readfirstlane_b32 s5, v1
	s_mul_i32 s4, s4, s5
	s_mul_hi_u32 s4, s5, s4
	s_add_i32 s5, s5, s4
	s_mul_hi_u32 s4, s3, s5
	s_mul_i32 s5, s4, s1
	s_sub_i32 s3, s3, s5
	s_add_i32 s6, s4, 1
	s_sub_i32 s5, s3, s1
	s_cmp_ge_u32 s3, s1
	s_cselect_b32 s4, s6, s4
	s_cselect_b32 s3, s5, s3
	s_add_i32 s5, s4, 1
	s_cmp_ge_u32 s3, s1
	s_cselect_b32 s1, s5, s4
	s_abs_i32 s3, s9
	v_cvt_f32_u32_e32 v1, s3
	s_xor_b32 s1, s1, s2
	s_sub_i32 s4, s1, s2
	s_sub_i32 s5, 0, s3
	v_rcp_iflag_f32_e32 v1, v1
	s_mul_i32 s1, s4, s7
	s_sub_i32 s1, s52, s1
	s_abs_i32 s6, s1
	v_mul_f32_e32 v1, 0x4f7ffffe, v1
	v_cvt_u32_f32_e32 v1, v1
	s_xor_b32 s2, s1, s9
	s_ashr_i32 s2, s2, 31
	v_readfirstlane_b32 s7, v1
	s_mul_i32 s5, s5, s7
	s_mul_hi_u32 s5, s7, s5
	s_add_i32 s7, s7, s5
	s_mul_hi_u32 s5, s6, s7
	s_mul_i32 s7, s5, s3
	s_sub_i32 s6, s6, s7
	s_add_i32 s8, s5, 1
	s_sub_i32 s7, s6, s3
	s_cmp_ge_u32 s6, s3
	s_cselect_b32 s5, s8, s5
	s_cselect_b32 s6, s7, s6
	s_add_i32 s7, s5, 1
	s_cmp_ge_u32 s6, s3
	s_cselect_b32 s3, s7, s5
	s_abs_i32 s6, s10
	v_cvt_f32_u32_e32 v1, s6
	s_xor_b32 s3, s3, s2
	s_sub_i32 s7, 0, s6
	s_sub_i32 s5, s3, s2
	v_rcp_iflag_f32_e32 v1, v1
	s_mul_i32 s2, s5, s9
	s_sub_i32 s2, s1, s2
	s_abs_i32 s3, s2
	v_mul_f32_e32 v1, 0x4f7ffffe, v1
	v_cvt_u32_f32_e32 v1, v1
	s_xor_b32 s1, s2, s10
	s_ashr_i32 s1, s1, 31
	v_readfirstlane_b32 s8, v1
	s_mul_i32 s7, s7, s8
	s_mul_hi_u32 s7, s8, s7
	s_add_i32 s8, s8, s7
	s_mul_hi_u32 s7, s3, s8
	s_mul_i32 s8, s7, s6
	s_sub_i32 s3, s3, s8
	s_add_i32 s9, s7, 1
	s_sub_i32 s8, s3, s6
	s_cmp_ge_u32 s3, s6
	s_cselect_b32 s7, s9, s7
	s_cselect_b32 s3, s8, s3
	s_add_i32 s8, s7, 1
	s_cmp_ge_u32 s3, s6
	s_cselect_b32 s3, s8, s7
	s_xor_b32 s3, s3, s1
	s_sub_i32 s1, s3, s1
	s_mul_i32 s3, s1, s10
	s_sub_i32 s2, s2, s3
	s_ashr_i32 s3, s2, 31
	v_readlane_b32 s6, v217, 18
	s_abs_i32 s2, s2
	s_xor_b32 s3, s3, s6
	s_mul_hi_u32 s6, s2, s51
	s_mul_i32 s7, s6, s57
	s_sub_i32 s2, s2, s7
	s_add_i32 s7, s6, 1
	s_sub_i32 s8, s2, s57
	s_cmp_ge_u32 s2, s57
	s_cselect_b32 s6, s7, s6
	s_cselect_b32 s2, s8, s2
	s_add_i32 s7, s6, 1
	s_cmp_ge_u32 s2, s57
	s_cselect_b32 s2, s7, s6
	s_abs_i32 s6, s60
	v_cvt_f32_u32_e32 v1, s6
	s_xor_b32 s2, s2, s3
	s_sub_i32 s2, s2, s3
	s_cmp_eq_u64 s[22:23], 0
	v_rcp_iflag_f32_e32 v1, v1
	v_mul_f32_e32 v1, 0x4f7ffffe, v1
	v_cvt_u32_f32_e32 v1, v1
	v_readfirstlane_b32 s9, v1
	s_cbranch_scc1 .LBB14_261
; %bb.260:
	v_readlane_b32 s3, v217, 0
	s_mul_i32 s3, s4, s3
	s_add_i32 s10, s2, s3
	s_ashr_i32 s11, s10, 31
	s_lshl_b64 s[10:11], s[10:11], 2
	s_add_u32 s10, s22, s10
	s_addc_u32 s11, s23, s11
	v_mov_b32_e32 v1, 0
	global_load_dword v1, v1, s[10:11]
	s_waitcnt vmcnt(0)
	v_ashrrev_i32_e32 v2, 31, v1
	v_lshrrev_b32_e32 v2, 26, v2
	v_add_u32_e32 v1, v1, v2
	v_ashrrev_i32_e32 v1, 6, v1
	v_min_i32_e32 v12, s0, v1
.LBB14_261:
	v_readlane_b32 s20, v217, 6
	v_readlane_b32 s21, v217, 7
	s_mul_i32 s0, s5, s33
	s_lshl_b32 s10, s1, 2
	s_mul_i32 s1, s4, s21
	s_add_i32 s0, s10, s0
	s_ashr_i32 s3, s1, 31
	v_and_b32_e32 v50, 0x3ff, v0
	s_add_u32 s1, s12, s1
	s_mul_i32 s0, s0, s20
	v_lshrrev_b32_e32 v0, 5, v50
	s_addc_u32 s3, s13, s3
	s_ashr_i32 s8, s0, 31
	v_lshl_add_u32 v46, v37, 1, v0
	s_add_u32 s7, s1, s0
	v_and_b32_e32 v0, 3, v46
	s_addc_u32 s8, s3, s8
	s_lshl_b32 s12, s2, 4
	v_lshrrev_b32_e32 v1, 2, v46
	v_or_b32_e32 v2, s10, v0
	v_add_u32_e32 v1, s12, v1
	v_cmp_gt_i32_e64 s[0:1], s33, v2
	v_and_b32_e32 v43, 31, v50
	v_cmp_le_i32_e32 vcc, s28, v1
	s_xor_b64 s[0:1], s[0:1], -1
	s_or_b64 s[2:3], vcc, s[0:1]
	v_mad_u32_u24 v42, v46, 52, v43
	s_and_saveexec_b64 s[20:21], s[2:3]
	v_readlane_b32 s24, v217, 9
	s_xor_b64 s[2:3], exec, s[20:21]
	v_readlane_b32 s25, v217, 10
	s_cbranch_execz .LBB14_263
; %bb.262:
	v_lshl_add_u32 v1, v42, 2, 0
	v_mov_b32_e32 v2, 0
	ds_write_b32 v1, v2
                                        ; implicit-def: $vgpr1
.LBB14_263:
	s_or_saveexec_b64 s[2:3], s[2:3]
	v_readlane_b32 s13, v217, 19
	s_xor_b64 exec, exec, s[2:3]
	s_cbranch_execz .LBB14_265
; %bb.264:
	v_mul_lo_u32 v1, v1, s53
	v_mul_lo_u32 v2, v0, s13
	v_add3_u32 v2, v2, v43, v1
	v_ashrrev_i32_e32 v3, 31, v2
	v_lshlrev_b64 v[2:3], 3, v[2:3]
	v_mov_b32_e32 v1, s8
	v_add_co_u32_e32 v2, vcc, s7, v2
	v_addc_co_u32_e32 v3, vcc, v1, v3, vcc
	global_load_dwordx2 v[2:3], v[2:3], off
	s_waitcnt vmcnt(0)
	v_cvt_f16_f32_e32 v1, v2
	v_cvt_f16_f32_e32 v2, v3
	v_pack_b32_f16 v1, v1, v2
	v_pk_mul_f16 v1, v47, v1
	v_lshl_add_u32 v2, v42, 2, 0
	ds_write_b32 v2, v1
.LBB14_265:
	s_or_b64 exec, exec, s[2:3]
	v_add_u32_e32 v44, 8, v46
	v_lshrrev_b32_e32 v1, 2, v44
	v_add_u32_e32 v1, s12, v1
	v_cmp_le_i32_e32 vcc, s28, v1
	s_or_b64 s[2:3], vcc, s[0:1]
	s_and_saveexec_b64 s[20:21], s[2:3]
	s_xor_b64 s[2:3], exec, s[20:21]
	s_cbranch_execz .LBB14_267
; %bb.266:
	v_mad_u32_u24 v1, v44, 52, v43
	v_lshl_add_u32 v1, v1, 2, 0
	v_mov_b32_e32 v2, 0
	ds_write_b32 v1, v2
                                        ; implicit-def: $vgpr1
.LBB14_267:
	s_andn2_saveexec_b64 s[2:3], s[2:3]
	s_cbranch_execz .LBB14_269
; %bb.268:
	v_mul_lo_u32 v1, v1, s53
	v_mul_lo_u32 v2, v0, s13
	v_add3_u32 v2, v2, v43, v1
	v_ashrrev_i32_e32 v3, 31, v2
	v_lshlrev_b64 v[2:3], 3, v[2:3]
	v_mov_b32_e32 v1, s8
	v_add_co_u32_e32 v2, vcc, s7, v2
	v_addc_co_u32_e32 v3, vcc, v1, v3, vcc
	global_load_dwordx2 v[2:3], v[2:3], off
	s_waitcnt vmcnt(0)
	v_cvt_f16_f32_e32 v1, v2
	v_cvt_f16_f32_e32 v2, v3
	v_mad_u32_u24 v3, v44, 52, v43
	v_pack_b32_f16 v1, v1, v2
	v_pk_mul_f16 v1, v47, v1
	v_lshl_add_u32 v2, v3, 2, 0
	ds_write_b32 v2, v1
.LBB14_269:
	s_or_b64 exec, exec, s[2:3]
	v_add_u32_e32 v49, 16, v46
	v_lshrrev_b32_e32 v1, 2, v49
	v_add_u32_e32 v1, s12, v1
	v_cmp_le_i32_e32 vcc, s28, v1
	s_or_b64 s[2:3], vcc, s[0:1]
	s_and_saveexec_b64 s[20:21], s[2:3]
	s_xor_b64 s[2:3], exec, s[20:21]
	s_cbranch_execz .LBB14_271
; %bb.270:
	v_mad_u32_u24 v1, v49, 52, v43
	v_lshl_add_u32 v1, v1, 2, 0
	v_mov_b32_e32 v2, 0
	ds_write_b32 v1, v2
                                        ; implicit-def: $vgpr1
.LBB14_271:
	s_andn2_saveexec_b64 s[2:3], s[2:3]
	s_cbranch_execz .LBB14_273
; %bb.272:
	v_mul_lo_u32 v1, v1, s53
	v_mul_lo_u32 v2, v0, s13
	v_add3_u32 v2, v2, v43, v1
	v_ashrrev_i32_e32 v3, 31, v2
	v_lshlrev_b64 v[2:3], 3, v[2:3]
	v_mov_b32_e32 v1, s8
	v_add_co_u32_e32 v2, vcc, s7, v2
	v_addc_co_u32_e32 v3, vcc, v1, v3, vcc
	global_load_dwordx2 v[2:3], v[2:3], off
	s_waitcnt vmcnt(0)
	v_cvt_f16_f32_e32 v1, v2
	v_cvt_f16_f32_e32 v2, v3
	v_mad_u32_u24 v3, v49, 52, v43
	v_pack_b32_f16 v1, v1, v2
	v_pk_mul_f16 v1, v47, v1
	v_lshl_add_u32 v2, v3, 2, 0
	ds_write_b32 v2, v1
.LBB14_273:
	s_or_b64 exec, exec, s[2:3]
	v_add_u32_e32 v45, 24, v46
	v_lshrrev_b32_e32 v1, 2, v45
	v_add_u32_e32 v1, s12, v1
	v_cmp_le_i32_e32 vcc, s28, v1
	s_or_b64 s[2:3], vcc, s[0:1]
	s_and_saveexec_b64 s[20:21], s[2:3]
	s_xor_b64 s[2:3], exec, s[20:21]
	s_cbranch_execz .LBB14_275
; %bb.274:
	v_mad_u32_u24 v1, v45, 52, v43
	v_lshl_add_u32 v1, v1, 2, 0
	v_mov_b32_e32 v2, 0
	ds_write_b32 v1, v2
                                        ; implicit-def: $vgpr1
.LBB14_275:
	s_andn2_saveexec_b64 s[2:3], s[2:3]
	s_cbranch_execz .LBB14_277
; %bb.276:
	v_mul_lo_u32 v1, v1, s53
	v_mul_lo_u32 v2, v0, s13
	v_add3_u32 v2, v2, v43, v1
	v_ashrrev_i32_e32 v3, 31, v2
	v_lshlrev_b64 v[2:3], 3, v[2:3]
	v_mov_b32_e32 v1, s8
	v_add_co_u32_e32 v2, vcc, s7, v2
	v_addc_co_u32_e32 v3, vcc, v1, v3, vcc
	global_load_dwordx2 v[2:3], v[2:3], off
	s_waitcnt vmcnt(0)
	v_cvt_f16_f32_e32 v1, v2
	v_cvt_f16_f32_e32 v2, v3
	v_mad_u32_u24 v3, v45, 52, v43
	v_pack_b32_f16 v1, v1, v2
	v_pk_mul_f16 v1, v47, v1
	v_lshl_add_u32 v2, v3, 2, 0
	ds_write_b32 v2, v1
.LBB14_277:
	s_or_b64 exec, exec, s[2:3]
	v_add_u32_e32 v52, 32, v46
	v_lshrrev_b32_e32 v1, 2, v52
	v_add_u32_e32 v1, s12, v1
	v_cmp_le_i32_e32 vcc, s28, v1
	s_or_b64 s[2:3], vcc, s[0:1]
	s_and_saveexec_b64 s[20:21], s[2:3]
	s_xor_b64 s[2:3], exec, s[20:21]
	s_cbranch_execz .LBB14_279
; %bb.278:
	v_mad_u32_u24 v1, v52, 52, v43
	v_lshl_add_u32 v1, v1, 2, 0
	v_mov_b32_e32 v2, 0
	ds_write_b32 v1, v2
                                        ; implicit-def: $vgpr1
.LBB14_279:
	s_andn2_saveexec_b64 s[2:3], s[2:3]
	s_cbranch_execz .LBB14_281
; %bb.280:
	v_mul_lo_u32 v1, v1, s53
	v_mul_lo_u32 v2, v0, s13
	v_add3_u32 v2, v2, v43, v1
	v_ashrrev_i32_e32 v3, 31, v2
	v_lshlrev_b64 v[2:3], 3, v[2:3]
	v_mov_b32_e32 v1, s8
	v_add_co_u32_e32 v2, vcc, s7, v2
	v_addc_co_u32_e32 v3, vcc, v1, v3, vcc
	global_load_dwordx2 v[2:3], v[2:3], off
	s_waitcnt vmcnt(0)
	v_cvt_f16_f32_e32 v1, v2
	v_cvt_f16_f32_e32 v2, v3
	v_mad_u32_u24 v3, v52, 52, v43
	v_pack_b32_f16 v1, v1, v2
	v_pk_mul_f16 v1, v47, v1
	v_lshl_add_u32 v2, v3, 2, 0
	ds_write_b32 v2, v1
.LBB14_281:
	s_or_b64 exec, exec, s[2:3]
	v_add_u32_e32 v48, 40, v46
	v_lshrrev_b32_e32 v1, 2, v48
	v_add_u32_e32 v1, s12, v1
	v_cmp_le_i32_e32 vcc, s28, v1
	s_or_b64 s[2:3], vcc, s[0:1]
	s_and_saveexec_b64 s[20:21], s[2:3]
	s_xor_b64 s[2:3], exec, s[20:21]
	s_cbranch_execz .LBB14_283
; %bb.282:
	v_mad_u32_u24 v1, v48, 52, v43
	v_lshl_add_u32 v1, v1, 2, 0
	v_mov_b32_e32 v2, 0
	ds_write_b32 v1, v2
                                        ; implicit-def: $vgpr1
.LBB14_283:
	s_andn2_saveexec_b64 s[2:3], s[2:3]
	s_cbranch_execz .LBB14_285
; %bb.284:
	v_mul_lo_u32 v1, v1, s53
	v_mul_lo_u32 v2, v0, s13
	v_add3_u32 v2, v2, v43, v1
	v_ashrrev_i32_e32 v3, 31, v2
	v_lshlrev_b64 v[2:3], 3, v[2:3]
	v_mov_b32_e32 v1, s8
	v_add_co_u32_e32 v2, vcc, s7, v2
	v_addc_co_u32_e32 v3, vcc, v1, v3, vcc
	global_load_dwordx2 v[2:3], v[2:3], off
	s_waitcnt vmcnt(0)
	v_cvt_f16_f32_e32 v1, v2
	v_cvt_f16_f32_e32 v2, v3
	v_mad_u32_u24 v3, v48, 52, v43
	v_pack_b32_f16 v1, v1, v2
	v_pk_mul_f16 v1, v47, v1
	v_lshl_add_u32 v2, v3, 2, 0
	ds_write_b32 v2, v1
.LBB14_285:
	s_or_b64 exec, exec, s[2:3]
	v_add_u32_e32 v55, 48, v46
	v_lshrrev_b32_e32 v1, 2, v55
	v_add_u32_e32 v1, s12, v1
	v_cmp_le_i32_e32 vcc, s28, v1
	s_or_b64 s[2:3], vcc, s[0:1]
	s_and_saveexec_b64 s[20:21], s[2:3]
	s_xor_b64 s[2:3], exec, s[20:21]
	s_cbranch_execz .LBB14_287
; %bb.286:
	v_mad_u32_u24 v1, v55, 52, v43
	v_lshl_add_u32 v1, v1, 2, 0
	v_mov_b32_e32 v2, 0
	ds_write_b32 v1, v2
                                        ; implicit-def: $vgpr1
.LBB14_287:
	s_andn2_saveexec_b64 s[2:3], s[2:3]
	s_cbranch_execz .LBB14_289
; %bb.288:
	v_mul_lo_u32 v1, v1, s53
	v_mul_lo_u32 v2, v0, s13
	v_add3_u32 v2, v2, v43, v1
	v_ashrrev_i32_e32 v3, 31, v2
	v_lshlrev_b64 v[2:3], 3, v[2:3]
	v_mov_b32_e32 v1, s8
	v_add_co_u32_e32 v2, vcc, s7, v2
	v_addc_co_u32_e32 v3, vcc, v1, v3, vcc
	global_load_dwordx2 v[2:3], v[2:3], off
	s_waitcnt vmcnt(0)
	v_cvt_f16_f32_e32 v1, v2
	v_cvt_f16_f32_e32 v2, v3
	v_mad_u32_u24 v3, v55, 52, v43
	v_pack_b32_f16 v1, v1, v2
	v_pk_mul_f16 v1, v47, v1
	v_lshl_add_u32 v2, v3, 2, 0
	ds_write_b32 v2, v1
.LBB14_289:
	s_or_b64 exec, exec, s[2:3]
	v_add_u32_e32 v51, 56, v46
	v_lshrrev_b32_e32 v1, 2, v51
	v_add_u32_e32 v1, s12, v1
	v_cmp_le_i32_e32 vcc, s28, v1
	s_or_b64 s[0:1], vcc, s[0:1]
	s_and_saveexec_b64 s[2:3], s[0:1]
	s_xor_b64 s[0:1], exec, s[2:3]
	s_cbranch_execz .LBB14_291
; %bb.290:
	v_mad_u32_u24 v0, v51, 52, v43
	v_lshl_add_u32 v0, v0, 2, 0
	v_mov_b32_e32 v1, 0
	ds_write_b32 v0, v1
                                        ; implicit-def: $vgpr1
                                        ; implicit-def: $vgpr0
.LBB14_291:
	s_andn2_saveexec_b64 s[0:1], s[0:1]
	s_cbranch_execz .LBB14_293
; %bb.292:
	v_mul_lo_u32 v1, v1, s53
	v_mul_lo_u32 v0, v0, s13
	v_add3_u32 v0, v0, v43, v1
	v_ashrrev_i32_e32 v1, 31, v0
	v_lshlrev_b64 v[0:1], 3, v[0:1]
	v_mov_b32_e32 v2, s8
	v_add_co_u32_e32 v0, vcc, s7, v0
	v_addc_co_u32_e32 v1, vcc, v2, v1, vcc
	global_load_dwordx2 v[0:1], v[0:1], off
	v_mad_u32_u24 v2, v51, 52, v43
	s_waitcnt vmcnt(0)
	v_cvt_f16_f32_e32 v0, v0
	v_cvt_f16_f32_e32 v1, v1
	v_pack_b32_f16 v0, v0, v1
	v_pk_mul_f16 v0, v47, v0
	v_lshl_add_u32 v1, v2, 2, 0
	ds_write_b32 v1, v0
.LBB14_293:
	s_or_b64 exec, exec, s[0:1]
	v_lshrrev_b32_e32 v0, 4, v50
	v_lshl_add_u32 v54, v37, 2, v0
	v_bfe_u32 v0, v50, 4, 2
	v_lshrrev_b32_e32 v1, 2, v54
	v_add_u32_e32 v2, s12, v1
	v_or_b32_e32 v1, s10, v0
	v_cmp_gt_i32_e64 s[0:1], s33, v1
	v_and_b32_e32 v53, 15, v50
	v_cmp_le_i32_e32 vcc, s28, v2
	s_xor_b64 s[0:1], s[0:1], -1
	s_or_b64 s[2:3], vcc, s[0:1]
	v_mad_u32_u24 v56, v54, 52, v53
	s_and_saveexec_b64 s[10:11], s[2:3]
	s_xor_b64 s[2:3], exec, s[10:11]
	s_cbranch_execz .LBB14_295
; %bb.294:
	v_lshl_add_u32 v1, v56, 2, 0
	v_mov_b32_e32 v2, 0
	ds_write_b32 v1, v2 offset:128
                                        ; implicit-def: $vgpr2
.LBB14_295:
	s_or_saveexec_b64 s[2:3], s[2:3]
	v_or_b32_e32 v1, 32, v53
	s_xor_b64 exec, exec, s[2:3]
	s_cbranch_execz .LBB14_297
; %bb.296:
	v_mul_lo_u32 v2, v2, s53
	v_mul_lo_u32 v3, v0, s13
	v_add3_u32 v2, v3, v1, v2
	v_ashrrev_i32_e32 v3, 31, v2
	v_lshlrev_b64 v[2:3], 3, v[2:3]
	v_mov_b32_e32 v4, s8
	v_add_co_u32_e32 v2, vcc, s7, v2
	v_addc_co_u32_e32 v3, vcc, v4, v3, vcc
	global_load_dwordx2 v[2:3], v[2:3], off
	s_waitcnt vmcnt(0)
	v_cvt_f16_f32_e32 v2, v2
	v_cvt_f16_f32_e32 v3, v3
	v_pack_b32_f16 v2, v2, v3
	v_pk_mul_f16 v2, v47, v2
	v_lshl_add_u32 v3, v56, 2, 0
	ds_write_b32 v3, v2 offset:128
.LBB14_297:
	s_or_b64 exec, exec, s[2:3]
	v_add_u32_e32 v57, 16, v54
	v_lshrrev_b32_e32 v2, 2, v57
	v_add_u32_e32 v2, s12, v2
	v_cmp_le_i32_e32 vcc, s28, v2
	s_sub_i32 s10, 0, s6
	s_or_b64 s[2:3], vcc, s[0:1]
	s_and_saveexec_b64 s[20:21], s[2:3]
	s_xor_b64 s[2:3], exec, s[20:21]
	s_cbranch_execz .LBB14_299
; %bb.298:
	v_mad_u32_u24 v2, v57, 52, v53
	v_lshl_add_u32 v2, v2, 2, 0
	v_mov_b32_e32 v3, 0
	ds_write_b32 v2, v3 offset:128
                                        ; implicit-def: $vgpr2
.LBB14_299:
	s_or_saveexec_b64 s[2:3], s[2:3]
	s_mul_i32 s10, s10, s9
	s_xor_b64 exec, exec, s[2:3]
	s_cbranch_execz .LBB14_301
; %bb.300:
	v_mul_lo_u32 v2, v2, s53
	v_mul_lo_u32 v3, v0, s13
	v_add3_u32 v2, v3, v1, v2
	v_ashrrev_i32_e32 v3, 31, v2
	v_lshlrev_b64 v[2:3], 3, v[2:3]
	v_mov_b32_e32 v4, s8
	v_add_co_u32_e32 v2, vcc, s7, v2
	v_addc_co_u32_e32 v3, vcc, v4, v3, vcc
	global_load_dwordx2 v[2:3], v[2:3], off
	v_mad_u32_u24 v4, v57, 52, v53
	s_waitcnt vmcnt(0)
	v_cvt_f16_f32_e32 v2, v2
	v_cvt_f16_f32_e32 v3, v3
	v_pack_b32_f16 v2, v2, v3
	v_pk_mul_f16 v2, v47, v2
	v_lshl_add_u32 v3, v4, 2, 0
	ds_write_b32 v3, v2 offset:128
.LBB14_301:
	s_or_b64 exec, exec, s[2:3]
	v_add_u32_e32 v58, 32, v54
	v_lshrrev_b32_e32 v2, 2, v58
	v_add_u32_e32 v2, s12, v2
	v_cmp_le_i32_e32 vcc, s28, v2
	s_mul_hi_u32 s11, s9, s10
	s_or_b64 s[2:3], vcc, s[0:1]
	s_and_saveexec_b64 s[20:21], s[2:3]
	s_xor_b64 s[2:3], exec, s[20:21]
	s_cbranch_execz .LBB14_303
; %bb.302:
	v_mad_u32_u24 v2, v58, 52, v53
	v_lshl_add_u32 v2, v2, 2, 0
	v_mov_b32_e32 v3, 0
	ds_write_b32 v2, v3 offset:128
                                        ; implicit-def: $vgpr2
.LBB14_303:
	s_or_saveexec_b64 s[2:3], s[2:3]
	s_abs_i32 s10, s4
	s_add_i32 s9, s9, s11
	s_xor_b64 exec, exec, s[2:3]
	s_cbranch_execz .LBB14_305
; %bb.304:
	v_mul_lo_u32 v2, v2, s53
	v_mul_lo_u32 v3, v0, s13
	v_add3_u32 v2, v3, v1, v2
	v_ashrrev_i32_e32 v3, 31, v2
	v_lshlrev_b64 v[2:3], 3, v[2:3]
	v_mov_b32_e32 v4, s8
	v_add_co_u32_e32 v2, vcc, s7, v2
	v_addc_co_u32_e32 v3, vcc, v4, v3, vcc
	global_load_dwordx2 v[2:3], v[2:3], off
	v_mad_u32_u24 v4, v58, 52, v53
	s_waitcnt vmcnt(0)
	v_cvt_f16_f32_e32 v2, v2
	v_cvt_f16_f32_e32 v3, v3
	v_pack_b32_f16 v2, v2, v3
	v_pk_mul_f16 v2, v47, v2
	v_lshl_add_u32 v3, v4, 2, 0
	ds_write_b32 v3, v2 offset:128
.LBB14_305:
	s_or_b64 exec, exec, s[2:3]
	v_add_u32_e32 v59, 48, v54
	v_lshrrev_b32_e32 v2, 2, v59
	v_add_u32_e32 v2, s12, v2
	v_cmp_le_i32_e32 vcc, s28, v2
	s_mul_hi_u32 s2, s10, s9
	s_or_b64 s[0:1], vcc, s[0:1]
	s_and_saveexec_b64 s[20:21], s[0:1]
	s_xor_b64 s[0:1], exec, s[20:21]
	s_cbranch_execz .LBB14_307
; %bb.306:
	v_mad_u32_u24 v0, v59, 52, v53
	v_lshl_add_u32 v0, v0, 2, 0
	v_mov_b32_e32 v1, 0
	ds_write_b32 v0, v1 offset:128
                                        ; implicit-def: $vgpr2
                                        ; implicit-def: $vgpr0
                                        ; implicit-def: $vgpr1
                                        ; implicit-def: $vgpr47
.LBB14_307:
	s_or_saveexec_b64 s[0:1], s[0:1]
	s_ashr_i32 s3, s4, 31
	s_xor_b64 exec, exec, s[0:1]
	s_cbranch_execz .LBB14_309
; %bb.308:
	v_mul_lo_u32 v2, v2, s53
	v_mul_lo_u32 v0, v0, s13
	v_add3_u32 v0, v0, v1, v2
	v_ashrrev_i32_e32 v1, 31, v0
	v_lshlrev_b64 v[0:1], 3, v[0:1]
	v_mov_b32_e32 v2, s8
	v_add_co_u32_e32 v0, vcc, s7, v0
	v_addc_co_u32_e32 v1, vcc, v2, v1, vcc
	global_load_dwordx2 v[0:1], v[0:1], off
	v_mad_u32_u24 v2, v59, 52, v53
	s_waitcnt vmcnt(0)
	v_cvt_f16_f32_e32 v0, v0
	v_cvt_f16_f32_e32 v1, v1
	v_pack_b32_f16 v0, v0, v1
	v_pk_mul_f16 v0, v47, v0
	v_lshl_add_u32 v1, v2, 2, 0
	ds_write_b32 v1, v0 offset:128
.LBB14_309:
	s_or_b64 exec, exec, s[0:1]
	s_mul_i32 s0, s4, s37
	s_mul_hi_u32 s1, s4, s36
	s_add_i32 s0, s1, s0
	s_mul_i32 s1, s3, s36
	v_readlane_b32 s8, v217, 16
	s_add_i32 s0, s0, s1
	s_mul_i32 s1, s4, s36
	v_readlane_b32 s9, v217, 17
	s_add_u32 s1, s14, s1
	s_mul_i32 s7, s5, s9
	s_addc_u32 s0, s15, s0
	s_ashr_i32 s9, s7, 31
	s_add_u32 s8, s1, s7
	s_mul_i32 s2, s2, s6
	s_addc_u32 s9, s0, s9
	s_sub_i32 s0, s10, s2
	s_sub_i32 s1, s0, s6
	s_cmp_ge_u32 s0, s6
	s_cselect_b32 s0, s1, s0
	s_sub_i32 s1, s0, s6
	s_cmp_ge_u32 s0, s6
	s_cselect_b32 s0, s1, s0
	s_xor_b32 s0, s0, s3
	v_readlane_b32 s10, v217, 14
	s_sub_i32 s0, s0, s3
	v_readlane_b32 s11, v217, 15
	s_ashr_i32 s1, s0, 31
	s_mul_i32 s2, s0, s11
	s_mul_hi_u32 s6, s0, s10
	s_add_i32 s2, s6, s2
	s_mul_i32 s1, s1, s10
	v_readlane_b32 s6, v217, 12
	s_add_i32 s2, s2, s1
	s_mul_i32 s0, s0, s10
	v_readlane_b32 s7, v217, 13
	s_add_u32 s10, s18, s0
	s_mul_i32 s0, s4, s7
	s_mul_hi_u32 s1, s4, s6
	s_addc_u32 s11, s19, s2
	s_add_i32 s0, s1, s0
	s_mul_i32 s3, s3, s6
	s_add_i32 s0, s0, s3
	s_mul_i32 s4, s4, s6
	s_add_u32 s1, s16, s4
	s_mul_i32 s5, s5, s39
	s_addc_u32 s0, s17, s0
	s_ashr_i32 s2, s5, 31
	s_add_u32 s6, s1, s5
	v_lshrrev_b32_e32 v13, 3, v50
	s_addc_u32 s7, s0, s2
	s_movk_i32 s0, 0xd00
	v_and_b32_e32 v47, 0x7e, v13
	v_mad_u32_u24 v0, v37, s0, 0
	v_mul_u32_u24_e32 v67, 0xd0, v53
	v_lshlrev_b32_e32 v68, 2, v47
	v_add3_u32 v0, v0, v67, v68
	s_waitcnt lgkmcnt(0)
	s_barrier
	ds_read2_b64 v[8:11], v0 offset1:4
	ds_read2_b64 v[4:7], v0 offset0:8 offset1:12
	ds_read2_b64 v[0:3], v0 offset0:16 offset1:20
	v_add_u32_e32 v87, -1, v12
	v_cmp_lt_i32_e32 vcc, s72, v87
	v_lshlrev_b32_e32 v12, 1, v50
	s_mov_b32 s13, 0
	s_movk_i32 s0, 0xd0
	v_and_b32_e32 v14, 62, v12
	s_waitcnt lgkmcnt(0)
	s_barrier
	s_cbranch_vccnz .LBB14_311
; %bb.310:
	v_add_u32_e32 v12, s12, v46
	v_mul_hi_u32 v15, s24, v12
	v_add_u32_e32 v15, v12, v15
	v_lshrrev_b32_e32 v15, s25, v15
	v_mul_lo_u32 v15, v15, s28
	v_sub_u32_e32 v12, v12, v15
	v_mad_i64_i32 v[24:25], s[2:3], v12, s42, 0
	v_add_u32_e32 v12, s12, v44
	v_mul_hi_u32 v15, s24, v12
	v_add_u32_e32 v15, v12, v15
	v_lshrrev_b32_e32 v15, s25, v15
	v_mul_lo_u32 v15, v15, s28
	v_lshlrev_b32_e32 v16, 2, v50
	v_sub_u32_e32 v12, v12, v15
	v_lshlrev_b32_e32 v60, 4, v37
	v_and_or_b32 v22, v16, 12, 32
	v_lshl_add_u32 v17, v37, 3, v13
	v_and_b32_e32 v26, 28, v16
	v_mov_b32_e32 v16, 0x1a00
	v_mad_i64_i32 v[28:29], s[2:3], v12, s42, 0
	v_lshrrev_b32_e32 v12, 2, v50
	v_mad_u32_u24 v86, v17, s0, v16
	v_and_or_b32 v16, v50, 12, v60
	v_and_b32_e32 v36, 0xfc, v12
	v_lshrrev_b32_e32 v16, 2, v16
	v_mul_u32_u24_e32 v75, 0x90, v16
	v_add_u32_e32 v16, 16, v36
	v_lshrrev_b32_e32 v76, 1, v16
	v_add_u32_e32 v16, 18, v36
	v_lshrrev_b32_e32 v79, 1, v16
	;; [unrolled: 2-line block ×5, first 2 shown]
	v_add_u32_e32 v16, 50, v36
	s_movk_i32 s1, 0x90
	v_mov_b32_e32 v15, 0x480
	v_lshrrev_b32_e32 v85, 1, v16
	v_mbcnt_lo_u32_b32 v16, -1, 0
	v_mad_u32_u24 v73, v46, s1, v15
	v_add_u32_e32 v15, v60, v12
	v_mbcnt_hi_u32_b32 v69, -1, v16
	v_mul_u32_u24_e32 v74, 0xd0, v15
	v_mul_lo_u32 v30, s34, v15
	v_mul_lo_u32 v32, s34, v17
	v_and_b32_e32 v16, 64, v69
	v_mul_lo_u32 v18, s30, v15
	v_mul_lo_u32 v20, s30, v17
	v_mul_u32_u24_e32 v15, 0x68, v36
	v_mov_b32_e32 v23, 0
	v_lshl_add_u32 v34, s34, 5, v32
	v_add_u32_e32 v70, 64, v16
	v_lshl_add_u32 v16, s30, 5, v20
	v_or_b32_e32 v62, v15, v53
	v_or_b32_e32 v12, 3, v12
	v_mul_u32_u24_e32 v72, 0x90, v46
	s_ashr_i32 s3, s34, 31
	v_ashrrev_i32_e32 v31, 31, v30
	v_mul_u32_u24_e32 v83, 0xd0, v17
	v_mov_b32_e32 v27, v23
	v_ashrrev_i32_e32 v33, 31, v32
	v_ashrrev_i32_e32 v35, 31, v34
	v_lshrrev_b32_e32 v77, 1, v36
	v_or_b32_e32 v78, 1, v13
	v_xor_b32_e32 v82, 32, v69
	v_xor_b32_e32 v71, 16, v69
	s_ashr_i32 s1, s30, 31
	v_ashrrev_i32_e32 v19, 31, v18
	v_ashrrev_i32_e32 v21, 31, v20
	v_ashrrev_i32_e32 v17, 31, v16
	v_mul_u32_u24_e32 v63, 0xd0, v36
	v_add_u32_e32 v64, 0xd0, v62
	v_mul_u32_u24_e32 v65, 0xd0, v12
	s_mov_b64 s[4:5], 0
	s_mov_b32 s14, 0xfeffffff
	s_branch .LBB14_312
.LBB14_311:
	s_mov_b64 s[4:5], -1
                                        ; implicit-def: $sgpr13
                                        ; implicit-def: $sgpr14
                                        ; implicit-def: $vgpr72
                                        ; implicit-def: $vgpr24_vgpr25
                                        ; implicit-def: $vgpr73
                                        ; implicit-def: $vgpr28_vgpr29
                                        ; implicit-def: $vgpr60
                                        ; implicit-def: $vgpr74
                                        ; implicit-def: $vgpr30_vgpr31
                                        ; implicit-def: $vgpr22
                                        ; implicit-def: $vgpr83
                                        ; implicit-def: $vgpr26
                                        ; implicit-def: $vgpr32_vgpr33
                                        ; implicit-def: $vgpr86
                                        ; implicit-def: $vgpr34_vgpr35
                                        ; implicit-def: $vgpr75
                                        ; implicit-def: $vgpr77
                                        ; implicit-def: $vgpr78
                                        ; implicit-def: $vgpr76
                                        ; implicit-def: $vgpr79
                                        ; implicit-def: $vgpr80
                                        ; implicit-def: $vgpr81
                                        ; implicit-def: $vgpr84
                                        ; implicit-def: $vgpr85
                                        ; implicit-def: $vgpr69
                                        ; implicit-def: $vgpr70
                                        ; implicit-def: $vgpr82
                                        ; implicit-def: $vgpr71
                                        ; implicit-def: $vgpr18_vgpr19
                                        ; implicit-def: $vgpr20_vgpr21
                                        ; implicit-def: $vgpr16_vgpr17
                                        ; implicit-def: $vgpr62
                                        ; implicit-def: $vgpr63
                                        ; implicit-def: $vgpr64
                                        ; implicit-def: $vgpr65
                                        ; implicit-def: $sgpr2_sgpr3
                                        ; implicit-def: $sgpr0_sgpr1
.LBB14_312:
	s_andn2_b64 vcc, exec, s[4:5]
	v_mov_b32_e32 v36, s13
	v_mov_b32_e32 v66, s13
	;; [unrolled: 1-line block ×3, first 2 shown]
	v_lshlrev_b32_e32 v88, 1, v14
	v_lshlrev_b32_e32 v61, 1, v53
	v_mov_b32_e32 v38, s13
	v_mov_b32_e32 v98, s13
	;; [unrolled: 1-line block ×11, first 2 shown]
	s_cbranch_vccnz .LBB14_315
; %bb.313:
	v_mov_b32_e32 v12, s11
	v_add_co_u32_e32 v89, vcc, s10, v88
	v_addc_co_u32_e32 v90, vcc, 0, v12, vcc
	v_add_u32_e32 v12, s12, v46
	v_mul_hi_u32 v14, s24, v12
	v_add_u32_e32 v14, v12, v14
	v_lshrrev_b32_e32 v14, s25, v14
	v_mul_lo_u32 v14, v14, s28
	v_sub_u32_e32 v12, v12, v14
	v_mad_i64_i32 v[24:25], s[0:1], v12, s42, 0
	v_add_u32_e32 v12, s12, v44
	v_mul_hi_u32 v14, s24, v12
	v_add_u32_e32 v14, v12, v14
	v_lshrrev_b32_e32 v14, s25, v14
	v_mul_lo_u32 v14, v14, s28
	v_sub_u32_e32 v12, v12, v14
	s_movk_i32 s2, 0x90
	v_mov_b32_e32 v14, 0x480
	v_mad_i64_i32 v[28:29], s[0:1], v12, s42, 0
	v_lshlrev_b32_e32 v60, 4, v37
	v_lshrrev_b32_e32 v12, 2, v50
	v_lshlrev_b32_e32 v18, 2, v50
	v_mad_u32_u24 v73, v46, s2, v14
	v_add_u32_e32 v16, v60, v12
	s_movk_i32 s0, 0xd0
	v_and_b32_e32 v14, 12, v18
	v_mad_u32_u24 v17, v16, s0, 0
	v_lshlrev_b32_e32 v19, 2, v14
	s_movk_i32 s1, 0x80
	v_add3_u32 v96, v17, v19, s1
	v_lshl_add_u32 v17, v37, 3, v13
	v_and_b32_e32 v26, 28, v18
	v_and_b32_e32 v36, 0xfc, v12
	v_mul_u32_u24_e32 v83, 0xd0, v17
	v_lshlrev_b32_e32 v18, 2, v26
	v_mul_u32_u24_e32 v39, 0x68, v36
	v_add3_u32 v97, 0, v83, v18
	v_mov_b32_e32 v18, 0x1a00
	v_or_b32_e32 v62, v39, v53
	v_or_b32_e32 v12, 3, v12
	v_mad_u32_u24 v86, v17, s0, v18
	v_mul_u32_u24_e32 v65, 0xd0, v12
	v_lshlrev_b32_e32 v12, 1, v62
	s_add_i32 s0, 0, 0xd00
	v_add_u32_e32 v109, s0, v12
	s_add_i32 s0, 0, 0x1a00
	v_add_u32_e32 v110, s0, v12
	;; [unrolled: 2-line block ×6, first 2 shown]
	s_add_i32 s0, 0, 0xd40
	v_and_or_b32 v18, v50, 12, v60
	v_add_u32_e32 v117, s0, v12
	s_add_i32 s0, 0, 0x1a40
	v_lshrrev_b32_e32 v18, 2, v18
	v_add_u32_e32 v19, 18, v36
	v_add_u32_e32 v118, s0, v12
	s_add_i32 s0, 0, 0x2740
	v_mul_u32_u24_e32 v75, 0x90, v18
	v_mad_u32_u24 v18, v18, s2, 0
	v_lshrrev_b32_e32 v79, 1, v19
	v_add_u32_e32 v19, 32, v36
	v_add_u32_e32 v119, s0, v12
	s_add_i32 s0, 0, 0x60
	v_lshrrev_b32_e32 v80, 1, v19
	v_lshl_add_u32 v37, v19, 1, v18
	v_add_u32_e32 v19, 34, v36
	v_add_u32_e32 v120, s0, v12
	s_add_i32 s0, 0, 0xd60
	v_or_b32_e32 v78, 1, v13
	v_add_u32_e32 v13, 16, v36
	v_lshrrev_b32_e32 v81, 1, v19
	v_add_u32_e32 v19, 48, v36
	v_add_u32_e32 v121, s0, v12
	s_add_i32 s0, 0, 0x1a60
	v_lshl_add_u32 v102, v36, 1, v18
	v_lshl_add_u32 v103, v78, 2, v18
	v_lshrrev_b32_e32 v76, 1, v13
	v_lshl_add_u32 v13, v13, 1, v18
	v_lshl_add_u32 v38, v19, 1, v18
	v_add_u32_e32 v18, 50, v36
	v_add_u32_e32 v122, s0, v12
	s_add_i32 s0, 0, 0x2760
	v_lshrrev_b32_e32 v85, 1, v18
	v_mbcnt_lo_u32_b32 v18, -1, 0
	v_add_u32_e32 v123, s0, v12
	s_add_i32 s0, 0, 0x80
	v_mbcnt_hi_u32_b32 v69, -1, v18
	v_add_u32_e32 v124, s0, v12
	s_add_i32 s0, 0, 0xd80
	v_and_b32_e32 v18, 64, v69
	v_add_u32_e32 v125, s0, v12
	s_add_i32 s0, 0, 0x1a80
	v_add_u32_e32 v70, 64, v18
	v_xor_b32_e32 v82, 32, v69
	v_add_u32_e32 v126, s0, v12
	s_add_i32 s0, 0, 0x2780
	v_cmp_lt_i32_e32 vcc, v82, v70
	v_xor_b32_e32 v71, 16, v69
	v_add_u32_e32 v127, s0, v12
	s_add_i32 s0, 0, 0xa0
	v_cndmask_b32_e32 v18, v69, v82, vcc
	v_cmp_lt_i32_e32 vcc, v71, v70
	v_add_u32_e32 v128, s0, v12
	s_add_i32 s0, 0, 0xda0
	v_mul_lo_u32 v32, s34, v17
	v_lshlrev_b32_e32 v104, 2, v18
	v_cndmask_b32_e32 v18, v69, v71, vcc
	v_mul_lo_u32 v20, s30, v17
	v_add_u32_e32 v129, s0, v12
	s_add_i32 s0, 0, 0x1aa0
	v_add_u32_e32 v15, 0, v88
	v_mov_b32_e32 v23, 0
	v_mul_u32_u24_e32 v72, 0x90, v46
	v_mul_u32_u24_e32 v74, 0xd0, v16
	v_mul_lo_u32 v30, s34, v16
	v_lshl_add_u32 v34, s34, 5, v32
	v_lshlrev_b32_e32 v105, 2, v18
	v_mul_lo_u32 v18, s30, v16
	v_lshl_add_u32 v16, s30, 5, v20
	v_mul_u32_u24_e32 v63, 0xd0, v36
	v_add_u32_e32 v130, s0, v12
	s_add_i32 s0, 0, 0x27a0
	s_ashr_i32 s3, s34, 31
	v_ashrrev_i32_e32 v31, 31, v30
	v_or_b32_e32 v22, 32, v14
	v_mov_b32_e32 v27, v23
	v_ashrrev_i32_e32 v33, 31, v32
	v_add_u32_e32 v100, 0x1a00, v97
	v_ashrrev_i32_e32 v35, 31, v34
	v_add3_u32 v101, 0, v67, v68
	v_lshrrev_b32_e32 v77, 1, v36
	v_lshrrev_b32_e32 v84, 1, v19
	s_ashr_i32 s1, s30, 31
	v_ashrrev_i32_e32 v19, 31, v18
	v_ashrrev_i32_e32 v21, 31, v20
	;; [unrolled: 1-line block ×3, first 2 shown]
	v_add_u32_e32 v64, 0xd0, v62
	v_add_u32_e32 v106, 0, v12
	v_add3_u32 v107, 0, v63, v61
	v_add3_u32 v108, 0, v65, v61
	;; [unrolled: 1-line block ×4, first 2 shown]
	v_add_u32_e32 v131, s0, v12
	s_lshl_b32 s4, s72, 6
	v_mov_b32_e32 v12, 0xfeffffff
	v_add_u32_e32 v132, v15, v72
	v_lshlrev_b32_e32 v133, 2, v14
	v_lshlrev_b32_e32 v134, 2, v26
	v_add_u32_e32 v135, 0x3400, v13
	v_add_u32_e32 v136, 0x3400, v37
	;; [unrolled: 1-line block ×3, first 2 shown]
	s_mov_b32 s0, 0x3fb8aa3b
	s_mov_b32 s2, 0xc2ce8ed0
	;; [unrolled: 1-line block ×5, first 2 shown]
	v_mov_b32_e32 v138, 0x7f800000
	v_mov_b32_e32 v66, v23
	;; [unrolled: 1-line block ×14, first 2 shown]
.LBB14_314:                             ; =>This Inner Loop Header: Depth=1
	s_ashr_i32 s5, s4, 31
	s_lshl_b64 s[16:17], s[4:5], 1
	s_nop 1
	v_mov_b32_e32 v39, v12
	v_add_co_u32_e32 v14, vcc, s16, v89
	v_mov_b32_e32 v12, s17
	v_addc_co_u32_e32 v15, vcc, v90, v12, vcc
	v_lshlrev_b64 v[12:13], 1, v[24:25]
	v_add_co_u32_e32 v12, vcc, v14, v12
	v_addc_co_u32_e32 v13, vcc, v15, v13, vcc
	global_load_dword v12, v[12:13], off
	s_mul_hi_i32 s17, s4, s34
	s_mul_i32 s16, s4, s34
	s_lshl_b64 s[16:17], s[16:17], 2
	s_add_u32 s5, s8, s16
	s_addc_u32 s15, s9, s17
	v_add_u32_e32 v40, 0x800, v101
	v_mov_b32_e32 v37, v66
	s_mul_hi_i32 s17, s4, s30
	s_mul_i32 s16, s4, s30
	s_lshl_b64 s[16:17], s[16:17], 2
	s_waitcnt vmcnt(0)
	ds_write_b32 v132, v12 offset:13312
	v_lshlrev_b64 v[12:13], 1, v[28:29]
	v_add_co_u32_e32 v12, vcc, v14, v12
	v_addc_co_u32_e32 v13, vcc, v15, v13, vcc
	global_load_dword v12, v[12:13], off
	v_mov_b32_e32 v14, s15
	s_waitcnt vmcnt(0)
	ds_write_b32 v132, v12 offset:14464
	v_lshlrev_b64 v[12:13], 2, v[30:31]
	v_add_co_u32_e32 v12, vcc, s5, v12
	v_addc_co_u32_e32 v13, vcc, v14, v13, vcc
	v_add_co_u32_e32 v12, vcc, v12, v133
	v_addc_co_u32_e32 v13, vcc, 0, v13, vcc
	global_load_dwordx4 v[12:15], v[12:13], off offset:128
	s_waitcnt vmcnt(0)
	ds_write_b128 v96, v[12:15]
	v_lshlrev_b64 v[12:13], 2, v[32:33]
	v_add_co_u32_e32 v12, vcc, s5, v12
	v_mov_b32_e32 v14, s15
	v_addc_co_u32_e32 v13, vcc, v14, v13, vcc
	v_add_co_u32_e32 v12, vcc, v12, v134
	v_addc_co_u32_e32 v13, vcc, 0, v13, vcc
	global_load_dwordx4 v[12:15], v[12:13], off
	s_waitcnt vmcnt(0)
	ds_write_b128 v97, v[12:15]
	v_lshlrev_b64 v[12:13], 2, v[34:35]
	v_add_co_u32_e32 v12, vcc, s5, v12
	v_mov_b32_e32 v14, s15
	v_addc_co_u32_e32 v13, vcc, v14, v13, vcc
	v_add_co_u32_e32 v12, vcc, v12, v134
	v_addc_co_u32_e32 v13, vcc, 0, v13, vcc
	global_load_dwordx4 v[12:15], v[12:13], off
	s_add_u32 s5, s6, s16
	s_addc_u32 s15, s7, s17
	s_add_i32 s72, s72, 1
	s_add_i32 s4, s4, 64
	s_waitcnt vmcnt(0)
	ds_write_b128 v100, v[12:15]
	s_waitcnt lgkmcnt(0)
	s_barrier
	ds_read2_b64 v[12:15], v101 offset1:4
	s_waitcnt lgkmcnt(0)
	v_mfma_f32_16x16x16f16 v[142:145], v[12:13], v[8:9], 0
	v_mfma_f32_16x16x16f16 v[12:15], v[14:15], v[10:11], v[142:145]
	s_nop 7
	s_nop 1
	ds_read2_b64 v[142:145], v101 offset0:8 offset1:12
	s_waitcnt lgkmcnt(0)
	v_mfma_f32_16x16x16f16 v[12:15], v[142:143], v[4:5], v[12:15]
	v_mfma_f32_16x16x16f16 v[12:15], v[144:145], v[6:7], v[12:15]
	ds_read2_b64 v[142:145], v101 offset0:16 offset1:20
	s_waitcnt lgkmcnt(0)
	v_mfma_f32_16x16x16f16 v[12:15], v[142:143], v[0:1], v[12:15]
	v_mfma_f32_16x16x16f16 v[12:15], v[144:145], v[2:3], v[12:15]
	;; [unrolled: 4-line block ×3, first 2 shown]
	s_nop 7
	s_nop 1
	ds_read2_b64 v[146:149], v40 offset0:168 offset1:172
	s_waitcnt lgkmcnt(0)
	v_mfma_f32_16x16x16f16 v[142:145], v[146:147], v[4:5], v[142:145]
	v_mfma_f32_16x16x16f16 v[142:145], v[148:149], v[6:7], v[142:145]
	ds_read2_b64 v[146:149], v40 offset0:176 offset1:180
	v_add_u32_e32 v40, 0x1800, v101
	s_waitcnt lgkmcnt(0)
	v_mfma_f32_16x16x16f16 v[142:145], v[146:147], v[0:1], v[142:145]
	v_mfma_f32_16x16x16f16 v[142:145], v[148:149], v[2:3], v[142:145]
	ds_read2_b64 v[146:149], v40 offset0:64 offset1:68
	s_waitcnt lgkmcnt(0)
	v_mfma_f32_16x16x16f16 v[150:153], v[146:147], v[8:9], 0
	v_mfma_f32_16x16x16f16 v[146:149], v[148:149], v[10:11], v[150:153]
	s_nop 7
	s_nop 1
	ds_read2_b64 v[150:153], v40 offset0:72 offset1:76
	s_waitcnt lgkmcnt(0)
	v_mfma_f32_16x16x16f16 v[146:149], v[150:151], v[4:5], v[146:149]
	v_mfma_f32_16x16x16f16 v[146:149], v[152:153], v[6:7], v[146:149]
	ds_read2_b64 v[150:153], v40 offset0:80 offset1:84
	v_add_u32_e32 v40, 0x2000, v101
	s_waitcnt lgkmcnt(0)
	v_mfma_f32_16x16x16f16 v[146:149], v[150:151], v[0:1], v[146:149]
	v_mfma_f32_16x16x16f16 v[146:149], v[152:153], v[2:3], v[146:149]
	ds_read2_b64 v[150:153], v40 offset0:224 offset1:228
	s_waitcnt lgkmcnt(0)
	v_mfma_f32_16x16x16f16 v[154:157], v[150:151], v[8:9], 0
	v_mfma_f32_16x16x16f16 v[150:153], v[152:153], v[10:11], v[154:157]
	s_nop 7
	s_nop 1
	ds_read2_b64 v[154:157], v40 offset0:232 offset1:236
	s_waitcnt lgkmcnt(0)
	v_mfma_f32_16x16x16f16 v[150:153], v[154:155], v[4:5], v[150:153]
	v_mfma_f32_16x16x16f16 v[150:153], v[156:157], v[6:7], v[150:153]
	ds_read2_b64 v[154:157], v40 offset0:240 offset1:244
	s_waitcnt lgkmcnt(0)
	s_barrier
	v_mfma_f32_16x16x16f16 v[150:153], v[154:155], v[0:1], v[150:153]
	v_mfma_f32_16x16x16f16 v[150:153], v[156:157], v[2:3], v[150:153]
	ds_read_b32 v66, v102 offset:13312
	ds_read_b32 v160, v103 offset:13312
	ds_read2_b32 v[40:41], v135 offset1:1
	ds_read2_b32 v[154:155], v136 offset1:1
	;; [unrolled: 1-line block ×3, first 2 shown]
	s_waitcnt lgkmcnt(0)
	v_cvt_f32_f16_e32 v158, v157
	v_cvt_f32_f16_sdwa v159, v157 dst_sel:DWORD dst_unused:UNUSED_PAD src0_sel:WORD_1
	v_cvt_f32_f16_sdwa v157, v155 dst_sel:DWORD dst_unused:UNUSED_PAD src0_sel:WORD_1
	s_nop 1
	v_pk_add_f32 v[152:153], v[152:153], v[158:159]
	v_cvt_f32_f16_e32 v158, v156
	v_cvt_f32_f16_sdwa v159, v156 dst_sel:DWORD dst_unused:UNUSED_PAD src0_sel:WORD_1
	v_cvt_f32_f16_e32 v156, v155
	v_cvt_f32_f16_sdwa v155, v41 dst_sel:DWORD dst_unused:UNUSED_PAD src0_sel:WORD_1
	v_add_f32_e32 v161, 0x40051340, v152
	v_pk_add_f32 v[150:151], v[150:151], v[158:159]
	v_pk_add_f32 v[148:149], v[148:149], v[156:157]
	v_cvt_f32_f16_e32 v156, v154
	v_cvt_f32_f16_sdwa v157, v154 dst_sel:DWORD dst_unused:UNUSED_PAD src0_sel:WORD_1
	v_cvt_f32_f16_e32 v154, v41
	v_add_f32_e32 v163, 0x40051340, v148
	v_add_f32_e32 v164, 0x40051340, v149
	v_pk_add_f32 v[146:147], v[146:147], v[156:157]
	v_pk_add_f32 v[144:145], v[144:145], v[154:155]
	v_cvt_f32_f16_e32 v154, v40
	v_cvt_f32_f16_sdwa v155, v40 dst_sel:DWORD dst_unused:UNUSED_PAD src0_sel:WORD_1
	v_add_f32_e32 v165, 0x40051340, v144
	v_add_f32_e32 v166, 0x40051340, v145
	;; [unrolled: 1-line block ×3, first 2 shown]
	v_pk_add_f32 v[40:41], v[142:143], v[154:155]
	v_cvt_f32_f16_sdwa v143, v160 dst_sel:DWORD dst_unused:UNUSED_PAD src0_sel:WORD_1
	v_cvt_f32_f16_e32 v142, v160
	v_add_f32_e32 v154, 0x40051340, v40
	v_add_f32_e32 v155, 0x40051340, v41
	;; [unrolled: 1-line block ×3, first 2 shown]
	v_pk_add_f32 v[14:15], v[14:15], v[142:143]
	v_cvt_f32_f16_sdwa v143, v66 dst_sel:DWORD dst_unused:UNUSED_PAD src0_sel:WORD_1
	v_cvt_f32_f16_e32 v142, v66
	v_add_f32_e32 v160, 0x40051340, v14
	v_add_f32_e32 v167, 0x40051340, v15
	;; [unrolled: 1-line block ×3, first 2 shown]
	v_pk_add_f32 v[142:143], v[12:13], v[142:143]
	v_add_f32_e32 v12, 0x40051340, v142
	v_add_f32_e32 v13, 0x40051340, v143
	v_max3_f32 v12, v39, v12, v13
	v_max3_f32 v12, v12, v160, v167
	;; [unrolled: 1-line block ×5, first 2 shown]
	v_add_f32_e32 v159, 0x40051340, v151
	v_max3_f32 v12, v12, v163, v164
	v_add_f32_e32 v162, 0x40051340, v153
	v_max3_f32 v12, v12, v158, v159
	v_max3_f32 v12, v12, v161, v162
	ds_bpermute_b32 v13, v104, v12
	s_waitcnt lgkmcnt(0)
	v_max_f32_e32 v13, v13, v13
	v_max_f32_e32 v12, v12, v13
	ds_bpermute_b32 v13, v105, v12
	s_waitcnt lgkmcnt(0)
	v_max_f32_e32 v13, v13, v13
	v_max_f32_e32 v12, v12, v13
	v_pk_add_f32 v[142:143], v[142:143], v[12:13] op_sel_hi:[1,0] neg_lo:[0,1] neg_hi:[0,1]
	v_mul_f32_e32 v13, 0x3fb8aa3b, v143
	v_fma_f32 v66, v143, s0, -v13
	v_rndne_f32_e32 v154, v13
	v_fmac_f32_e32 v66, 0x32a5705f, v143
	v_sub_f32_e32 v13, v13, v154
	v_add_f32_e32 v13, v13, v66
	v_exp_f32_e32 v13, v13
	v_cvt_i32_f32_e32 v66, v154
	v_cmp_ngt_f32_e32 vcc, s2, v143
	v_ldexp_f32 v13, v13, v66
	v_cndmask_b32_e32 v13, 0, v13, vcc
	v_cmp_nlt_f32_e32 vcc, s12, v143
	v_cndmask_b32_e32 v143, v138, v13, vcc
	v_mul_f32_e32 v13, 0x3fb8aa3b, v142
	v_fma_f32 v66, v142, s0, -v13
	v_rndne_f32_e32 v154, v13
	v_fmac_f32_e32 v66, 0x32a5705f, v142
	v_sub_f32_e32 v13, v13, v154
	v_add_f32_e32 v13, v13, v66
	v_exp_f32_e32 v13, v13
	v_cvt_i32_f32_e32 v66, v154
	v_cmp_ngt_f32_e32 vcc, s2, v142
	v_ldexp_f32 v13, v13, v66
	v_cndmask_b32_e32 v13, 0, v13, vcc
	v_cmp_nlt_f32_e32 vcc, s12, v142
	v_pk_add_f32 v[14:15], v[14:15], v[12:13] op_sel_hi:[1,0] neg_lo:[0,1] neg_hi:[0,1]
	v_cndmask_b32_e32 v154, v138, v13, vcc
	v_mul_f32_e32 v13, 0x3fb8aa3b, v15
	v_fma_f32 v66, v15, s0, -v13
	v_rndne_f32_e32 v142, v13
	v_fmac_f32_e32 v66, 0x32a5705f, v15
	v_sub_f32_e32 v13, v13, v142
	v_add_f32_e32 v13, v13, v66
	v_exp_f32_e32 v13, v13
	v_cvt_i32_f32_e32 v66, v142
	v_cmp_ngt_f32_e32 vcc, s2, v15
	v_ldexp_f32 v13, v13, v66
	v_cndmask_b32_e32 v13, 0, v13, vcc
	v_cmp_nlt_f32_e32 vcc, s12, v15
	v_cndmask_b32_e32 v155, v138, v13, vcc
	v_mul_f32_e32 v13, 0x3fb8aa3b, v14
	v_fma_f32 v15, v14, s0, -v13
	v_rndne_f32_e32 v66, v13
	v_fmac_f32_e32 v15, 0x32a5705f, v14
	v_sub_f32_e32 v13, v13, v66
	v_add_f32_e32 v13, v13, v15
	v_exp_f32_e32 v13, v13
	v_cvt_i32_f32_e32 v15, v66
	v_cmp_ngt_f32_e32 vcc, s2, v14
	v_ldexp_f32 v13, v13, v15
	v_cndmask_b32_e32 v13, 0, v13, vcc
	v_cmp_nlt_f32_e32 vcc, s12, v14
	v_pk_add_f32 v[14:15], v[40:41], v[12:13] op_sel_hi:[1,0] neg_lo:[0,1] neg_hi:[0,1]
	v_cndmask_b32_e32 v156, v138, v13, vcc
	;; [unrolled: 27-line block ×7, first 2 shown]
	v_mul_f32_e32 v13, 0x3fb8aa3b, v15
	v_fma_f32 v40, v15, s0, -v13
	v_rndne_f32_e32 v41, v13
	v_fmac_f32_e32 v40, 0x32a5705f, v15
	v_sub_f32_e32 v13, v13, v41
	v_add_f32_e32 v13, v13, v40
	v_exp_f32_e32 v13, v13
	v_cvt_i32_f32_e32 v40, v41
	v_cmp_ngt_f32_e32 vcc, s2, v15
	v_ldexp_f32 v13, v13, v40
	v_cndmask_b32_e32 v13, 0, v13, vcc
	v_cmp_nlt_f32_e32 vcc, s12, v15
	v_cndmask_b32_e32 v15, v138, v13, vcc
	v_mul_f32_e32 v13, 0x3fb8aa3b, v14
	v_fma_f32 v40, v14, s0, -v13
	v_rndne_f32_e32 v41, v13
	v_fmac_f32_e32 v40, 0x32a5705f, v14
	v_sub_f32_e32 v13, v13, v41
	v_add_f32_e32 v13, v13, v40
	v_exp_f32_e32 v13, v13
	v_cvt_i32_f32_e32 v40, v41
	v_cmp_ngt_f32_e32 vcc, s2, v14
	v_ldexp_f32 v13, v13, v40
	v_cndmask_b32_e32 v13, 0, v13, vcc
	v_cmp_nlt_f32_e32 vcc, s12, v14
	v_cndmask_b32_e32 v152, v138, v13, vcc
	v_add_f32_e32 v13, v154, v143
	v_add_f32_e32 v13, v156, v13
	;; [unrolled: 1-line block ×15, first 2 shown]
	v_sub_f32_e32 v13, v39, v12
	v_mul_f32_e32 v14, 0x3fb8aa3b, v13
	v_fma_f32 v39, v13, s0, -v14
	v_rndne_f32_e32 v40, v14
	v_fmac_f32_e32 v39, 0x32a5705f, v13
	v_sub_f32_e32 v14, v14, v40
	v_add_f32_e32 v14, v14, v39
	v_exp_f32_e32 v14, v14
	v_cvt_i32_f32_e32 v39, v40
	v_cmp_ngt_f32_e32 vcc, s2, v13
	v_cvt_f16_f32_e32 v15, v15
	v_ldexp_f32 v14, v14, v39
	v_cndmask_b32_e32 v14, 0, v14, vcc
	v_cmp_nlt_f32_e32 vcc, s12, v13
	v_cndmask_b32_e32 v14, v138, v14, vcc
	v_cmp_le_f32_e32 vcc, s13, v13
	v_cndmask_b32_e32 v13, 0, v14, vcc
	v_fmac_f32_e32 v66, v37, v13
	v_cvt_f16_f32_e32 v13, v13
	v_cvt_f16_f32_e32 v14, v143
	;; [unrolled: 1-line block ×4, first 2 shown]
	v_pk_mul_f16 v140, v13, v140 op_sel_hi:[0,1]
	v_pk_mul_f16 v139, v13, v139 op_sel_hi:[0,1]
	;; [unrolled: 1-line block ×12, first 2 shown]
	v_cvt_f16_f32_e32 v36, v154
	v_pack_b32_f16 v40, v36, v14
	v_cvt_f16_f32_e32 v14, v155
	v_cvt_f16_f32_e32 v36, v156
	v_pack_b32_f16 v41, v36, v14
	v_cvt_f16_f32_e32 v14, v157
	;; [unrolled: 3-line block ×3, first 2 shown]
	v_cvt_f16_f32_e32 v36, v145
	v_lshlrev_b64 v[144:145], 2, v[18:19]
	v_pack_b32_f16 v39, v36, v14
	v_cvt_f16_f32_e32 v14, v146
	v_cvt_f16_f32_e32 v36, v147
	v_pack_b32_f16 v36, v36, v14
	v_cvt_f16_f32_e32 v14, v148
	v_pack_b32_f16 v37, v37, v14
	;; [unrolled: 2-line block ×4, first 2 shown]
	v_add_co_u32_e32 v143, vcc, s5, v144
	v_mov_b32_e32 v144, s15
	v_addc_co_u32_e32 v145, vcc, v144, v145, vcc
	v_add_co_u32_e32 v144, vcc, v143, v133
	v_addc_co_u32_e32 v145, vcc, 0, v145, vcc
	global_load_dwordx4 v[144:147], v[144:145], off offset:128
	s_waitcnt vmcnt(0)
	ds_write_b128 v96, v[144:147]
	v_lshlrev_b64 v[144:145], 2, v[20:21]
	v_add_co_u32_e32 v143, vcc, s5, v144
	v_mov_b32_e32 v144, s15
	v_addc_co_u32_e32 v145, vcc, v144, v145, vcc
	v_add_co_u32_e32 v144, vcc, v143, v134
	v_addc_co_u32_e32 v145, vcc, 0, v145, vcc
	global_load_dwordx4 v[144:147], v[144:145], off
	s_waitcnt vmcnt(0)
	ds_write_b128 v97, v[144:147]
	v_lshlrev_b64 v[144:145], 2, v[16:17]
	v_add_co_u32_e32 v143, vcc, s5, v144
	v_mov_b32_e32 v144, s15
	v_addc_co_u32_e32 v145, vcc, v144, v145, vcc
	v_add_co_u32_e32 v144, vcc, v143, v134
	v_addc_co_u32_e32 v145, vcc, 0, v145, vcc
	global_load_dwordx4 v[144:147], v[144:145], off
	v_cmp_lt_i32_e32 vcc, s72, v87
	s_and_b64 vcc, exec, vcc
	s_waitcnt vmcnt(0)
	ds_write_b128 v100, v[144:147]
	s_waitcnt lgkmcnt(0)
	s_barrier
	ds_read_u16 v143, v107 offset:416
	v_cvt_f32_f16_e32 v146, v139
	v_cvt_f32_f16_sdwa v147, v139 dst_sel:DWORD dst_unused:UNUSED_PAD src0_sel:WORD_1
	ds_read_u16 v139, v108
	ds_read_u16 v150, v108 offset:32
	v_cvt_f32_f16_e32 v144, v140
	v_cvt_f32_f16_sdwa v145, v140 dst_sel:DWORD dst_unused:UNUSED_PAD src0_sel:WORD_1
	s_waitcnt lgkmcnt(1)
	v_perm_b32 v149, v139, v143, s14
	ds_read_u16 v139, v106
	ds_read_u16 v143, v106 offset:32
	ds_read_u16 v140, v107 offset:208
	;; [unrolled: 1-line block ×3, first 2 shown]
	s_waitcnt lgkmcnt(1)
	v_perm_b32 v148, v140, v139, s14
	s_nop 1
	v_mfma_f32_16x16x16f16 v[144:147], v[148:149], v[40:41], v[144:147]
	ds_read_u16 v148, v106 offset:3328
	ds_read_u16 v152, v107 offset:3536
	ds_read_u16 v149, v109 offset:416
	ds_read_u16 v153, v108 offset:3328
	s_waitcnt lgkmcnt(2)
	v_perm_b32 v148, v152, v148, s14
	s_waitcnt lgkmcnt(0)
	v_perm_b32 v149, v153, v149, s14
	s_nop 2
	v_cvt_f16_f32_e32 v139, v144
	v_cvt_f16_f32_e32 v140, v145
	v_cvt_f16_f32_e32 v146, v146
	v_cvt_f16_f32_e32 v147, v147
	v_cvt_f32_f16_e32 v144, v139
	v_cvt_f32_f16_e32 v145, v140
	v_cvt_f32_f16_e32 v146, v146
	v_cvt_f32_f16_e32 v147, v147
	s_nop 1
	v_mfma_f32_16x16x16f16 v[144:147], v[148:149], v[38:39], v[144:147]
	ds_read_u16 v148, v106 offset:6656
	ds_read_u16 v152, v107 offset:6864
	ds_read_u16 v149, v110 offset:416
	ds_read_u16 v153, v108 offset:6656
	s_waitcnt lgkmcnt(2)
	v_perm_b32 v148, v152, v148, s14
	s_waitcnt lgkmcnt(0)
	v_perm_b32 v149, v153, v149, s14
	s_nop 2
	v_cvt_f16_f32_e32 v139, v144
	v_cvt_f16_f32_e32 v140, v145
	v_cvt_f16_f32_e32 v146, v146
	v_cvt_f16_f32_e32 v147, v147
	v_cvt_f32_f16_e32 v144, v139
	v_cvt_f32_f16_e32 v145, v140
	v_cvt_f32_f16_e32 v146, v146
	v_cvt_f32_f16_e32 v147, v147
	;; [unrolled: 19-line block ×3, first 2 shown]
	s_nop 1
	v_mfma_f32_16x16x16f16 v[144:147], v[148:149], v[14:15], v[144:147]
	ds_read_u16 v148, v112 offset:416
	s_waitcnt lgkmcnt(0)
	v_perm_b32 v149, v150, v148, s14
	v_perm_b32 v148, v151, v143, s14
	s_nop 6
	v_cvt_f16_f32_e32 v139, v144
	v_cvt_f16_f32_e32 v140, v145
	;; [unrolled: 1-line block ×4, first 2 shown]
	v_cvt_f32_f16_e32 v146, v91
	v_pack_b32_f16 v140, v139, v140
	v_cvt_f32_f16_sdwa v147, v91 dst_sel:DWORD dst_unused:UNUSED_PAD src0_sel:WORD_1
	v_pack_b32_f16 v139, v144, v145
	v_cvt_f32_f16_e32 v144, v141
	v_cvt_f32_f16_sdwa v145, v141 dst_sel:DWORD dst_unused:UNUSED_PAD src0_sel:WORD_1
	s_nop 1
	v_mfma_f32_16x16x16f16 v[144:147], v[148:149], v[40:41], v[144:147]
	ds_read_u16 v148, v106 offset:3360
	ds_read_u16 v150, v107 offset:3568
	ds_read_u16 v149, v113 offset:416
	ds_read_u16 v151, v108 offset:3360
	s_waitcnt lgkmcnt(2)
	v_perm_b32 v148, v150, v148, s14
	s_waitcnt lgkmcnt(0)
	v_perm_b32 v149, v151, v149, s14
	s_nop 2
	v_cvt_f16_f32_e32 v91, v144
	v_cvt_f16_f32_e32 v141, v145
	v_cvt_f16_f32_e32 v143, v146
	v_cvt_f16_f32_e32 v147, v147
	v_cvt_f32_f16_e32 v144, v91
	v_cvt_f32_f16_e32 v145, v141
	v_cvt_f32_f16_e32 v146, v143
	v_cvt_f32_f16_e32 v147, v147
	s_nop 1
	v_mfma_f32_16x16x16f16 v[144:147], v[148:149], v[38:39], v[144:147]
	ds_read_u16 v148, v106 offset:6688
	ds_read_u16 v150, v107 offset:6896
	ds_read_u16 v149, v114 offset:416
	ds_read_u16 v151, v108 offset:6688
	s_waitcnt lgkmcnt(2)
	v_perm_b32 v148, v150, v148, s14
	s_waitcnt lgkmcnt(0)
	v_perm_b32 v149, v151, v149, s14
	s_nop 2
	v_cvt_f16_f32_e32 v91, v144
	v_cvt_f16_f32_e32 v141, v145
	v_cvt_f16_f32_e32 v143, v146
	v_cvt_f16_f32_e32 v147, v147
	v_cvt_f32_f16_e32 v144, v91
	v_cvt_f32_f16_e32 v145, v141
	v_cvt_f32_f16_e32 v146, v143
	v_cvt_f32_f16_e32 v147, v147
	;; [unrolled: 19-line block ×3, first 2 shown]
	s_nop 1
	v_mfma_f32_16x16x16f16 v[144:147], v[148:149], v[14:15], v[144:147]
	s_nop 7
	s_nop 2
	v_cvt_f16_f32_e32 v91, v144
	v_cvt_f16_f32_e32 v141, v145
	;; [unrolled: 1-line block ×4, first 2 shown]
	v_cvt_f32_f16_sdwa v145, v93 dst_sel:DWORD dst_unused:UNUSED_PAD src0_sel:WORD_1
	v_pack_b32_f16 v141, v91, v141
	v_cvt_f32_f16_e32 v146, v92
	v_pack_b32_f16 v91, v143, v144
	ds_read_u16 v143, v106 offset:64
	ds_read_u16 v148, v107 offset:272
	;; [unrolled: 1-line block ×4, first 2 shown]
	v_cvt_f32_f16_e32 v144, v93
	v_cvt_f32_f16_sdwa v147, v92 dst_sel:DWORD dst_unused:UNUSED_PAD src0_sel:WORD_1
	s_waitcnt lgkmcnt(2)
	v_perm_b32 v92, v148, v143, s14
	s_waitcnt lgkmcnt(0)
	v_perm_b32 v93, v150, v149, s14
	ds_read_u16 v148, v106 offset:3392
	ds_read_u16 v149, v107 offset:3600
	ds_read_u16 v150, v117 offset:416
	ds_read_u16 v151, v108 offset:3392
	v_mfma_f32_16x16x16f16 v[144:147], v[92:93], v[40:41], v[144:147]
	s_nop 7
	s_nop 2
	v_cvt_f16_f32_e32 v92, v144
	v_cvt_f16_f32_e32 v93, v145
	v_cvt_f16_f32_e32 v143, v146
	v_cvt_f16_f32_e32 v147, v147
	v_cvt_f32_f16_e32 v144, v92
	v_cvt_f32_f16_e32 v145, v93
	s_waitcnt lgkmcnt(0)
	v_perm_b32 v93, v151, v150, s14
	v_perm_b32 v92, v149, v148, s14
	v_cvt_f32_f16_e32 v146, v143
	v_cvt_f32_f16_e32 v147, v147
	ds_read_u16 v148, v106 offset:6720
	ds_read_u16 v149, v107 offset:6928
	ds_read_u16 v150, v118 offset:416
	ds_read_u16 v151, v108 offset:6720
	v_mfma_f32_16x16x16f16 v[144:147], v[92:93], v[38:39], v[144:147]
	s_nop 7
	s_nop 2
	v_cvt_f16_f32_e32 v92, v144
	v_cvt_f16_f32_e32 v93, v145
	v_cvt_f16_f32_e32 v143, v146
	v_cvt_f16_f32_e32 v147, v147
	v_cvt_f32_f16_e32 v144, v92
	v_cvt_f32_f16_e32 v145, v93
	s_waitcnt lgkmcnt(0)
	v_perm_b32 v93, v151, v150, s14
	v_perm_b32 v92, v149, v148, s14
	v_cvt_f32_f16_e32 v146, v143
	v_cvt_f32_f16_e32 v147, v147
	;; [unrolled: 18-line block ×3, first 2 shown]
	s_nop 1
	v_mfma_f32_16x16x16f16 v[144:147], v[92:93], v[14:15], v[144:147]
	s_nop 7
	s_nop 2
	v_cvt_f16_f32_e32 v92, v144
	v_cvt_f16_f32_e32 v93, v145
	;; [unrolled: 1-line block ×4, first 2 shown]
	v_cvt_f32_f16_sdwa v145, v95 dst_sel:DWORD dst_unused:UNUSED_PAD src0_sel:WORD_1
	v_pack_b32_f16 v93, v92, v93
	v_cvt_f32_f16_e32 v146, v94
	v_pack_b32_f16 v92, v143, v144
	ds_read_u16 v143, v106 offset:96
	ds_read_u16 v148, v107 offset:304
	;; [unrolled: 1-line block ×4, first 2 shown]
	v_cvt_f32_f16_e32 v144, v95
	v_cvt_f32_f16_sdwa v147, v94 dst_sel:DWORD dst_unused:UNUSED_PAD src0_sel:WORD_1
	s_waitcnt lgkmcnt(2)
	v_perm_b32 v94, v148, v143, s14
	s_waitcnt lgkmcnt(0)
	v_perm_b32 v95, v150, v149, s14
	ds_read_u16 v148, v106 offset:3424
	ds_read_u16 v149, v107 offset:3632
	ds_read_u16 v150, v121 offset:416
	ds_read_u16 v151, v108 offset:3424
	v_mfma_f32_16x16x16f16 v[144:147], v[94:95], v[40:41], v[144:147]
	s_nop 7
	s_nop 2
	v_cvt_f16_f32_e32 v94, v144
	v_cvt_f16_f32_e32 v95, v145
	v_cvt_f16_f32_e32 v143, v146
	v_cvt_f16_f32_e32 v147, v147
	v_cvt_f32_f16_e32 v144, v94
	v_cvt_f32_f16_e32 v145, v95
	s_waitcnt lgkmcnt(0)
	v_perm_b32 v95, v151, v150, s14
	v_perm_b32 v94, v149, v148, s14
	v_cvt_f32_f16_e32 v146, v143
	v_cvt_f32_f16_e32 v147, v147
	ds_read_u16 v148, v106 offset:6752
	ds_read_u16 v149, v107 offset:6960
	ds_read_u16 v150, v122 offset:416
	ds_read_u16 v151, v108 offset:6752
	v_mfma_f32_16x16x16f16 v[144:147], v[94:95], v[38:39], v[144:147]
	s_nop 7
	s_nop 2
	v_cvt_f16_f32_e32 v94, v144
	v_cvt_f16_f32_e32 v95, v145
	v_cvt_f16_f32_e32 v143, v146
	v_cvt_f16_f32_e32 v147, v147
	v_cvt_f32_f16_e32 v144, v94
	v_cvt_f32_f16_e32 v145, v95
	s_waitcnt lgkmcnt(0)
	v_perm_b32 v95, v151, v150, s14
	v_perm_b32 v94, v149, v148, s14
	v_cvt_f32_f16_e32 v146, v143
	v_cvt_f32_f16_e32 v147, v147
	;; [unrolled: 18-line block ×3, first 2 shown]
	s_nop 1
	v_mfma_f32_16x16x16f16 v[144:147], v[94:95], v[14:15], v[144:147]
	s_nop 7
	s_nop 2
	v_cvt_f16_f32_e32 v94, v144
	v_cvt_f16_f32_e32 v95, v145
	;; [unrolled: 1-line block ×4, first 2 shown]
	v_cvt_f32_f16_sdwa v145, v99 dst_sel:DWORD dst_unused:UNUSED_PAD src0_sel:WORD_1
	v_pack_b32_f16 v95, v94, v95
	v_cvt_f32_f16_e32 v146, v98
	v_pack_b32_f16 v94, v143, v144
	ds_read_u16 v143, v106 offset:128
	ds_read_u16 v148, v107 offset:336
	;; [unrolled: 1-line block ×4, first 2 shown]
	v_cvt_f32_f16_e32 v144, v99
	v_cvt_f32_f16_sdwa v147, v98 dst_sel:DWORD dst_unused:UNUSED_PAD src0_sel:WORD_1
	s_waitcnt lgkmcnt(2)
	v_perm_b32 v98, v148, v143, s14
	s_waitcnt lgkmcnt(0)
	v_perm_b32 v99, v150, v149, s14
	ds_read_u16 v148, v106 offset:3456
	ds_read_u16 v149, v107 offset:3664
	ds_read_u16 v150, v125 offset:416
	ds_read_u16 v151, v108 offset:3456
	v_mfma_f32_16x16x16f16 v[144:147], v[98:99], v[40:41], v[144:147]
	s_nop 7
	s_nop 2
	v_cvt_f16_f32_e32 v98, v144
	v_cvt_f16_f32_e32 v99, v145
	v_cvt_f16_f32_e32 v143, v146
	v_cvt_f16_f32_e32 v147, v147
	v_cvt_f32_f16_e32 v144, v98
	v_cvt_f32_f16_e32 v145, v99
	s_waitcnt lgkmcnt(0)
	v_perm_b32 v99, v151, v150, s14
	v_perm_b32 v98, v149, v148, s14
	v_cvt_f32_f16_e32 v146, v143
	v_cvt_f32_f16_e32 v147, v147
	ds_read_u16 v148, v106 offset:6784
	ds_read_u16 v149, v107 offset:6992
	ds_read_u16 v150, v126 offset:416
	ds_read_u16 v151, v108 offset:6784
	v_mfma_f32_16x16x16f16 v[144:147], v[98:99], v[38:39], v[144:147]
	s_nop 7
	s_nop 2
	v_cvt_f16_f32_e32 v98, v144
	v_cvt_f16_f32_e32 v99, v145
	v_cvt_f16_f32_e32 v143, v146
	v_cvt_f16_f32_e32 v147, v147
	v_cvt_f32_f16_e32 v144, v98
	v_cvt_f32_f16_e32 v145, v99
	s_waitcnt lgkmcnt(0)
	v_perm_b32 v99, v151, v150, s14
	v_perm_b32 v98, v149, v148, s14
	v_cvt_f32_f16_e32 v146, v143
	v_cvt_f32_f16_e32 v147, v147
	;; [unrolled: 18-line block ×3, first 2 shown]
	s_nop 1
	v_mfma_f32_16x16x16f16 v[144:147], v[98:99], v[14:15], v[144:147]
	s_nop 7
	s_nop 2
	v_cvt_f16_f32_e32 v98, v144
	v_cvt_f16_f32_e32 v99, v145
	;; [unrolled: 1-line block ×4, first 2 shown]
	v_cvt_f32_f16_sdwa v145, v142 dst_sel:DWORD dst_unused:UNUSED_PAD src0_sel:WORD_1
	v_pack_b32_f16 v99, v98, v99
	v_cvt_f32_f16_e32 v146, v13
	v_pack_b32_f16 v98, v143, v144
	ds_read_u16 v148, v106 offset:160
	ds_read_u16 v149, v107 offset:368
	;; [unrolled: 1-line block ×4, first 2 shown]
	v_cvt_f32_f16_e32 v144, v142
	v_cvt_f32_f16_sdwa v147, v13 dst_sel:DWORD dst_unused:UNUSED_PAD src0_sel:WORD_1
	s_waitcnt lgkmcnt(2)
	v_perm_b32 v142, v149, v148, s14
	s_waitcnt lgkmcnt(0)
	v_perm_b32 v143, v150, v143, s14
	s_nop 1
	v_mfma_f32_16x16x16f16 v[142:145], v[142:143], v[40:41], v[144:147]
	s_nop 6
	ds_read_u16 v146, v106 offset:3488
	ds_read_u16 v147, v107 offset:3696
	;; [unrolled: 1-line block ×4, first 2 shown]
	v_cvt_f16_f32_e32 v40, v143
	v_cvt_f16_f32_e32 v41, v144
	;; [unrolled: 1-line block ×4, first 2 shown]
	v_cvt_f32_f16_e32 v143, v40
	v_cvt_f32_f16_e32 v144, v41
	s_waitcnt lgkmcnt(0)
	v_perm_b32 v41, v149, v148, s14
	v_perm_b32 v40, v147, v146, s14
	v_cvt_f32_f16_e32 v142, v13
	v_cvt_f32_f16_e32 v145, v145
	s_nop 1
	v_mfma_f32_16x16x16f16 v[38:41], v[40:41], v[38:39], v[142:145]
	s_nop 6
	ds_read_u16 v142, v106 offset:6816
	ds_read_u16 v144, v107 offset:7024
	;; [unrolled: 1-line block ×4, first 2 shown]
	s_waitcnt lgkmcnt(2)
	v_perm_b32 v142, v144, v142, s14
	s_waitcnt lgkmcnt(0)
	v_perm_b32 v143, v145, v143, s14
	v_cvt_f16_f32_e32 v13, v38
	v_cvt_f16_f32_e32 v39, v39
	;; [unrolled: 1-line block ×4, first 2 shown]
	v_cvt_f32_f16_e32 v38, v13
	v_cvt_f32_f16_e32 v39, v39
	;; [unrolled: 1-line block ×4, first 2 shown]
	s_nop 1
	v_mfma_f32_16x16x16f16 v[36:39], v[142:143], v[36:37], v[38:41]
	s_nop 6
	ds_read_u16 v40, v106 offset:10144
	ds_read_u16 v142, v107 offset:10352
	ds_read_u16 v41, v131 offset:416
	ds_read_u16 v143, v108 offset:10144
	s_waitcnt lgkmcnt(0)
	s_barrier
	v_perm_b32 v40, v142, v40, s14
	v_perm_b32 v41, v143, v41, s14
	v_cvt_f16_f32_e32 v13, v36
	v_cvt_f16_f32_e32 v37, v37
	;; [unrolled: 1-line block ×4, first 2 shown]
	v_cvt_f32_f16_e32 v36, v13
	v_cvt_f32_f16_e32 v37, v37
	;; [unrolled: 1-line block ×4, first 2 shown]
	s_nop 1
	v_mfma_f32_16x16x16f16 v[36:39], v[40:41], v[14:15], v[36:39]
	s_nop 7
	s_nop 2
	v_cvt_f16_f32_e32 v13, v36
	v_cvt_f16_f32_e32 v14, v37
	;; [unrolled: 1-line block ×4, first 2 shown]
	v_pack_b32_f16 v38, v13, v14
	v_pack_b32_f16 v36, v15, v36
	s_cbranch_vccnz .LBB14_314
.LBB14_315:
	s_lshl_b32 s4, s72, 6
	s_ashr_i32 s5, s4, 31
	s_lshl_b64 s[12:13], s[4:5], 1
	s_add_u32 s0, s10, s12
	s_addc_u32 s2, s11, s13
	v_mov_b32_e32 v13, s2
	v_add_co_u32_e32 v37, vcc, s0, v88
	s_mul_i32 s0, s34, s5
	s_mul_hi_u32 s2, s34, s4
	v_addc_co_u32_e32 v13, vcc, 0, v13, vcc
	v_lshlrev_b64 v[14:15], 1, v[24:25]
	s_add_i32 s0, s2, s0
	s_mul_i32 s2, s3, s4
	v_add_co_u32_e32 v14, vcc, v37, v14
	s_add_i32 s3, s0, s2
	s_mul_i32 s2, s34, s4
	v_addc_co_u32_e32 v15, vcc, v13, v15, vcc
	v_lshlrev_b64 v[24:25], 1, v[28:29]
	s_lshl_b64 s[2:3], s[2:3], 2
	v_add_co_u32_e32 v24, vcc, v37, v24
	s_add_u32 s0, s8, s2
	v_addc_co_u32_e32 v25, vcc, v13, v25, vcc
	global_load_dword v37, v[14:15], off
	global_load_dword v39, v[24:25], off
	s_addc_u32 s2, s9, s3
	v_lshlrev_b64 v[14:15], 2, v[30:31]
	v_mov_b32_e32 v13, s2
	v_add_co_u32_e32 v14, vcc, s0, v14
	v_addc_co_u32_e32 v13, vcc, v13, v15, vcc
	v_lshlrev_b64 v[28:29], 2, v[22:23]
	v_add_co_u32_e32 v24, vcc, v14, v28
	v_addc_co_u32_e32 v25, vcc, v13, v29, vcc
	v_lshlrev_b64 v[14:15], 2, v[32:33]
	v_mov_b32_e32 v13, s2
	v_add_co_u32_e32 v23, vcc, s0, v14
	v_addc_co_u32_e32 v13, vcc, v13, v15, vcc
	v_lshlrev_b64 v[14:15], 2, v[26:27]
	v_add_co_u32_e32 v30, vcc, v23, v14
	v_addc_co_u32_e32 v31, vcc, v13, v15, vcc
	global_load_dwordx4 v[100:103], v[24:25], off
	global_load_dwordx4 v[104:107], v[30:31], off
	v_lshlrev_b64 v[24:25], 2, v[34:35]
	v_mov_b32_e32 v13, s2
	v_add_co_u32_e32 v23, vcc, s0, v24
	v_addc_co_u32_e32 v13, vcc, v13, v25, vcc
	v_add_co_u32_e32 v24, vcc, v23, v14
	v_addc_co_u32_e32 v25, vcc, v13, v15, vcc
	global_load_dwordx4 v[32:35], v[24:25], off
	v_add_u32_e32 v30, 0, v88
	v_lshlrev_b32_e32 v13, 2, v22
	v_lshlrev_b32_e32 v22, 2, v26
	v_add3_u32 v31, 0, v67, v68
	v_add_u32_e32 v23, v30, v72
	v_add_u32_e32 v24, v30, v73
	v_add3_u32 v13, 0, v74, v13
	v_add3_u32 v26, 0, v83, v22
	;; [unrolled: 1-line block ×3, first 2 shown]
	v_add_u32_e32 v40, 0x2000, v31
	v_cmp_lt_i32_e32 vcc, v82, v70
	s_mov_b32 s3, 0x3fb8aa3b
	s_mov_b32 s0, 0xc2ce8ed0
	;; [unrolled: 1-line block ×3, first 2 shown]
	s_mul_i32 s5, s30, s5
	s_mul_hi_u32 s8, s30, s4
	s_add_i32 s5, s8, s5
	s_mul_i32 s1, s1, s4
	s_add_i32 s5, s5, s1
	s_mul_i32 s4, s30, s4
	s_lshl_b64 s[4:5], s[4:5], 2
	s_add_u32 s1, s6, s4
	s_addc_u32 s4, s7, s5
	v_lshlrev_b64 v[16:17], 2, v[16:17]
	s_waitcnt vmcnt(4)
	ds_write_b32 v23, v37 offset:13312
	s_waitcnt vmcnt(3)
	ds_write_b32 v24, v39 offset:13312
	s_waitcnt vmcnt(2)
	ds_write_b128 v13, v[100:103]
	s_waitcnt vmcnt(1)
	ds_write_b128 v26, v[104:107]
	;; [unrolled: 2-line block ×3, first 2 shown]
	v_add_u32_e32 v37, 0x800, v31
	v_add_u32_e32 v39, 0x1800, v31
	s_waitcnt lgkmcnt(0)
	s_barrier
	ds_read2_b64 v[22:25], v31 offset1:4
	ds_read2_b64 v[86:89], v37 offset0:160 offset1:164
	ds_read2_b64 v[104:107], v39 offset0:64 offset1:68
	;; [unrolled: 1-line block ×3, first 2 shown]
	s_waitcnt lgkmcnt(3)
	v_mfma_f32_16x16x16f16 v[32:35], v[22:23], v[8:9], 0
	s_waitcnt lgkmcnt(2)
	v_mfma_f32_16x16x16f16 v[100:103], v[86:87], v[8:9], 0
	;; [unrolled: 2-line block ×4, first 2 shown]
	v_mfma_f32_16x16x16f16 v[22:25], v[24:25], v[10:11], v[32:35]
	v_mfma_f32_16x16x16f16 v[32:35], v[88:89], v[10:11], v[100:103]
	;; [unrolled: 1-line block ×3, first 2 shown]
	s_nop 5
	ds_read2_b64 v[100:103], v31 offset0:8 offset1:12
	ds_read2_b64 v[104:107], v37 offset0:168 offset1:172
	;; [unrolled: 1-line block ×3, first 2 shown]
	v_mfma_f32_16x16x16f16 v[8:11], v[114:115], v[10:11], v[116:119]
	ds_read2_b64 v[112:115], v40 offset0:232 offset1:236
	s_waitcnt lgkmcnt(3)
	v_mfma_f32_16x16x16f16 v[22:25], v[100:101], v[4:5], v[22:25]
	s_waitcnt lgkmcnt(2)
	v_mfma_f32_16x16x16f16 v[32:35], v[104:105], v[4:5], v[32:35]
	;; [unrolled: 2-line block ×4, first 2 shown]
	v_mfma_f32_16x16x16f16 v[100:103], v[102:103], v[6:7], v[22:25]
	v_mfma_f32_16x16x16f16 v[22:25], v[106:107], v[6:7], v[32:35]
	;; [unrolled: 1-line block ×3, first 2 shown]
	s_nop 6
	ds_read2_b64 v[86:89], v37 offset0:176 offset1:180
	v_mfma_f32_16x16x16f16 v[4:7], v[114:115], v[6:7], v[8:11]
	v_add_u32_e32 v37, 0, v75
	v_lshl_add_u32 v41, v77, 2, v37
	v_lshl_add_u32 v67, v78, 2, v37
	s_waitcnt lgkmcnt(0)
	v_mfma_f32_16x16x16f16 v[72:75], v[86:87], v[0:1], v[22:25]
	ds_read2_b64 v[104:107], v31 offset0:16 offset1:20
	ds_read2_b64 v[108:111], v39 offset0:80 offset1:84
	s_nop 4
	ds_read2_b64 v[22:25], v40 offset0:240 offset1:244
	v_lshl_add_u32 v8, v76, 2, v37
	v_lshl_add_u32 v9, v79, 2, v37
	;; [unrolled: 1-line block ×6, first 2 shown]
	s_waitcnt lgkmcnt(0)
	v_mfma_f32_16x16x16f16 v[4:7], v[22:23], v[0:1], v[4:7]
	s_barrier
	ds_read_b32 v37, v37 offset:13312
	ds_read_b32 v39, v41 offset:13312
	;; [unrolled: 1-line block ×8, first 2 shown]
	s_waitcnt lgkmcnt(7)
	v_cvt_f32_f16_e32 v10, v37
	v_mfma_f32_16x16x16f16 v[6:9], v[24:25], v[2:3], v[4:7]
	v_cvt_f32_f16_sdwa v11, v37 dst_sel:DWORD dst_unused:UNUSED_PAD src0_sel:WORD_1
	s_waitcnt lgkmcnt(0)
	v_cvt_f32_f16_e32 v22, v23
	v_cvt_f32_f16_sdwa v23, v23 dst_sel:DWORD dst_unused:UNUSED_PAD src0_sel:WORD_1
	s_nop 2
	v_cndmask_b32_e32 v4, v69, v82, vcc
	v_lshlrev_b32_e32 v25, 2, v4
	s_nop 1
	v_pk_add_f32 v[4:5], v[8:9], v[10:11]
	v_mfma_f32_16x16x16f16 v[8:11], v[108:109], v[0:1], v[32:35]
	v_pk_add_f32 v[6:7], v[6:7], v[22:23]
	v_cvt_f32_f16_e32 v22, v76
	v_cvt_f32_f16_sdwa v23, v76 dst_sel:DWORD dst_unused:UNUSED_PAD src0_sel:WORD_1
	v_add_f32_e32 v37, 0x40051340, v6
	v_add_f32_e32 v78, 0x40051340, v7
	s_nop 1
	v_cvt_f32_f16_e32 v32, v68
	v_cvt_f32_f16_sdwa v33, v68 dst_sel:DWORD dst_unused:UNUSED_PAD src0_sel:WORD_1
	v_mfma_f32_16x16x16f16 v[8:11], v[110:111], v[2:3], v[8:11]
	v_add_f32_e32 v24, 0x40051340, v4
	v_add_f32_e32 v31, 0x40051340, v5
	v_cmp_lt_i32_e32 vcc, v71, v70
	s_nop 7
	v_pk_add_f32 v[22:23], v[10:11], v[22:23]
	v_pk_add_f32 v[76:77], v[8:9], v[32:33]
	v_mfma_f32_16x16x16f16 v[8:11], v[88:89], v[2:3], v[72:75]
	v_cvt_f32_f16_e32 v32, v40
	v_cvt_f32_f16_sdwa v33, v40 dst_sel:DWORD dst_unused:UNUSED_PAD src0_sel:WORD_1
	v_cvt_f32_f16_e32 v40, v41
	v_cvt_f32_f16_sdwa v41, v41 dst_sel:DWORD dst_unused:UNUSED_PAD src0_sel:WORD_1
	v_add_f32_e32 v68, 0x40051340, v22
	s_nop 1
	v_cvt_f32_f16_e32 v72, v39
	v_cvt_f32_f16_sdwa v73, v39 dst_sel:DWORD dst_unused:UNUSED_PAD src0_sel:WORD_1
	s_nop 1
	v_pk_add_f32 v[10:11], v[10:11], v[32:33]
	v_mfma_f32_16x16x16f16 v[32:35], v[104:105], v[0:1], v[100:103]
	v_pk_add_f32 v[8:9], v[8:9], v[40:41]
	v_cvt_f32_f16_e32 v40, v67
	v_cvt_f32_f16_sdwa v41, v67 dst_sel:DWORD dst_unused:UNUSED_PAD src0_sel:WORD_1
	v_add_f32_e32 v82, 0x40051340, v8
	v_add_f32_e32 v83, 0x40051340, v9
	;; [unrolled: 1-line block ×4, first 2 shown]
	v_mfma_f32_16x16x16f16 v[0:3], v[106:107], v[2:3], v[32:35]
	v_add_f32_e32 v74, 0x40051340, v76
	v_add_f32_e32 v75, 0x40051340, v77
	;; [unrolled: 1-line block ×3, first 2 shown]
	s_nop 7
	v_pk_add_f32 v[0:1], v[0:1], v[72:73]
	v_pk_add_f32 v[2:3], v[2:3], v[40:41]
	v_add_f32_e32 v34, 0x40051340, v0
	v_add_f32_e32 v35, 0x40051340, v1
	;; [unrolled: 1-line block ×4, first 2 shown]
	v_max3_f32 v34, v12, v34, v35
	v_max3_f32 v32, v34, v32, v33
	;; [unrolled: 1-line block ×8, first 2 shown]
	ds_bpermute_b32 v32, v25, v24
	v_cndmask_b32_e32 v31, v69, v71, vcc
	v_lshlrev_b32_e32 v31, 2, v31
	v_mov_b32_e32 v75, 0x7f800000
	s_waitcnt lgkmcnt(0)
	v_max_f32_e32 v32, v32, v32
	v_max_f32_e32 v24, v24, v32
	ds_bpermute_b32 v32, v31, v24
	s_waitcnt lgkmcnt(0)
	v_max_f32_e32 v32, v32, v32
	v_max_f32_e32 v24, v24, v32
	v_pk_add_f32 v[0:1], v[0:1], v[24:25] op_sel_hi:[1,0] neg_lo:[0,1] neg_hi:[0,1]
	v_mul_f32_e32 v32, 0x3fb8aa3b, v1
	v_fma_f32 v33, v1, s3, -v32
	v_rndne_f32_e32 v34, v32
	v_fmac_f32_e32 v33, 0x32a5705f, v1
	v_sub_f32_e32 v32, v32, v34
	v_add_f32_e32 v32, v32, v33
	v_exp_f32_e32 v32, v32
	v_cvt_i32_f32_e32 v33, v34
	v_cmp_ngt_f32_e32 vcc, s0, v1
	v_pk_add_f32 v[2:3], v[2:3], v[24:25] op_sel_hi:[1,0] neg_lo:[0,1] neg_hi:[0,1]
	v_pk_add_f32 v[4:5], v[4:5], v[24:25] op_sel_hi:[1,0] neg_lo:[0,1] neg_hi:[0,1]
	v_ldexp_f32 v32, v32, v33
	v_mul_f32_e32 v33, 0x3fb8aa3b, v0
	v_fma_f32 v34, v0, s3, -v33
	v_rndne_f32_e32 v35, v33
	v_fmac_f32_e32 v34, 0x32a5705f, v0
	v_sub_f32_e32 v33, v33, v35
	v_add_f32_e32 v33, v33, v34
	v_exp_f32_e32 v33, v33
	v_cvt_i32_f32_e32 v34, v35
	v_cndmask_b32_e32 v32, 0, v32, vcc
	v_cmp_nlt_f32_e32 vcc, s2, v1
	v_cndmask_b32_e32 v32, v75, v32, vcc
	v_ldexp_f32 v1, v33, v34
	v_mul_f32_e32 v33, 0x3fb8aa3b, v3
	v_fma_f32 v34, v3, s3, -v33
	v_rndne_f32_e32 v35, v33
	v_fmac_f32_e32 v34, 0x32a5705f, v3
	v_sub_f32_e32 v33, v33, v35
	v_add_f32_e32 v33, v33, v34
	v_exp_f32_e32 v34, v33
	v_cvt_i32_f32_e32 v35, v35
	v_cmp_ngt_f32_e32 vcc, s0, v0
	v_cndmask_b32_e32 v1, 0, v1, vcc
	v_cmp_nlt_f32_e32 vcc, s2, v0
	v_cndmask_b32_e32 v33, v75, v1, vcc
	v_mul_f32_e32 v1, 0x3fb8aa3b, v2
	v_ldexp_f32 v0, v34, v35
	v_fma_f32 v34, v2, s3, -v1
	v_rndne_f32_e32 v35, v1
	v_fmac_f32_e32 v34, 0x32a5705f, v2
	v_sub_f32_e32 v1, v1, v35
	v_add_f32_e32 v1, v1, v34
	v_exp_f32_e32 v1, v1
	v_cvt_i32_f32_e32 v35, v35
	v_cmp_ngt_f32_e32 vcc, s0, v3
	v_cndmask_b32_e32 v0, 0, v0, vcc
	v_cmp_nlt_f32_e32 vcc, s2, v3
	v_cndmask_b32_e32 v34, v75, v0, vcc
	v_ldexp_f32 v3, v1, v35
	v_pk_add_f32 v[0:1], v[8:9], v[24:25] op_sel_hi:[1,0] neg_lo:[0,1] neg_hi:[0,1]
	v_mul_f32_e32 v8, 0x3fb8aa3b, v1
	v_fma_f32 v9, v1, s3, -v8
	v_rndne_f32_e32 v35, v8
	v_fmac_f32_e32 v9, 0x32a5705f, v1
	v_sub_f32_e32 v8, v8, v35
	v_add_f32_e32 v8, v8, v9
	v_exp_f32_e32 v8, v8
	v_cvt_i32_f32_e32 v9, v35
	v_cmp_ngt_f32_e32 vcc, s0, v2
	v_cndmask_b32_e32 v3, 0, v3, vcc
	v_cmp_nlt_f32_e32 vcc, s2, v2
	v_cndmask_b32_e32 v35, v75, v3, vcc
	v_mul_f32_e32 v3, 0x3fb8aa3b, v0
	v_ldexp_f32 v2, v8, v9
	v_fma_f32 v8, v0, s3, -v3
	v_rndne_f32_e32 v9, v3
	v_fmac_f32_e32 v8, 0x32a5705f, v0
	v_sub_f32_e32 v3, v3, v9
	v_add_f32_e32 v3, v3, v8
	v_exp_f32_e32 v3, v3
	v_cvt_i32_f32_e32 v8, v9
	v_cmp_ngt_f32_e32 vcc, s0, v1
	v_cndmask_b32_e32 v2, 0, v2, vcc
	v_cmp_nlt_f32_e32 vcc, s2, v1
	v_cndmask_b32_e32 v37, v75, v2, vcc
	v_ldexp_f32 v1, v3, v8
	v_pk_add_f32 v[2:3], v[10:11], v[24:25] op_sel_hi:[1,0] neg_lo:[0,1] neg_hi:[0,1]
	v_mul_f32_e32 v8, 0x3fb8aa3b, v3
	v_fma_f32 v9, v3, s3, -v8
	v_rndne_f32_e32 v10, v8
	v_fmac_f32_e32 v9, 0x32a5705f, v3
	v_sub_f32_e32 v8, v8, v10
	v_add_f32_e32 v8, v8, v9
	v_exp_f32_e32 v8, v8
	v_cvt_i32_f32_e32 v9, v10
	v_cmp_ngt_f32_e32 vcc, s0, v0
	v_cndmask_b32_e32 v1, 0, v1, vcc
	v_cmp_nlt_f32_e32 vcc, s2, v0
	v_cndmask_b32_e32 v40, v75, v1, vcc
	v_mul_f32_e32 v1, 0x3fb8aa3b, v2
	v_ldexp_f32 v0, v8, v9
	v_fma_f32 v8, v2, s3, -v1
	v_rndne_f32_e32 v9, v1
	v_fmac_f32_e32 v8, 0x32a5705f, v2
	v_sub_f32_e32 v1, v1, v9
	v_add_f32_e32 v1, v1, v8
	v_exp_f32_e32 v1, v1
	v_cvt_i32_f32_e32 v8, v9
	v_cmp_ngt_f32_e32 vcc, s0, v3
	v_cndmask_b32_e32 v0, 0, v0, vcc
	v_cmp_nlt_f32_e32 vcc, s2, v3
	v_cndmask_b32_e32 v39, v75, v0, vcc
	v_ldexp_f32 v3, v1, v8
	v_pk_add_f32 v[0:1], v[76:77], v[24:25] op_sel_hi:[1,0] neg_lo:[0,1] neg_hi:[0,1]
	v_mul_f32_e32 v8, 0x3fb8aa3b, v1
	v_fma_f32 v9, v1, s3, -v8
	v_rndne_f32_e32 v10, v8
	v_fmac_f32_e32 v9, 0x32a5705f, v1
	v_sub_f32_e32 v8, v8, v10
	v_add_f32_e32 v8, v8, v9
	v_exp_f32_e32 v8, v8
	v_cvt_i32_f32_e32 v9, v10
	v_cmp_ngt_f32_e32 vcc, s0, v2
	v_cndmask_b32_e32 v3, 0, v3, vcc
	v_cmp_nlt_f32_e32 vcc, s2, v2
	v_cndmask_b32_e32 v41, v75, v3, vcc
	v_mul_f32_e32 v3, 0x3fb8aa3b, v0
	v_ldexp_f32 v2, v8, v9
	v_fma_f32 v8, v0, s3, -v3
	v_rndne_f32_e32 v9, v3
	v_fmac_f32_e32 v8, 0x32a5705f, v0
	v_sub_f32_e32 v3, v3, v9
	v_add_f32_e32 v3, v3, v8
	v_exp_f32_e32 v3, v3
	v_cvt_i32_f32_e32 v8, v9
	v_cmp_ngt_f32_e32 vcc, s0, v1
	v_cndmask_b32_e32 v2, 0, v2, vcc
	v_cmp_nlt_f32_e32 vcc, s2, v1
	v_cndmask_b32_e32 v67, v75, v2, vcc
	v_ldexp_f32 v1, v3, v8
	v_pk_add_f32 v[2:3], v[22:23], v[24:25] op_sel_hi:[1,0] neg_lo:[0,1] neg_hi:[0,1]
	v_mul_f32_e32 v8, 0x3fb8aa3b, v3
	v_fma_f32 v9, v3, s3, -v8
	v_rndne_f32_e32 v10, v8
	v_fmac_f32_e32 v9, 0x32a5705f, v3
	v_sub_f32_e32 v8, v8, v10
	v_add_f32_e32 v8, v8, v9
	v_exp_f32_e32 v8, v8
	v_cvt_i32_f32_e32 v9, v10
	v_cmp_ngt_f32_e32 vcc, s0, v0
	v_cndmask_b32_e32 v1, 0, v1, vcc
	v_cmp_nlt_f32_e32 vcc, s2, v0
	v_cndmask_b32_e32 v68, v75, v1, vcc
	v_mul_f32_e32 v1, 0x3fb8aa3b, v2
	v_ldexp_f32 v0, v8, v9
	v_fma_f32 v8, v2, s3, -v1
	v_rndne_f32_e32 v9, v1
	v_fmac_f32_e32 v8, 0x32a5705f, v2
	v_sub_f32_e32 v1, v1, v9
	v_add_f32_e32 v1, v1, v8
	v_exp_f32_e32 v1, v1
	v_cvt_i32_f32_e32 v8, v9
	v_cmp_ngt_f32_e32 vcc, s0, v3
	v_cndmask_b32_e32 v0, 0, v0, vcc
	v_cmp_nlt_f32_e32 vcc, s2, v3
	v_pk_add_f32 v[10:11], v[6:7], v[24:25] op_sel_hi:[1,0] neg_lo:[0,1] neg_hi:[0,1]
	v_cndmask_b32_e32 v69, v75, v0, vcc
	v_ldexp_f32 v0, v1, v8
	v_mul_f32_e32 v1, 0x3fb8aa3b, v11
	v_fma_f32 v3, v11, s3, -v1
	v_rndne_f32_e32 v6, v1
	v_fmac_f32_e32 v3, 0x32a5705f, v11
	v_sub_f32_e32 v1, v1, v6
	v_add_f32_e32 v1, v1, v3
	v_exp_f32_e32 v1, v1
	v_cvt_i32_f32_e32 v3, v6
	v_cmp_ngt_f32_e32 vcc, s0, v2
	v_cndmask_b32_e32 v0, 0, v0, vcc
	v_cmp_nlt_f32_e32 vcc, s2, v2
	v_cndmask_b32_e32 v70, v75, v0, vcc
	v_ldexp_f32 v22, v1, v3
	v_lshlrev_b64 v[0:1], 2, v[18:19]
	v_mov_b32_e32 v2, s4
	v_add_co_u32_e32 v0, vcc, s1, v0
	v_addc_co_u32_e32 v1, vcc, v2, v1, vcc
	v_add_co_u32_e32 v18, vcc, v0, v28
	v_addc_co_u32_e32 v19, vcc, v1, v29, vcc
	v_lshlrev_b64 v[0:1], 2, v[20:21]
	v_add_co_u32_e32 v0, vcc, s1, v0
	v_addc_co_u32_e32 v1, vcc, v2, v1, vcc
	v_add_co_u32_e32 v20, vcc, v0, v14
	v_addc_co_u32_e32 v21, vcc, v1, v15, vcc
	global_load_dwordx4 v[0:3], v[18:19], off
	global_load_dwordx4 v[6:9], v[20:21], off
	v_mov_b32_e32 v18, s4
	v_add_co_u32_e32 v16, vcc, s1, v16
	v_addc_co_u32_e32 v17, vcc, v18, v17, vcc
	v_add_co_u32_e32 v14, vcc, v16, v14
	v_addc_co_u32_e32 v15, vcc, v17, v15, vcc
	global_load_dwordx4 v[76:79], v[14:15], off
	v_mul_f32_e32 v23, 0x3fb8aa3b, v10
	v_fma_f32 v14, v10, s3, -v23
	v_rndne_f32_e32 v15, v23
	v_fmac_f32_e32 v14, 0x32a5705f, v10
	v_sub_f32_e32 v16, v23, v15
	v_add_f32_e32 v14, v16, v14
	v_exp_f32_e32 v14, v14
	v_cvt_i32_f32_e32 v15, v15
	v_cmp_ngt_f32_e32 vcc, s0, v11
	v_cndmask_b32_e32 v16, 0, v22, vcc
	v_cmp_nlt_f32_e32 vcc, s2, v11
	v_ldexp_f32 v11, v14, v15
	v_mul_f32_e32 v14, 0x3fb8aa3b, v5
	v_cndmask_b32_e32 v71, v75, v16, vcc
	v_fma_f32 v15, v5, s3, -v14
	v_rndne_f32_e32 v16, v14
	v_fmac_f32_e32 v15, 0x32a5705f, v5
	v_sub_f32_e32 v14, v14, v16
	v_add_f32_e32 v14, v14, v15
	v_exp_f32_e32 v14, v14
	v_cvt_i32_f32_e32 v15, v16
	v_cmp_ngt_f32_e32 vcc, s0, v10
	v_cndmask_b32_e32 v11, 0, v11, vcc
	v_cmp_nlt_f32_e32 vcc, s2, v10
	v_cndmask_b32_e32 v72, v75, v11, vcc
	v_mul_f32_e32 v11, 0x3fb8aa3b, v4
	v_ldexp_f32 v10, v14, v15
	v_fma_f32 v14, v4, s3, -v11
	v_rndne_f32_e32 v15, v11
	v_fmac_f32_e32 v14, 0x32a5705f, v4
	v_sub_f32_e32 v11, v11, v15
	v_sub_f32_e32 v12, v12, v24
	v_add_f32_e32 v11, v11, v14
	v_cvt_i32_f32_e32 v14, v15
	v_mul_f32_e32 v15, 0x3fb8aa3b, v12
	v_fma_f32 v16, v12, s3, -v15
	v_rndne_f32_e32 v17, v15
	v_fmac_f32_e32 v16, 0x32a5705f, v12
	v_sub_f32_e32 v15, v15, v17
	v_add_f32_e32 v15, v15, v16
	v_exp_f32_e32 v15, v15
	v_cvt_i32_f32_e32 v16, v17
	v_cmp_ngt_f32_e32 vcc, s0, v5
	v_cndmask_b32_e32 v10, 0, v10, vcc
	v_cmp_nlt_f32_e32 vcc, s2, v5
	v_cndmask_b32_e32 v73, v75, v10, vcc
	v_ldexp_f32 v10, v15, v16
	v_cmp_ngt_f32_e32 vcc, s0, v12
	v_exp_f32_e32 v11, v11
	v_cndmask_b32_e32 v10, 0, v10, vcc
	v_cmp_nlt_f32_e32 vcc, s2, v12
	s_mov_b32 s1, 0xc1a00000
	v_cndmask_b32_e32 v10, v75, v10, vcc
	v_cmp_le_f32_e32 vcc, s1, v12
	v_cndmask_b32_e32 v74, 0, v10, vcc
	v_cvt_f16_f32_e32 v16, v74
	v_cvt_f16_f32_e32 v17, v37
	;; [unrolled: 1-line block ×3, first 2 shown]
	v_ldexp_f32 v5, v11, v14
	v_cvt_f16_f32_e32 v11, v32
	v_cvt_f16_f32_e32 v12, v33
	;; [unrolled: 1-line block ×6, first 2 shown]
	v_cmp_ngt_f32_e32 vcc, s0, v4
	v_cndmask_b32_e32 v5, 0, v5, vcc
	v_cmp_nlt_f32_e32 vcc, s2, v4
	v_cndmask_b32_e32 v75, v75, v5, vcc
	v_pk_mul_f16 v5, v16, v140 op_sel_hi:[0,1]
	v_pack_b32_f16 v20, v18, v17
	v_lshl_add_u32 v18, v62, 1, 0
	v_lshl_add_u32 v62, v64, 1, 0
	v_pack_b32_f16 v22, v12, v11
	v_pack_b32_f16 v23, v15, v14
	;; [unrolled: 1-line block ×3, first 2 shown]
	s_waitcnt vmcnt(2)
	ds_write_b128 v13, v[0:3]
	s_waitcnt vmcnt(1)
	ds_write_b128 v26, v[6:9]
	;; [unrolled: 2-line block ×3, first 2 shown]
	s_waitcnt lgkmcnt(0)
	s_barrier
	v_add3_u32 v19, 0, v63, v61
	v_add3_u32 v17, 0, v65, v61
	v_cvt_f32_f16_e32 v0, v5
	v_cvt_f32_f16_sdwa v1, v5 dst_sel:DWORD dst_unused:UNUSED_PAD src0_sel:WORD_1
	s_mov_b32 s0, 0x5040100
	ds_read_u16 v12, v62 offset:3360
	ds_read_u16 v13, v17 offset:3360
	ds_read_u16 v3, v62
	ds_read_u16 v5, v62 offset:32
	ds_read_u16 v14, v62 offset:64
	;; [unrolled: 1-line block ×4, first 2 shown]
	ds_read_u16 v6, v17
	ds_read_u16 v9, v17 offset:32
	ds_read_u16 v63, v17 offset:64
	;; [unrolled: 1-line block ×8, first 2 shown]
	s_waitcnt lgkmcnt(8)
	v_perm_b32 v7, v6, v3, s0
	ds_read_u16 v65, v18 offset:3360
	ds_read_u16 v76, v19 offset:3568
	ds_read_u16 v3, v18
	ds_read_u16 v77, v18 offset:32
	ds_read_u16 v78, v18 offset:64
	;; [unrolled: 1-line block ×13, first 2 shown]
	v_pk_mul_f16 v10, v16, v139 op_sel_hi:[0,1]
	s_waitcnt lgkmcnt(8)
	v_perm_b32 v6, v6, v3, s0
	v_cvt_f32_f16_e32 v2, v10
	v_cvt_f32_f16_sdwa v3, v10 dst_sel:DWORD dst_unused:UNUSED_PAD src0_sel:WORD_1
	v_cvt_f16_f32_e32 v11, v67
	v_cvt_f16_f32_e32 v10, v68
	v_mfma_f32_16x16x16f16 v[0:3], v[6:7], v[22:23], v[0:3]
	v_perm_b32 v7, v26, v8, s0
	s_waitcnt lgkmcnt(1)
	v_perm_b32 v6, v28, v27, s0
	v_cvt_f16_f32_e32 v29, v69
	v_cvt_f16_f32_e32 v90, v70
	v_pack_b32_f16 v26, v10, v11
	v_cvt_f16_f32_e32 v8, v71
	v_cvt_f16_f32_e32 v111, v75
	s_nop 2
	v_cvt_f16_f32_e32 v0, v0
	v_cvt_f16_f32_e32 v1, v1
	;; [unrolled: 1-line block ×4, first 2 shown]
	v_cvt_f32_f16_e32 v0, v0
	v_cvt_f32_f16_e32 v1, v1
	;; [unrolled: 1-line block ×4, first 2 shown]
	v_pack_b32_f16 v27, v90, v29
	v_cvt_f16_f32_e32 v29, v73
	v_mfma_f32_16x16x16f16 v[0:3], v[6:7], v[20:21], v[0:3]
	ds_read_u16 v6, v62 offset:6656
	ds_read_u16 v10, v62 offset:6688
	;; [unrolled: 1-line block ×10, first 2 shown]
	s_waitcnt lgkmcnt(5)
	v_perm_b32 v7, v7, v6, s0
	ds_read_u16 v6, v18 offset:6656
	ds_read_u16 v103, v18 offset:6688
	;; [unrolled: 1-line block ×10, first 2 shown]
	s_waitcnt lgkmcnt(5)
	v_perm_b32 v6, v28, v6, s0
	v_cvt_f16_f32_e32 v28, v72
	v_pk_mul_f16 v4, v16, v141 op_sel_hi:[0,1]
	v_pack_b32_f16 v29, v111, v29
	v_cvt_f16_f32_e32 v0, v0
	v_cvt_f16_f32_e32 v1, v1
	;; [unrolled: 1-line block ×4, first 2 shown]
	v_cvt_f32_f16_e32 v0, v0
	v_cvt_f32_f16_e32 v1, v1
	;; [unrolled: 1-line block ×4, first 2 shown]
	v_pack_b32_f16 v28, v28, v8
	v_pk_mul_f16 v91, v16, v91 op_sel_hi:[0,1]
	v_mfma_f32_16x16x16f16 v[0:3], v[6:7], v[26:27], v[0:3]
	ds_read_u16 v112, v62 offset:10016
	ds_read_u16 v113, v62 offset:10048
	;; [unrolled: 1-line block ×14, first 2 shown]
	s_waitcnt lgkmcnt(6)
	v_perm_b32 v7, v7, v6, s0
	ds_read_u16 v124, v18 offset:10016
	ds_read_u16 v125, v18 offset:10048
	;; [unrolled: 1-line block ×14, first 2 shown]
	s_waitcnt lgkmcnt(6)
	v_perm_b32 v6, v130, v6, s0
	v_perm_b32 v5, v9, v5, s0
	v_cvt_f32_f16_e32 v8, v91
	v_cvt_f32_f16_sdwa v9, v91 dst_sel:DWORD dst_unused:UNUSED_PAD src0_sel:WORD_1
	v_cvt_f16_f32_e32 v0, v0
	v_cvt_f16_f32_e32 v1, v1
	;; [unrolled: 1-line block ×4, first 2 shown]
	v_cvt_f32_f16_e32 v0, v0
	v_cvt_f32_f16_e32 v1, v1
	;; [unrolled: 1-line block ×4, first 2 shown]
	v_add_f32_e32 v32, v33, v32
	s_mov_b32 s1, 0
	v_mfma_f32_16x16x16f16 v[0:3], v[6:7], v[28:29], v[0:3]
	v_cvt_f32_f16_e32 v6, v4
	v_cvt_f32_f16_sdwa v7, v4 dst_sel:DWORD dst_unused:UNUSED_PAD src0_sel:WORD_1
	v_perm_b32 v4, v84, v77, s0
	v_cmp_gt_u32_e32 vcc, 16, v50
	s_nop 0
	v_mfma_f32_16x16x16f16 v[4:7], v[4:5], v[22:23], v[6:9]
	s_nop 6
	v_perm_b32 v9, v13, v12, s0
	s_nop 2
	v_cvt_f16_f32_e32 v4, v4
	v_cvt_f16_f32_e32 v5, v5
	;; [unrolled: 1-line block ×4, first 2 shown]
	v_perm_b32 v8, v76, v65, s0
	v_cvt_f32_f16_e32 v4, v4
	v_cvt_f32_f16_e32 v5, v5
	;; [unrolled: 1-line block ×4, first 2 shown]
	v_perm_b32 v13, v63, v14, s0
	v_perm_b32 v12, v85, v78, s0
	v_mfma_f32_16x16x16f16 v[4:7], v[8:9], v[20:21], v[4:7]
	v_perm_b32 v9, v11, v10, s0
	v_perm_b32 v8, v106, v103, s0
	v_pk_mul_f16 v10, v16, v93 op_sel_hi:[0,1]
	v_pk_mul_f16 v11, v16, v92 op_sel_hi:[0,1]
	ds_read_u16 v65, v18 offset:3392
	ds_read_u16 v76, v18 offset:3424
	;; [unrolled: 1-line block ×6, first 2 shown]
	s_nop 0
	v_cvt_f16_f32_e32 v4, v4
	v_cvt_f16_f32_e32 v5, v5
	;; [unrolled: 1-line block ×4, first 2 shown]
	v_cvt_f32_f16_e32 v4, v4
	v_cvt_f32_f16_e32 v5, v5
	;; [unrolled: 1-line block ×4, first 2 shown]
	s_nop 1
	v_mfma_f32_16x16x16f16 v[4:7], v[8:9], v[26:27], v[4:7]
	v_perm_b32 v9, v118, v112, s0
	s_waitcnt lgkmcnt(11)
	v_perm_b32 v8, v131, v124, s0
	ds_read_u16 v106, v62 offset:3392
	ds_read_u16 v111, v62 offset:3424
	;; [unrolled: 1-line block ×6, first 2 shown]
	s_nop 1
	v_cvt_f16_f32_e32 v4, v4
	v_cvt_f16_f32_e32 v5, v5
	;; [unrolled: 1-line block ×4, first 2 shown]
	v_cvt_f32_f16_e32 v4, v4
	v_cvt_f32_f16_e32 v5, v5
	;; [unrolled: 1-line block ×4, first 2 shown]
	s_nop 1
	v_mfma_f32_16x16x16f16 v[4:7], v[8:9], v[28:29], v[4:7]
	v_cvt_f32_f16_e32 v8, v10
	v_cvt_f32_f16_sdwa v9, v10 dst_sel:DWORD dst_unused:UNUSED_PAD src0_sel:WORD_1
	v_cvt_f32_f16_e32 v10, v11
	v_cvt_f32_f16_sdwa v11, v11 dst_sel:DWORD dst_unused:UNUSED_PAD src0_sel:WORD_1
	s_nop 1
	v_mfma_f32_16x16x16f16 v[8:11], v[12:13], v[22:23], v[8:11]
	s_waitcnt lgkmcnt(2)
	v_perm_b32 v13, v14, v106, s0
	v_perm_b32 v12, v77, v65, s0
	v_pk_mul_f16 v14, v16, v95 op_sel_hi:[0,1]
	v_pk_mul_f16 v77, v16, v94 op_sel_hi:[0,1]
	v_perm_b32 v65, v64, v15, s0
	v_perm_b32 v64, v86, v82, s0
	v_cvt_f32_f16_sdwa v15, v77 dst_sel:DWORD dst_unused:UNUSED_PAD src0_sel:WORD_1
	s_nop 2
	v_cvt_f16_f32_e32 v8, v8
	v_cvt_f16_f32_e32 v9, v9
	;; [unrolled: 1-line block ×4, first 2 shown]
	v_cvt_f32_f16_e32 v8, v8
	v_cvt_f32_f16_e32 v9, v9
	;; [unrolled: 1-line block ×4, first 2 shown]
	v_pk_mul_f16 v82, v16, v98 op_sel_hi:[0,1]
	v_cvt_f32_f16_e32 v78, v82
	v_mfma_f32_16x16x16f16 v[8:11], v[12:13], v[20:21], v[8:11]
	v_perm_b32 v13, v97, v90, s0
	v_perm_b32 v12, v107, v104, s0
	s_nop 7
	s_nop 0
	v_cvt_f16_f32_e32 v8, v8
	v_cvt_f16_f32_e32 v9, v9
	;; [unrolled: 1-line block ×4, first 2 shown]
	v_cvt_f32_f16_e32 v8, v8
	v_cvt_f32_f16_e32 v9, v9
	;; [unrolled: 1-line block ×4, first 2 shown]
	s_nop 1
	v_mfma_f32_16x16x16f16 v[8:11], v[12:13], v[26:27], v[8:11]
	v_perm_b32 v13, v119, v113, s0
	v_perm_b32 v12, v132, v125, s0
	s_nop 7
	s_nop 0
	v_cvt_f16_f32_e32 v8, v8
	v_cvt_f16_f32_e32 v9, v9
	;; [unrolled: 1-line block ×4, first 2 shown]
	v_cvt_f32_f16_e32 v8, v8
	v_cvt_f32_f16_e32 v9, v9
	v_cvt_f32_f16_e32 v10, v10
	v_cvt_f32_f16_e32 v11, v11
	s_nop 1
	v_mfma_f32_16x16x16f16 v[8:11], v[12:13], v[28:29], v[8:11]
	v_cvt_f32_f16_e32 v12, v14
	v_cvt_f32_f16_sdwa v13, v14 dst_sel:DWORD dst_unused:UNUSED_PAD src0_sel:WORD_1
	v_cvt_f32_f16_e32 v14, v77
	s_nop 1
	v_mfma_f32_16x16x16f16 v[12:15], v[64:65], v[22:23], v[12:15]
	s_waitcnt lgkmcnt(1)
	v_perm_b32 v65, v63, v111, s0
	v_perm_b32 v64, v91, v76, s0
	v_pk_mul_f16 v63, v16, v99 op_sel_hi:[0,1]
	v_cvt_f32_f16_e32 v76, v63
	v_cvt_f32_f16_sdwa v77, v63 dst_sel:DWORD dst_unused:UNUSED_PAD src0_sel:WORD_1
	s_nop 4
	v_cvt_f16_f32_e32 v12, v12
	v_cvt_f16_f32_e32 v13, v13
	;; [unrolled: 1-line block ×4, first 2 shown]
	v_cvt_f32_f16_e32 v12, v12
	v_cvt_f32_f16_e32 v13, v13
	;; [unrolled: 1-line block ×4, first 2 shown]
	s_nop 1
	v_mfma_f32_16x16x16f16 v[12:15], v[64:65], v[20:21], v[12:15]
	v_perm_b32 v65, v100, v96, s0
	v_perm_b32 v64, v108, v105, s0
	s_nop 7
	s_nop 0
	v_cvt_f16_f32_e32 v12, v12
	v_cvt_f16_f32_e32 v13, v13
	v_cvt_f16_f32_e32 v14, v14
	v_cvt_f16_f32_e32 v15, v15
	v_cvt_f32_f16_e32 v12, v12
	v_cvt_f32_f16_e32 v13, v13
	;; [unrolled: 1-line block ×4, first 2 shown]
	s_nop 1
	v_mfma_f32_16x16x16f16 v[12:15], v[64:65], v[26:27], v[12:15]
	v_perm_b32 v65, v120, v114, s0
	v_perm_b32 v64, v133, v126, s0
	s_nop 7
	s_nop 0
	v_cvt_f16_f32_e32 v12, v12
	v_cvt_f16_f32_e32 v13, v13
	;; [unrolled: 1-line block ×4, first 2 shown]
	v_cvt_f32_f16_e32 v12, v12
	v_cvt_f32_f16_e32 v13, v13
	;; [unrolled: 1-line block ×4, first 2 shown]
	s_nop 1
	v_mfma_f32_16x16x16f16 v[12:15], v[64:65], v[28:29], v[12:15]
	v_perm_b32 v65, v79, v61, s0
	v_perm_b32 v64, v87, v83, s0
	v_cvt_f32_f16_sdwa v79, v82 dst_sel:DWORD dst_unused:UNUSED_PAD src0_sel:WORD_1
	ds_read_u16 v61, v18 offset:6784
	ds_read_u16 v82, v19 offset:6992
	;; [unrolled: 1-line block ×4, first 2 shown]
	s_waitcnt lgkmcnt(0)
	s_barrier
	v_mfma_f32_16x16x16f16 v[62:65], v[64:65], v[22:23], v[76:79]
	s_barrier
	s_nop 7
	s_nop 1
	v_cvt_f16_f32_e32 v18, v62
	v_cvt_f16_f32_e32 v19, v63
	;; [unrolled: 1-line block ×4, first 2 shown]
	v_cvt_f32_f16_e32 v62, v18
	v_cvt_f32_f16_e32 v63, v19
	v_perm_b32 v19, v85, v112, s0
	v_perm_b32 v18, v103, v84, s0
	v_cvt_f32_f16_e32 v64, v64
	v_cvt_f32_f16_e32 v65, v65
	s_nop 1
	v_mfma_f32_16x16x16f16 v[62:65], v[18:19], v[20:21], v[62:65]
	s_nop 7
	s_nop 2
	v_cvt_f16_f32_e32 v18, v62
	v_cvt_f16_f32_e32 v19, v63
	;; [unrolled: 1-line block ×4, first 2 shown]
	v_cvt_f32_f16_e32 v62, v18
	v_cvt_f32_f16_e32 v63, v19
	v_perm_b32 v19, v17, v83, s0
	v_perm_b32 v18, v82, v61, s0
	v_cvt_f32_f16_e32 v64, v33
	v_cvt_f32_f16_e32 v65, v65
	v_add_f32_e32 v17, v35, v32
	v_add_f32_e32 v17, v34, v17
	v_mfma_f32_16x16x16f16 v[32:35], v[18:19], v[26:27], v[62:65]
	v_add_f32_e32 v17, v40, v17
	v_add_f32_e32 v40, v37, v17
	v_pk_mul_f16 v37, v16, v38 op_sel_hi:[0,1]
	v_pk_mul_f16 v38, v16, v36 op_sel_hi:[0,1]
	v_perm_b32 v36, v89, v88, s0
	s_nop 5
	v_cvt_f16_f32_e32 v18, v32
	v_cvt_f16_f32_e32 v19, v33
	;; [unrolled: 1-line block ×4, first 2 shown]
	v_cvt_f32_f16_e32 v32, v18
	v_cvt_f32_f16_e32 v33, v19
	v_perm_b32 v19, v121, v115, s0
	v_perm_b32 v18, v134, v127, s0
	v_cvt_f32_f16_e32 v34, v34
	v_cvt_f32_f16_e32 v35, v35
	s_nop 1
	v_mfma_f32_16x16x16f16 v[16:19], v[18:19], v[28:29], v[32:35]
	s_nop 6
	v_cvt_f32_f16_e32 v32, v37
	v_cvt_f32_f16_sdwa v33, v37 dst_sel:DWORD dst_unused:UNUSED_PAD src0_sel:WORD_1
	v_perm_b32 v37, v81, v80, s0
	v_cvt_f32_f16_e32 v34, v38
	v_cvt_f32_f16_sdwa v35, v38 dst_sel:DWORD dst_unused:UNUSED_PAD src0_sel:WORD_1
	v_add_f32_e32 v38, v41, v40
	v_add_f32_e32 v38, v39, v38
	v_mfma_f32_16x16x16f16 v[32:35], v[36:37], v[22:23], v[32:35]
	v_add_f32_e32 v38, v68, v38
	v_add_f32_e32 v36, v67, v38
	;; [unrolled: 1-line block ×4, first 2 shown]
	s_nop 6
	v_cvt_f16_f32_e32 v22, v32
	v_cvt_f16_f32_e32 v23, v33
	;; [unrolled: 1-line block ×4, first 2 shown]
	v_cvt_f32_f16_e32 v32, v22
	v_cvt_f32_f16_e32 v33, v23
	v_perm_b32 v23, v102, v101, s0
	v_perm_b32 v22, v110, v109, s0
	v_cvt_f32_f16_e32 v34, v34
	v_cvt_f32_f16_e32 v35, v35
	s_nop 1
	v_mfma_f32_16x16x16f16 v[20:23], v[22:23], v[20:21], v[32:35]
	s_nop 6
	v_perm_b32 v33, v123, v117, s0
	s_nop 2
	v_cvt_f16_f32_e32 v20, v20
	v_cvt_f16_f32_e32 v21, v21
	v_cvt_f16_f32_e32 v22, v22
	v_cvt_f16_f32_e32 v23, v23
	v_perm_b32 v32, v136, v129, s0
	v_cvt_f32_f16_e32 v20, v20
	v_cvt_f32_f16_e32 v21, v21
	;; [unrolled: 1-line block ×4, first 2 shown]
	v_add_f32_e32 v34, v72, v36
	v_add_f32_e32 v34, v71, v34
	v_mfma_f32_16x16x16f16 v[20:23], v[32:33], v[26:27], v[20:23]
	v_add_f32_e32 v34, v75, v34
	v_perm_b32 v27, v122, v116, s0
	v_perm_b32 v26, v135, v128, s0
	v_add_f32_e32 v32, v73, v34
	v_fmac_f32_e32 v32, v66, v74
	ds_bpermute_b32 v25, v25, v32
	s_nop 4
	v_cvt_f16_f32_e32 v20, v20
	v_cvt_f16_f32_e32 v21, v21
	;; [unrolled: 1-line block ×4, first 2 shown]
	v_cvt_f32_f16_e32 v20, v20
	v_cvt_f32_f16_e32 v21, v21
	;; [unrolled: 1-line block ×4, first 2 shown]
	s_waitcnt lgkmcnt(0)
	v_add_f32_e32 v25, v32, v25
	v_mfma_f32_16x16x16f16 v[20:23], v[26:27], v[28:29], v[20:23]
	ds_bpermute_b32 v26, v31, v25
	s_and_saveexec_b64 s[2:3], vcc
	v_readlane_b32 s6, v217, 8
	s_cbranch_execz .LBB14_317
; %bb.316:
	v_readlane_b32 s0, v217, 11
	s_add_i32 s0, s0, s6
	s_lshl_b32 s0, s0, 6
	s_lshl_b64 s[4:5], s[0:1], 3
	s_add_u32 s0, s26, s4
	v_or_b32_e32 v28, v60, v50
	v_mov_b32_e32 v29, 0
	s_addc_u32 s4, s27, s5
	v_lshlrev_b64 v[28:29], 3, v[28:29]
	v_mov_b32_e32 v27, s4
	v_add_co_u32_e32 v28, vcc, s0, v28
	v_addc_co_u32_e32 v29, vcc, v27, v29, vcc
	s_waitcnt lgkmcnt(0)
	v_add_f32_e32 v25, v25, v26
	global_store_dwordx2 v[28:29], v[24:25], off
.LBB14_317:
	s_or_b64 exec, exec, s[2:3]
	v_cvt_f16_f32_e32 v0, v0
	v_cvt_f16_f32_e32 v2, v2
	;; [unrolled: 1-line block ×4, first 2 shown]
	v_readlane_b32 s4, v217, 4
	v_cvt_f16_f32_e32 v9, v9
	v_pack_b32_f16 v2, v2, v3
	v_pack_b32_f16 v0, v0, v1
	v_cvt_f16_f32_e32 v1, v4
	v_cvt_f16_f32_e32 v3, v5
	;; [unrolled: 1-line block ×7, first 2 shown]
	v_readlane_b32 s5, v217, 5
	s_load_dword s0, s[4:5], 0x0
	s_load_dword s2, s[4:5], 0x10
	v_pack_b32_f16 v4, v4, v5
	v_pack_b32_f16 v1, v1, v3
	v_pack_b32_f16 v3, v7, v8
	v_pack_b32_f16 v5, v6, v9
	v_cvt_f16_f32_e32 v6, v12
	v_cvt_f16_f32_e32 v7, v13
	;; [unrolled: 1-line block ×4, first 2 shown]
	s_waitcnt lgkmcnt(0)
	s_lshr_b32 s2, s2, 16
	v_cvt_f16_f32_e32 v8, v14
	v_cvt_f16_f32_e32 v9, v15
	;; [unrolled: 1-line block ×4, first 2 shown]
	s_cmp_lg_u32 s2, 0
	v_pack_b32_f16 v6, v6, v7
	v_pack_b32_f16 v7, v11, v12
	v_cvt_f16_f32_e32 v11, v22
	v_cvt_f16_f32_e32 v12, v23
	s_cselect_b64 s[2:3], -1, 0
	s_cmp_lg_u64 s[2:3], 0
	s_addc_u32 s0, s0, 0
	v_pack_b32_f16 v8, v8, v9
	v_pack_b32_f16 v9, v10, v13
	v_cvt_f16_f32_e32 v10, v20
	v_cvt_f16_f32_e32 v13, v21
	s_lshl_b32 s0, s0, 7
	v_pack_b32_f16 v11, v11, v12
	v_or_b32_e32 v12, v60, v53
	s_lshl_b64 s[2:3], s[0:1], 3
	v_mad_i32_i24 v12, v12, 52, v47
	s_add_u32 s2, s26, s2
	s_mul_i32 s0, s6, 0xc00
	s_addc_u32 s3, s27, s3
	s_lshl_b64 s[0:1], s[0:1], 3
	v_lshl_add_u32 v12, v12, 2, 0
	v_pack_b32_f16 v10, v10, v13
	s_add_u32 s0, s2, s0
	ds_write2_b32 v12, v0, v2 offset1:1
	ds_write2_b32 v12, v1, v4 offset0:8 offset1:9
	ds_write2_b32 v12, v5, v3 offset0:16 offset1:17
	;; [unrolled: 1-line block ×5, first 2 shown]
	v_and_b32_e32 v4, 15, v46
	s_movk_i32 s2, 0x1ff0
	v_and_or_b32 v5, v49, s2, v4
	v_and_or_b32 v7, v52, s2, v4
	;; [unrolled: 1-line block ×3, first 2 shown]
	v_and_b32_e32 v9, 15, v54
	s_movk_i32 s2, 0x3ff0
	v_and_or_b32 v11, v57, s2, v9
	v_and_or_b32 v12, v58, s2, v9
	v_mul_u32_u24_e32 v0, 52, v46
	v_mul_u32_u24_e32 v5, 52, v5
	;; [unrolled: 1-line block ×3, first 2 shown]
	v_mad_u32_u24 v11, v11, 52, v53
	v_mad_u32_u24 v12, v12, 52, v53
	v_and_or_b32 v9, v59, s2, v9
	v_lshl_add_u32 v6, v0, 2, v30
	v_lshl_add_u32 v5, v5, 2, v30
	v_mul_u32_u24_e32 v7, 52, v7
	v_lshl_add_u32 v4, v4, 2, v30
	v_lshl_add_u32 v11, v11, 2, 0
	v_lshl_add_u32 v12, v12, 2, 0
	v_mad_u32_u24 v9, v9, 52, v53
	s_waitcnt lgkmcnt(0)
	s_barrier
	v_lshlrev_b32_e32 v0, 2, v46
	v_lshl_add_u32 v7, v7, 2, v30
	v_lshl_add_u32 v8, v56, 2, 0
	;; [unrolled: 1-line block ×3, first 2 shown]
	ds_read_b32 v13, v6
	ds_read_b32 v14, v5
	;; [unrolled: 1-line block ×4, first 2 shown]
	ds_read_b32 v17, v8 offset:128
	ds_read_b32 v11, v11 offset:128
	;; [unrolled: 1-line block ×4, first 2 shown]
	s_waitcnt lgkmcnt(7)
	v_cvt_f32_f16_e32 v4, v13
	v_cvt_f32_f16_sdwa v5, v13 dst_sel:DWORD dst_unused:UNUSED_PAD src0_sel:WORD_1
	v_sub_u32_e32 v0, v42, v0
	v_mov_b32_e32 v1, 0
	s_addc_u32 s1, s3, s1
	v_lshlrev_b64 v[2:3], 3, v[0:1]
	v_mov_b32_e32 v0, s1
	v_add_co_u32_e32 v2, vcc, s0, v2
	v_addc_co_u32_e32 v3, vcc, v0, v3, vcc
	v_pk_add_f32 v[4:5], v[4:5], 0 op_sel_hi:[1,0]
	v_add_u32_e32 v19, 0x80, v6
	global_store_dwordx2 v[2:3], v[4:5], off
	ds_read2st64_b32 v[2:3], v19 offset0:6 offset1:19
	v_add_u32_e32 v13, 0x1a0, v42
	v_lshlrev_b32_e32 v0, 2, v44
	v_sub_u32_e32 v0, v13, v0
	s_waitcnt lgkmcnt(7)
	v_cvt_f32_f16_e32 v8, v14
	s_waitcnt lgkmcnt(0)
	v_cvt_f32_f16_e32 v6, v2
	v_cvt_f32_f16_sdwa v7, v2 dst_sel:DWORD dst_unused:UNUSED_PAD src0_sel:WORD_1
	v_cvt_f32_f16_sdwa v9, v14 dst_sel:DWORD dst_unused:UNUSED_PAD src0_sel:WORD_1
	v_lshlrev_b64 v[4:5], 3, v[0:1]
	v_mul_u32_u24_e32 v10, 48, v46
	v_mov_b32_e32 v0, s1
	v_add_co_u32_e32 v4, vcc, s0, v4
	v_addc_co_u32_e32 v5, vcc, v0, v5, vcc
	v_pk_add_f32 v[6:7], v[6:7], 0 op_sel_hi:[1,0]
	v_add_lshl_u32 v10, v10, v43, 3
	global_store_dwordx2 v[4:5], v[6:7], off
	v_add_u32_e32 v0, 0x1800, v10
	v_pk_add_f32 v[4:5], v[8:9], 0 op_sel_hi:[1,0]
	global_store_dwordx2 v0, v[4:5], s[0:1]
	v_lshlrev_b32_e32 v0, 2, v45
	v_sub_u32_e32 v0, v13, v0
	v_cvt_f32_f16_e32 v2, v3
	v_cvt_f32_f16_sdwa v3, v3 dst_sel:DWORD dst_unused:UNUSED_PAD src0_sel:WORD_1
	v_add_u32_e32 v0, 0x340, v0
	v_cvt_f32_f16_e32 v6, v15
	v_cvt_f32_f16_sdwa v7, v15 dst_sel:DWORD dst_unused:UNUSED_PAD src0_sel:WORD_1
	v_lshlrev_b64 v[4:5], 3, v[0:1]
	v_mov_b32_e32 v0, s1
	v_add_co_u32_e32 v4, vcc, s0, v4
	v_addc_co_u32_e32 v5, vcc, v0, v5, vcc
	v_pk_add_f32 v[2:3], v[2:3], 0 op_sel_hi:[1,0]
	global_store_dwordx2 v[4:5], v[2:3], off
	v_add_u32_e32 v0, 0x3000, v10
	v_pk_add_f32 v[2:3], v[6:7], 0 op_sel_hi:[1,0]
	global_store_dwordx2 v0, v[2:3], s[0:1]
	ds_read2st64_b32 v[2:3], v19 offset0:32 offset1:45
	v_add_u32_e32 v13, 0x820, v42
	v_lshlrev_b32_e32 v0, 2, v48
	v_sub_u32_e32 v0, v13, v0
	v_cvt_f32_f16_e32 v8, v16
	s_waitcnt lgkmcnt(0)
	v_cvt_f32_f16_e32 v6, v2
	v_cvt_f32_f16_sdwa v7, v2 dst_sel:DWORD dst_unused:UNUSED_PAD src0_sel:WORD_1
	v_cvt_f32_f16_sdwa v9, v16 dst_sel:DWORD dst_unused:UNUSED_PAD src0_sel:WORD_1
	v_lshlrev_b64 v[4:5], 3, v[0:1]
	v_mov_b32_e32 v0, s1
	v_add_co_u32_e32 v4, vcc, s0, v4
	v_addc_co_u32_e32 v5, vcc, v0, v5, vcc
	v_pk_add_f32 v[6:7], v[6:7], 0 op_sel_hi:[1,0]
	global_store_dwordx2 v[4:5], v[6:7], off
	v_add_u32_e32 v0, 0x4800, v10
	v_pk_add_f32 v[4:5], v[8:9], 0 op_sel_hi:[1,0]
	global_store_dwordx2 v0, v[4:5], s[0:1]
	v_lshlrev_b32_e32 v0, 2, v51
	v_sub_u32_e32 v0, v13, v0
	v_cvt_f32_f16_e32 v2, v3
	v_cvt_f32_f16_sdwa v3, v3 dst_sel:DWORD dst_unused:UNUSED_PAD src0_sel:WORD_1
	v_add_u32_e32 v0, 0x340, v0
	v_lshlrev_b64 v[0:1], 3, v[0:1]
	v_mov_b32_e32 v4, s1
	v_add_co_u32_e32 v0, vcc, s0, v0
	v_addc_co_u32_e32 v1, vcc, v4, v1, vcc
	v_pk_add_f32 v[2:3], v[2:3], 0 op_sel_hi:[1,0]
	global_store_dwordx2 v[0:1], v[2:3], off
	v_mul_u32_u24_e32 v0, 48, v54
	v_or_b32_e32 v2, v0, v53
	v_cvt_f32_f16_e32 v0, v17
	v_cvt_f32_f16_sdwa v1, v17 dst_sel:DWORD dst_unused:UNUSED_PAD src0_sel:WORD_1
	v_lshlrev_b32_e32 v4, 3, v2
	v_cvt_f32_f16_e32 v2, v11
	v_cvt_f32_f16_sdwa v3, v11 dst_sel:DWORD dst_unused:UNUSED_PAD src0_sel:WORD_1
	v_pk_add_f32 v[0:1], v[0:1], 0 op_sel_hi:[1,0]
	global_store_dwordx2 v4, v[0:1], s[0:1] offset:256
	v_add_u32_e32 v5, 0x1800, v4
	v_pk_add_f32 v[0:1], v[2:3], 0 op_sel_hi:[1,0]
	global_store_dwordx2 v5, v[0:1], s[0:1] offset:256
	v_cvt_f32_f16_e32 v0, v12
	v_cvt_f32_f16_sdwa v1, v12 dst_sel:DWORD dst_unused:UNUSED_PAD src0_sel:WORD_1
	v_cvt_f32_f16_e32 v2, v18
	v_cvt_f32_f16_sdwa v3, v18 dst_sel:DWORD dst_unused:UNUSED_PAD src0_sel:WORD_1
	v_add_u32_e32 v5, 0x3000, v4
	v_pk_add_f32 v[0:1], v[0:1], 0 op_sel_hi:[1,0]
	global_store_dwordx2 v5, v[0:1], s[0:1] offset:256
	v_add_u32_e32 v4, 0x4800, v4
	v_pk_add_f32 v[0:1], v[2:3], 0 op_sel_hi:[1,0]
	global_store_dwordx2 v4, v[0:1], s[0:1] offset:256
	s_endpgm
	.section	.rodata,"a",@progbits
	.p2align	6, 0x0
	.amdhsa_kernel _ZL18flash_attn_ext_f16ILi96ELi96ELi16ELi4ELb0ELb0EEvPKcS1_S1_S1_S1_PKiPfP15HIP_vector_typeIfLj2EEffffjfiS5_IjLj3EEiiiiiiiiiiiliiliiiiil
		.amdhsa_group_segment_fixed_size 0
		.amdhsa_private_segment_fixed_size 0
		.amdhsa_kernarg_size 464
		.amdhsa_user_sgpr_count 6
		.amdhsa_user_sgpr_private_segment_buffer 1
		.amdhsa_user_sgpr_dispatch_ptr 0
		.amdhsa_user_sgpr_queue_ptr 0
		.amdhsa_user_sgpr_kernarg_segment_ptr 1
		.amdhsa_user_sgpr_dispatch_id 0
		.amdhsa_user_sgpr_flat_scratch_init 0
		.amdhsa_user_sgpr_kernarg_preload_length 0
		.amdhsa_user_sgpr_kernarg_preload_offset 0
		.amdhsa_user_sgpr_private_segment_size 0
		.amdhsa_uses_dynamic_stack 0
		.amdhsa_system_sgpr_private_segment_wavefront_offset 0
		.amdhsa_system_sgpr_workgroup_id_x 1
		.amdhsa_system_sgpr_workgroup_id_y 0
		.amdhsa_system_sgpr_workgroup_id_z 0
		.amdhsa_system_sgpr_workgroup_info 0
		.amdhsa_system_vgpr_workitem_id 1
		.amdhsa_next_free_vgpr 218
		.amdhsa_next_free_sgpr 96
		.amdhsa_accum_offset 220
		.amdhsa_reserve_vcc 1
		.amdhsa_reserve_flat_scratch 0
		.amdhsa_float_round_mode_32 0
		.amdhsa_float_round_mode_16_64 0
		.amdhsa_float_denorm_mode_32 3
		.amdhsa_float_denorm_mode_16_64 3
		.amdhsa_dx10_clamp 1
		.amdhsa_ieee_mode 1
		.amdhsa_fp16_overflow 0
		.amdhsa_tg_split 0
		.amdhsa_exception_fp_ieee_invalid_op 0
		.amdhsa_exception_fp_denorm_src 0
		.amdhsa_exception_fp_ieee_div_zero 0
		.amdhsa_exception_fp_ieee_overflow 0
		.amdhsa_exception_fp_ieee_underflow 0
		.amdhsa_exception_fp_ieee_inexact 0
		.amdhsa_exception_int_div_zero 0
	.end_amdhsa_kernel
	.section	.text._ZL18flash_attn_ext_f16ILi96ELi96ELi16ELi4ELb0ELb0EEvPKcS1_S1_S1_S1_PKiPfP15HIP_vector_typeIfLj2EEffffjfiS5_IjLj3EEiiiiiiiiiiiliiliiiiil,"axG",@progbits,_ZL18flash_attn_ext_f16ILi96ELi96ELi16ELi4ELb0ELb0EEvPKcS1_S1_S1_S1_PKiPfP15HIP_vector_typeIfLj2EEffffjfiS5_IjLj3EEiiiiiiiiiiiliiliiiiil,comdat
.Lfunc_end14:
	.size	_ZL18flash_attn_ext_f16ILi96ELi96ELi16ELi4ELb0ELb0EEvPKcS1_S1_S1_S1_PKiPfP15HIP_vector_typeIfLj2EEffffjfiS5_IjLj3EEiiiiiiiiiiiliiliiiiil, .Lfunc_end14-_ZL18flash_attn_ext_f16ILi96ELi96ELi16ELi4ELb0ELb0EEvPKcS1_S1_S1_S1_PKiPfP15HIP_vector_typeIfLj2EEffffjfiS5_IjLj3EEiiiiiiiiiiiliiliiiiil
                                        ; -- End function
	.section	.AMDGPU.csdata,"",@progbits
; Kernel info:
; codeLenInByte = 53592
; NumSgprs: 100
; NumVgprs: 218
; NumAgprs: 0
; TotalNumVgprs: 218
; ScratchSize: 0
; MemoryBound: 0
; FloatMode: 240
; IeeeMode: 1
; LDSByteSize: 0 bytes/workgroup (compile time only)
; SGPRBlocks: 12
; VGPRBlocks: 27
; NumSGPRsForWavesPerEU: 100
; NumVGPRsForWavesPerEU: 218
; AccumOffset: 220
; Occupancy: 2
; WaveLimiterHint : 0
; COMPUTE_PGM_RSRC2:SCRATCH_EN: 0
; COMPUTE_PGM_RSRC2:USER_SGPR: 6
; COMPUTE_PGM_RSRC2:TRAP_HANDLER: 0
; COMPUTE_PGM_RSRC2:TGID_X_EN: 1
; COMPUTE_PGM_RSRC2:TGID_Y_EN: 0
; COMPUTE_PGM_RSRC2:TGID_Z_EN: 0
; COMPUTE_PGM_RSRC2:TIDIG_COMP_CNT: 1
; COMPUTE_PGM_RSRC3_GFX90A:ACCUM_OFFSET: 54
; COMPUTE_PGM_RSRC3_GFX90A:TG_SPLIT: 0
	.section	.text._ZL18flash_attn_ext_f16ILi96ELi96ELi16ELi4ELb1ELb0EEvPKcS1_S1_S1_S1_PKiPfP15HIP_vector_typeIfLj2EEffffjfiS5_IjLj3EEiiiiiiiiiiiliiliiiiil,"axG",@progbits,_ZL18flash_attn_ext_f16ILi96ELi96ELi16ELi4ELb1ELb0EEvPKcS1_S1_S1_S1_PKiPfP15HIP_vector_typeIfLj2EEffffjfiS5_IjLj3EEiiiiiiiiiiiliiliiiiil,comdat
	.globl	_ZL18flash_attn_ext_f16ILi96ELi96ELi16ELi4ELb1ELb0EEvPKcS1_S1_S1_S1_PKiPfP15HIP_vector_typeIfLj2EEffffjfiS5_IjLj3EEiiiiiiiiiiiliiliiiiil ; -- Begin function _ZL18flash_attn_ext_f16ILi96ELi96ELi16ELi4ELb1ELb0EEvPKcS1_S1_S1_S1_PKiPfP15HIP_vector_typeIfLj2EEffffjfiS5_IjLj3EEiiiiiiiiiiiliiliiiiil
	.p2align	8
	.type	_ZL18flash_attn_ext_f16ILi96ELi96ELi16ELi4ELb1ELb0EEvPKcS1_S1_S1_S1_PKiPfP15HIP_vector_typeIfLj2EEffffjfiS5_IjLj3EEiiiiiiiiiiiliiliiiiil,@function
_ZL18flash_attn_ext_f16ILi96ELi96ELi16ELi4ELb1ELb0EEvPKcS1_S1_S1_S1_PKiPfP15HIP_vector_typeIfLj2EEffffjfiS5_IjLj3EEiiiiiiiiiiiliiliiiiil: ; @_ZL18flash_attn_ext_f16ILi96ELi96ELi16ELi4ELb1ELb0EEvPKcS1_S1_S1_S1_PKiPfP15HIP_vector_typeIfLj2EEffffjfiS5_IjLj3EEiiiiiiiiiiiliiliiiiil
; %bb.0:
	s_add_u32 flat_scratch_lo, s6, s9
	s_addc_u32 flat_scratch_hi, s7, 0
	s_add_u32 s0, s0, s9
	s_addc_u32 s1, s1, 0
	s_add_u32 s8, s4, 0xd0
	s_addc_u32 s9, s5, 0
	v_mov_b32_e32 v0, 0x6cc
	s_mov_b32 s32, 0
	s_getpc_b64 s[4:5]
	s_add_u32 s4, s4, _ZL14no_device_codePKciS0_iS0_@rel32@lo+4
	s_addc_u32 s5, s5, _ZL14no_device_codePKciS0_iS0_@rel32@hi+12
	s_swappc_b64 s[30:31], s[4:5]
	.section	.rodata,"a",@progbits
	.p2align	6, 0x0
	.amdhsa_kernel _ZL18flash_attn_ext_f16ILi96ELi96ELi16ELi4ELb1ELb0EEvPKcS1_S1_S1_S1_PKiPfP15HIP_vector_typeIfLj2EEffffjfiS5_IjLj3EEiiiiiiiiiiiliiliiiiil
		.amdhsa_group_segment_fixed_size 0
		.amdhsa_private_segment_fixed_size 16
		.amdhsa_kernarg_size 464
		.amdhsa_user_sgpr_count 8
		.amdhsa_user_sgpr_private_segment_buffer 1
		.amdhsa_user_sgpr_dispatch_ptr 0
		.amdhsa_user_sgpr_queue_ptr 0
		.amdhsa_user_sgpr_kernarg_segment_ptr 1
		.amdhsa_user_sgpr_dispatch_id 0
		.amdhsa_user_sgpr_flat_scratch_init 1
		.amdhsa_user_sgpr_kernarg_preload_length 0
		.amdhsa_user_sgpr_kernarg_preload_offset 0
		.amdhsa_user_sgpr_private_segment_size 0
		.amdhsa_uses_dynamic_stack 0
		.amdhsa_system_sgpr_private_segment_wavefront_offset 1
		.amdhsa_system_sgpr_workgroup_id_x 1
		.amdhsa_system_sgpr_workgroup_id_y 0
		.amdhsa_system_sgpr_workgroup_id_z 0
		.amdhsa_system_sgpr_workgroup_info 0
		.amdhsa_system_vgpr_workitem_id 0
		.amdhsa_next_free_vgpr 39
		.amdhsa_next_free_sgpr 34
		.amdhsa_accum_offset 40
		.amdhsa_reserve_vcc 1
		.amdhsa_reserve_flat_scratch 1
		.amdhsa_float_round_mode_32 0
		.amdhsa_float_round_mode_16_64 0
		.amdhsa_float_denorm_mode_32 3
		.amdhsa_float_denorm_mode_16_64 3
		.amdhsa_dx10_clamp 1
		.amdhsa_ieee_mode 1
		.amdhsa_fp16_overflow 0
		.amdhsa_tg_split 0
		.amdhsa_exception_fp_ieee_invalid_op 0
		.amdhsa_exception_fp_denorm_src 0
		.amdhsa_exception_fp_ieee_div_zero 0
		.amdhsa_exception_fp_ieee_overflow 0
		.amdhsa_exception_fp_ieee_underflow 0
		.amdhsa_exception_fp_ieee_inexact 0
		.amdhsa_exception_int_div_zero 0
	.end_amdhsa_kernel
	.section	.text._ZL18flash_attn_ext_f16ILi96ELi96ELi16ELi4ELb1ELb0EEvPKcS1_S1_S1_S1_PKiPfP15HIP_vector_typeIfLj2EEffffjfiS5_IjLj3EEiiiiiiiiiiiliiliiiiil,"axG",@progbits,_ZL18flash_attn_ext_f16ILi96ELi96ELi16ELi4ELb1ELb0EEvPKcS1_S1_S1_S1_PKiPfP15HIP_vector_typeIfLj2EEffffjfiS5_IjLj3EEiiiiiiiiiiiliiliiiiil,comdat
.Lfunc_end15:
	.size	_ZL18flash_attn_ext_f16ILi96ELi96ELi16ELi4ELb1ELb0EEvPKcS1_S1_S1_S1_PKiPfP15HIP_vector_typeIfLj2EEffffjfiS5_IjLj3EEiiiiiiiiiiiliiliiiiil, .Lfunc_end15-_ZL18flash_attn_ext_f16ILi96ELi96ELi16ELi4ELb1ELb0EEvPKcS1_S1_S1_S1_PKiPfP15HIP_vector_typeIfLj2EEffffjfiS5_IjLj3EEiiiiiiiiiiiliiliiiiil
                                        ; -- End function
	.section	.AMDGPU.csdata,"",@progbits
; Kernel info:
; codeLenInByte = 64
; NumSgprs: 40
; NumVgprs: 39
; NumAgprs: 0
; TotalNumVgprs: 39
; ScratchSize: 16
; MemoryBound: 0
; FloatMode: 240
; IeeeMode: 1
; LDSByteSize: 0 bytes/workgroup (compile time only)
; SGPRBlocks: 4
; VGPRBlocks: 4
; NumSGPRsForWavesPerEU: 40
; NumVGPRsForWavesPerEU: 39
; AccumOffset: 40
; Occupancy: 8
; WaveLimiterHint : 1
; COMPUTE_PGM_RSRC2:SCRATCH_EN: 1
; COMPUTE_PGM_RSRC2:USER_SGPR: 8
; COMPUTE_PGM_RSRC2:TRAP_HANDLER: 0
; COMPUTE_PGM_RSRC2:TGID_X_EN: 1
; COMPUTE_PGM_RSRC2:TGID_Y_EN: 0
; COMPUTE_PGM_RSRC2:TGID_Z_EN: 0
; COMPUTE_PGM_RSRC2:TIDIG_COMP_CNT: 0
; COMPUTE_PGM_RSRC3_GFX90A:ACCUM_OFFSET: 9
; COMPUTE_PGM_RSRC3_GFX90A:TG_SPLIT: 0
	.section	.text._ZL33flash_attn_stream_k_fixup_uniformILi96ELi16ELi4EEvPfPK15HIP_vector_typeIfLj2EEiiiiiiS1_IjLj3EES5_S5_,"axG",@progbits,_ZL33flash_attn_stream_k_fixup_uniformILi96ELi16ELi4EEvPfPK15HIP_vector_typeIfLj2EEiiiiiiS1_IjLj3EES5_S5_,comdat
	.globl	_ZL33flash_attn_stream_k_fixup_uniformILi96ELi16ELi4EEvPfPK15HIP_vector_typeIfLj2EEiiiiiiS1_IjLj3EES5_S5_ ; -- Begin function _ZL33flash_attn_stream_k_fixup_uniformILi96ELi16ELi4EEvPfPK15HIP_vector_typeIfLj2EEiiiiiiS1_IjLj3EES5_S5_
	.p2align	8
	.type	_ZL33flash_attn_stream_k_fixup_uniformILi96ELi16ELi4EEvPfPK15HIP_vector_typeIfLj2EEiiiiiiS1_IjLj3EES5_S5_,@function
_ZL33flash_attn_stream_k_fixup_uniformILi96ELi16ELi4EEvPfPK15HIP_vector_typeIfLj2EEiiiiiiS1_IjLj3EES5_S5_: ; @_ZL33flash_attn_stream_k_fixup_uniformILi96ELi16ELi4EEvPfPK15HIP_vector_typeIfLj2EEiiiiiiS1_IjLj3EES5_S5_
; %bb.0:
	s_load_dwordx8 s[12:19], s[4:5], 0x1c
	s_load_dwordx2 s[10:11], s[4:5], 0x10
	s_load_dwordx4 s[0:3], s[4:5], 0x3c
	s_waitcnt lgkmcnt(0)
	s_mul_hi_u32 s9, s15, s6
	s_add_i32 s9, s6, s9
	s_lshr_b32 s9, s9, s16
	s_mul_i32 s15, s9, s17
	s_sub_i32 s16, s6, s15
	s_mul_hi_u32 s15, s16, s18
	s_add_i32 s15, s16, s15
	s_lshr_b32 s15, s15, s19
	s_mul_i32 s0, s15, s0
	s_sub_i32 s0, s16, s0
	;; [unrolled: 5-line block ×3, first 2 shown]
	s_lshl_b32 s0, s16, 4
	s_lshl_b32 s17, s1, 2
	s_add_i32 s0, s0, s7
	s_cmp_lt_i32 s0, s10
	s_cselect_b64 s[0:1], -1, 0
	s_add_i32 s17, s17, s8
	s_cmp_lt_i32 s17, s13
	s_cselect_b64 s[2:3], -1, 0
	s_and_b64 s[0:1], s[0:1], s[2:3]
	s_andn2_b64 vcc, exec, s[0:1]
	s_cbranch_vccnz .LBB16_6
; %bb.1:
	s_load_dwordx4 s[0:3], s[4:5], 0x0
	s_mul_i32 s4, s9, s10
	s_mul_i32 s15, s15, s13
	s_add_i32 s4, s4, s7
	s_mul_i32 s4, s4, s11
	s_add_i32 s9, s17, s15
	s_mul_i32 s5, s11, s16
	s_add_i32 s4, s9, s4
	s_mulk_i32 s5, 0x600
	s_mulk_i32 s4, 0x60
	s_add_i32 s4, s4, s5
	v_add_u32_e32 v2, s4, v0
	v_ashrrev_i32_e32 v3, 31, v2
	v_lshlrev_b64 v[2:3], 2, v[2:3]
	s_waitcnt lgkmcnt(0)
	v_mov_b32_e32 v1, s1
	v_add_co_u32_e32 v2, vcc, s0, v2
	v_addc_co_u32_e32 v3, vcc, v1, v3, vcc
	global_load_dword v8, v[2:3], off
	s_mul_i32 s9, s6, s14
	s_lshl_b32 s4, s7, 2
	s_add_i32 s11, s9, s14
	s_add_i32 s0, s4, s8
	s_lshl_b32 s1, s11, 6
	s_add_i32 s0, s0, s1
	s_sub_i32 s0, s0, 64
	s_ashr_i32 s1, s0, 31
	s_lshl_b64 s[0:1], s[0:1], 3
	s_add_u32 s0, s2, s0
	s_addc_u32 s1, s3, s1
	s_load_dword s5, s[0:1], 0x4
	s_add_i32 s10, s11, -2
	s_cmp_lt_i32 s10, s9
	s_cbranch_scc1 .LBB16_4
; %bb.2:
	s_lshl_b32 s16, s12, 8
	s_ashr_i32 s17, s16, 31
	s_lshl_b64 s[16:17], s[16:17], 2
	s_add_u32 s10, s2, s16
	s_addc_u32 s13, s3, s17
	s_add_i32 s6, s6, 1
	s_load_dword s0, s[0:1], 0x0
	s_mul_i32 s1, s14, s6
	s_lshl_b32 s6, s1, 6
	s_add_i32 s6, s8, s6
	s_lshl_b32 s12, s12, 6
	s_add_i32 s6, s6, s12
	s_add_i32 s4, s6, s4
	s_mulk_i32 s7, 0x180
	s_mul_i32 s6, s8, 0x60
	s_mulk_i32 s1, 0x1800
	s_add_i32 s6, s6, s7
	s_add_i32 s6, s6, s1
	v_add_u32_e32 v0, s6, v0
	s_add_i32 s11, s11, -1
	s_addk_i32 s4, 0xff80
	v_add_u32_e32 v0, 0xffffd000, v0
	s_waitcnt lgkmcnt(0)
	v_mov_b32_e32 v7, s5
	v_mov_b32_e32 v6, s0
	;; [unrolled: 1-line block ×3, first 2 shown]
	s_mov_b32 s6, 0x3fb8aa3b
	s_mov_b32 s7, 0xc2ce8ed0
	;; [unrolled: 1-line block ×3, first 2 shown]
	v_mov_b32_e32 v5, 0x7f800000
	s_mov_b32 s12, 0xc1a00000
.LBB16_3:                               ; =>This Inner Loop Header: Depth=1
	v_ashrrev_i32_e32 v1, 31, v0
	v_lshlrev_b64 v[10:11], 2, v[0:1]
	v_add_co_u32_e32 v10, vcc, s10, v10
	v_addc_co_u32_e32 v11, vcc, v4, v11, vcc
	global_load_dword v1, v[10:11], off
	s_ashr_i32 s5, s4, 31
	s_lshl_b64 s[0:1], s[4:5], 3
	s_add_u32 s0, s2, s0
	s_addc_u32 s1, s3, s1
	s_load_dwordx2 s[14:15], s[0:1], 0x0
	s_waitcnt vmcnt(1)
	v_mov_b32_e32 v9, v8
	v_max_f32_e32 v8, v6, v6
	v_mov_b32_e32 v10, v7
	s_add_i32 s11, s11, -1
	s_waitcnt lgkmcnt(0)
	v_max_f32_e64 v7, s14, s14
	v_max_f32_e32 v7, v8, v7
	v_sub_f32_e32 v11, s14, v7
	v_sub_f32_e32 v8, v6, v7
	v_mul_f32_e32 v12, 0x3fb8aa3b, v11
	v_mov_b32_e32 v6, v7
	v_mul_f32_e32 v7, 0x3fb8aa3b, v8
	v_fma_f32 v15, v11, s6, -v12
	v_rndne_f32_e32 v16, v12
	v_fma_f32 v13, v8, s6, -v7
	v_rndne_f32_e32 v14, v7
	v_fmac_f32_e32 v15, 0x32a5705f, v11
	v_sub_f32_e32 v12, v12, v16
	v_fmac_f32_e32 v13, 0x32a5705f, v8
	v_sub_f32_e32 v7, v7, v14
	v_add_f32_e32 v12, v12, v15
	v_cvt_i32_f32_e32 v16, v16
	v_add_f32_e32 v7, v7, v13
	v_exp_f32_e32 v12, v12
	v_cvt_i32_f32_e32 v14, v14
	v_exp_f32_e32 v7, v7
	v_cmp_ngt_f32_e32 vcc, s7, v11
	v_ldexp_f32 v12, v12, v16
	v_cmp_ngt_f32_e64 s[0:1], s7, v8
	v_ldexp_f32 v7, v7, v14
	v_cndmask_b32_e32 v12, 0, v12, vcc
	v_cmp_nlt_f32_e32 vcc, s8, v11
	v_cndmask_b32_e64 v7, 0, v7, s[0:1]
	v_cmp_nlt_f32_e64 s[0:1], s8, v8
	v_cndmask_b32_e32 v12, v5, v12, vcc
	v_cmp_le_f32_e32 vcc, s12, v11
	v_cndmask_b32_e64 v7, v5, v7, s[0:1]
	v_cmp_le_f32_e64 s[0:1], s12, v8
	v_cndmask_b32_e32 v8, 0, v12, vcc
	s_sub_i32 s4, s4, 64
	v_cndmask_b32_e64 v11, 0, v7, s[0:1]
	v_mul_f32_e32 v7, s15, v8
	v_add_u32_e32 v0, 0xffffe800, v0
	s_cmp_le_i32 s11, s9
	v_fmac_f32_e32 v7, v10, v11
	s_waitcnt vmcnt(0)
	v_mul_f32_e32 v8, v1, v8
	v_fmac_f32_e32 v8, v9, v11
	s_cbranch_scc0 .LBB16_3
	s_branch .LBB16_5
.LBB16_4:
	s_waitcnt lgkmcnt(0)
	v_mov_b32_e32 v7, s5
.LBB16_5:
	s_waitcnt vmcnt(0)
	v_div_scale_f32 v0, s[0:1], v7, v7, v8
	v_rcp_f32_e32 v1, v0
	v_div_scale_f32 v4, vcc, v8, v7, v8
	v_fma_f32 v5, -v0, v1, 1.0
	v_fmac_f32_e32 v1, v5, v1
	v_mul_f32_e32 v5, v4, v1
	v_fma_f32 v6, -v0, v5, v4
	v_fmac_f32_e32 v5, v6, v1
	v_fma_f32 v0, -v0, v5, v4
	v_div_fmas_f32 v0, v0, v1, v5
	v_div_fixup_f32 v0, v0, v7, v8
	global_store_dword v[2:3], v0, off
.LBB16_6:
	s_endpgm
	.section	.rodata,"a",@progbits
	.p2align	6, 0x0
	.amdhsa_kernel _ZL33flash_attn_stream_k_fixup_uniformILi96ELi16ELi4EEvPfPK15HIP_vector_typeIfLj2EEiiiiiiS1_IjLj3EES5_S5_
		.amdhsa_group_segment_fixed_size 0
		.amdhsa_private_segment_fixed_size 0
		.amdhsa_kernarg_size 76
		.amdhsa_user_sgpr_count 6
		.amdhsa_user_sgpr_private_segment_buffer 1
		.amdhsa_user_sgpr_dispatch_ptr 0
		.amdhsa_user_sgpr_queue_ptr 0
		.amdhsa_user_sgpr_kernarg_segment_ptr 1
		.amdhsa_user_sgpr_dispatch_id 0
		.amdhsa_user_sgpr_flat_scratch_init 0
		.amdhsa_user_sgpr_kernarg_preload_length 0
		.amdhsa_user_sgpr_kernarg_preload_offset 0
		.amdhsa_user_sgpr_private_segment_size 0
		.amdhsa_uses_dynamic_stack 0
		.amdhsa_system_sgpr_private_segment_wavefront_offset 0
		.amdhsa_system_sgpr_workgroup_id_x 1
		.amdhsa_system_sgpr_workgroup_id_y 1
		.amdhsa_system_sgpr_workgroup_id_z 1
		.amdhsa_system_sgpr_workgroup_info 0
		.amdhsa_system_vgpr_workitem_id 0
		.amdhsa_next_free_vgpr 17
		.amdhsa_next_free_sgpr 20
		.amdhsa_accum_offset 20
		.amdhsa_reserve_vcc 1
		.amdhsa_reserve_flat_scratch 0
		.amdhsa_float_round_mode_32 0
		.amdhsa_float_round_mode_16_64 0
		.amdhsa_float_denorm_mode_32 3
		.amdhsa_float_denorm_mode_16_64 3
		.amdhsa_dx10_clamp 1
		.amdhsa_ieee_mode 1
		.amdhsa_fp16_overflow 0
		.amdhsa_tg_split 0
		.amdhsa_exception_fp_ieee_invalid_op 0
		.amdhsa_exception_fp_denorm_src 0
		.amdhsa_exception_fp_ieee_div_zero 0
		.amdhsa_exception_fp_ieee_overflow 0
		.amdhsa_exception_fp_ieee_underflow 0
		.amdhsa_exception_fp_ieee_inexact 0
		.amdhsa_exception_int_div_zero 0
	.end_amdhsa_kernel
	.section	.text._ZL33flash_attn_stream_k_fixup_uniformILi96ELi16ELi4EEvPfPK15HIP_vector_typeIfLj2EEiiiiiiS1_IjLj3EES5_S5_,"axG",@progbits,_ZL33flash_attn_stream_k_fixup_uniformILi96ELi16ELi4EEvPfPK15HIP_vector_typeIfLj2EEiiiiiiS1_IjLj3EES5_S5_,comdat
.Lfunc_end16:
	.size	_ZL33flash_attn_stream_k_fixup_uniformILi96ELi16ELi4EEvPfPK15HIP_vector_typeIfLj2EEiiiiiiS1_IjLj3EES5_S5_, .Lfunc_end16-_ZL33flash_attn_stream_k_fixup_uniformILi96ELi16ELi4EEvPfPK15HIP_vector_typeIfLj2EEiiiiiiS1_IjLj3EES5_S5_
                                        ; -- End function
	.section	.AMDGPU.csdata,"",@progbits
; Kernel info:
; codeLenInByte = 856
; NumSgprs: 24
; NumVgprs: 17
; NumAgprs: 0
; TotalNumVgprs: 17
; ScratchSize: 0
; MemoryBound: 0
; FloatMode: 240
; IeeeMode: 1
; LDSByteSize: 0 bytes/workgroup (compile time only)
; SGPRBlocks: 2
; VGPRBlocks: 2
; NumSGPRsForWavesPerEU: 24
; NumVGPRsForWavesPerEU: 17
; AccumOffset: 20
; Occupancy: 8
; WaveLimiterHint : 0
; COMPUTE_PGM_RSRC2:SCRATCH_EN: 0
; COMPUTE_PGM_RSRC2:USER_SGPR: 6
; COMPUTE_PGM_RSRC2:TRAP_HANDLER: 0
; COMPUTE_PGM_RSRC2:TGID_X_EN: 1
; COMPUTE_PGM_RSRC2:TGID_Y_EN: 1
; COMPUTE_PGM_RSRC2:TGID_Z_EN: 1
; COMPUTE_PGM_RSRC2:TIDIG_COMP_CNT: 0
; COMPUTE_PGM_RSRC3_GFX90A:ACCUM_OFFSET: 4
; COMPUTE_PGM_RSRC3_GFX90A:TG_SPLIT: 0
	.section	.text._ZL33flash_attn_stream_k_fixup_generalILi96ELi16ELi4EEvPfPK15HIP_vector_typeIfLj2EEiiiiS1_IjLj3EES5_S5_S5_,"axG",@progbits,_ZL33flash_attn_stream_k_fixup_generalILi96ELi16ELi4EEvPfPK15HIP_vector_typeIfLj2EEiiiiS1_IjLj3EES5_S5_S5_,comdat
	.globl	_ZL33flash_attn_stream_k_fixup_generalILi96ELi16ELi4EEvPfPK15HIP_vector_typeIfLj2EEiiiiS1_IjLj3EES5_S5_S5_ ; -- Begin function _ZL33flash_attn_stream_k_fixup_generalILi96ELi16ELi4EEvPfPK15HIP_vector_typeIfLj2EEiiiiS1_IjLj3EES5_S5_S5_
	.p2align	8
	.type	_ZL33flash_attn_stream_k_fixup_generalILi96ELi16ELi4EEvPfPK15HIP_vector_typeIfLj2EEiiiiS1_IjLj3EES5_S5_S5_,@function
_ZL33flash_attn_stream_k_fixup_generalILi96ELi16ELi4EEvPfPK15HIP_vector_typeIfLj2EEiiiiS1_IjLj3EES5_S5_S5_: ; @_ZL33flash_attn_stream_k_fixup_generalILi96ELi16ELi4EEvPfPK15HIP_vector_typeIfLj2EEiiiiS1_IjLj3EES5_S5_S5_
; %bb.0:
	s_load_dwordx4 s[12:15], s[4:5], 0x10
	s_load_dword s9, s[4:5], 0x50
	s_mov_b32 s2, 0
	s_waitcnt lgkmcnt(0)
	s_mul_hi_i32 s3, s15, s6
	s_cmp_lg_u64 s[2:3], 0
	s_mul_i32 s2, s15, s6
	s_cbranch_scc0 .LBB17_21
; %bb.1:
	v_cvt_f32_u32_e32 v1, s9
	v_cvt_f32_ubyte0_e32 v2, 0
	s_sub_u32 s10, 0, s9
	s_subb_u32 s11, 0, 0
	v_madmk_f32 v1, v2, 0x4f800000, v1
	v_rcp_f32_e32 v1, v1
	v_mul_f32_e32 v1, 0x5f7ffffc, v1
	v_mul_f32_e32 v2, 0x2f800000, v1
	v_trunc_f32_e32 v2, v2
	v_madmk_f32 v1, v2, 0xcf800000, v1
	v_cvt_u32_f32_e32 v2, v2
	v_cvt_u32_f32_e32 v1, v1
	v_readfirstlane_b32 s16, v2
	v_readfirstlane_b32 s17, v1
	s_mul_i32 s18, s10, s16
	s_mul_hi_u32 s20, s10, s17
	s_mul_i32 s19, s11, s17
	s_add_i32 s18, s20, s18
	s_add_i32 s18, s18, s19
	s_mul_i32 s21, s10, s17
	s_mul_hi_u32 s19, s17, s18
	s_mul_i32 s20, s17, s18
	s_mul_hi_u32 s17, s17, s21
	s_add_u32 s17, s17, s20
	s_addc_u32 s19, 0, s19
	s_mul_hi_u32 s22, s16, s21
	s_mul_i32 s21, s16, s21
	s_add_u32 s17, s17, s21
	s_mul_hi_u32 s20, s16, s18
	s_addc_u32 s17, s19, s22
	s_addc_u32 s19, s20, 0
	s_mul_i32 s18, s16, s18
	s_add_u32 s17, s17, s18
	s_addc_u32 s18, 0, s19
	v_add_co_u32_e32 v1, vcc, s17, v1
	s_cmp_lg_u64 vcc, 0
	s_addc_u32 s16, s16, s18
	v_readfirstlane_b32 s18, v1
	s_mul_i32 s17, s10, s16
	s_mul_hi_u32 s19, s10, s18
	s_add_i32 s17, s19, s17
	s_mul_i32 s11, s11, s18
	s_add_i32 s17, s17, s11
	s_mul_i32 s10, s10, s18
	s_mul_hi_u32 s19, s16, s10
	s_mul_i32 s20, s16, s10
	s_mul_i32 s22, s18, s17
	s_mul_hi_u32 s10, s18, s10
	s_mul_hi_u32 s21, s18, s17
	s_add_u32 s10, s10, s22
	s_addc_u32 s18, 0, s21
	s_add_u32 s10, s10, s20
	s_mul_hi_u32 s11, s16, s17
	s_addc_u32 s10, s18, s19
	s_addc_u32 s11, s11, 0
	s_mul_i32 s17, s16, s17
	s_add_u32 s10, s10, s17
	s_addc_u32 s11, 0, s11
	v_add_co_u32_e32 v1, vcc, s10, v1
	s_cmp_lg_u64 vcc, 0
	s_addc_u32 s18, s16, s11
	s_ashr_i32 s10, s3, 31
	s_add_u32 s16, s2, s10
	s_mov_b32 s11, s10
	s_addc_u32 s17, s3, s10
	s_xor_b64 s[16:17], s[16:17], s[10:11]
	v_readfirstlane_b32 s20, v1
	s_mul_i32 s19, s16, s18
	s_mul_hi_u32 s21, s16, s20
	s_mul_hi_u32 s3, s16, s18
	s_add_u32 s19, s21, s19
	s_addc_u32 s3, 0, s3
	s_mul_hi_u32 s22, s17, s20
	s_mul_i32 s20, s17, s20
	s_add_u32 s19, s19, s20
	s_mul_hi_u32 s21, s17, s18
	s_addc_u32 s3, s3, s22
	s_addc_u32 s19, s21, 0
	s_mul_i32 s18, s17, s18
	s_add_u32 s3, s3, s18
	s_addc_u32 s18, 0, s19
	s_add_u32 s19, s3, 1
	s_addc_u32 s20, s18, 0
	s_add_u32 s21, s3, 2
	s_mul_i32 s23, s9, s18
	s_mul_hi_u32 s24, s9, s3
	s_addc_u32 s22, s18, 0
	s_add_i32 s24, s24, s23
	s_mul_i32 s23, s9, s3
	v_mov_b32_e32 v1, s23
	v_sub_co_u32_e32 v1, vcc, s16, v1
	s_cmp_lg_u64 vcc, 0
	s_subb_u32 s16, s17, s24
	v_subrev_co_u32_e32 v2, vcc, s9, v1
	s_cmp_lg_u64 vcc, 0
	s_subb_u32 s17, s16, 0
	v_readfirstlane_b32 s23, v2
	s_cmp_ge_u32 s23, s9
	s_cselect_b32 s23, -1, 0
	s_cmp_eq_u32 s17, 0
	s_cselect_b32 s17, s23, -1
	s_cmp_lg_u32 s17, 0
	s_cselect_b32 s17, s22, s20
	v_readfirstlane_b32 s20, v1
	s_cselect_b32 s19, s21, s19
	s_cmp_ge_u32 s20, s9
	s_cselect_b32 s20, -1, 0
	s_cmp_eq_u32 s16, 0
	s_cselect_b32 s16, s20, -1
	s_cmp_lg_u32 s16, 0
	s_cselect_b32 s17, s17, s18
	s_cselect_b32 s16, s19, s3
	s_xor_b64 s[16:17], s[16:17], s[10:11]
	s_sub_u32 s20, s16, s10
	s_load_dwordx4 s[16:19], s[4:5], 0x44
	s_cbranch_execnz .LBB17_3
.LBB17_2:
	v_cvt_f32_u32_e32 v1, s9
	s_sub_i32 s0, 0, s9
	v_rcp_iflag_f32_e32 v1, v1
	v_mul_f32_e32 v1, 0x4f7ffffe, v1
	v_cvt_u32_f32_e32 v1, v1
	v_readfirstlane_b32 s1, v1
	s_mul_i32 s0, s0, s1
	s_mul_hi_u32 s0, s1, s0
	s_add_i32 s1, s1, s0
	s_mul_hi_u32 s0, s2, s1
	s_mul_i32 s3, s0, s9
	s_sub_i32 s2, s2, s3
	s_add_i32 s1, s0, 1
	s_sub_i32 s3, s2, s9
	s_cmp_ge_u32 s2, s9
	s_cselect_b32 s0, s1, s0
	s_cselect_b32 s2, s3, s2
	s_add_i32 s1, s0, 1
	s_cmp_ge_u32 s2, s9
	s_cselect_b32 s20, s1, s0
.LBB17_3:
	s_add_i32 s0, s6, 1
	s_mul_hi_i32 s3, s15, s0
	s_mov_b32 s2, 0
	s_cmp_lg_u64 s[2:3], 0
	s_mul_i32 s2, s15, s0
	s_cbranch_scc0 .LBB17_22
; %bb.4:
	v_cvt_f32_u32_e32 v1, s9
	v_cvt_f32_ubyte0_e32 v2, 0
	s_sub_u32 s10, 0, s9
	s_subb_u32 s11, 0, 0
	v_madmk_f32 v1, v2, 0x4f800000, v1
	v_rcp_f32_e32 v1, v1
	v_mul_f32_e32 v1, 0x5f7ffffc, v1
	v_mul_f32_e32 v2, 0x2f800000, v1
	v_trunc_f32_e32 v2, v2
	v_madmk_f32 v1, v2, 0xcf800000, v1
	v_cvt_u32_f32_e32 v2, v2
	v_cvt_u32_f32_e32 v1, v1
	s_waitcnt lgkmcnt(0)
	v_readfirstlane_b32 s19, v2
	v_readfirstlane_b32 s21, v1
	s_mul_i32 s22, s10, s19
	s_mul_hi_u32 s24, s10, s21
	s_mul_i32 s23, s11, s21
	s_add_i32 s22, s24, s22
	s_add_i32 s22, s22, s23
	s_mul_i32 s25, s10, s21
	s_mul_hi_u32 s23, s21, s22
	s_mul_i32 s24, s21, s22
	s_mul_hi_u32 s21, s21, s25
	s_add_u32 s21, s21, s24
	s_addc_u32 s23, 0, s23
	s_mul_hi_u32 s26, s19, s25
	s_mul_i32 s25, s19, s25
	s_add_u32 s21, s21, s25
	s_mul_hi_u32 s24, s19, s22
	s_addc_u32 s21, s23, s26
	s_addc_u32 s23, s24, 0
	s_mul_i32 s22, s19, s22
	s_add_u32 s21, s21, s22
	s_addc_u32 s22, 0, s23
	v_add_co_u32_e32 v1, vcc, s21, v1
	s_cmp_lg_u64 vcc, 0
	s_addc_u32 s19, s19, s22
	v_readfirstlane_b32 s22, v1
	s_mul_i32 s21, s10, s19
	s_mul_hi_u32 s23, s10, s22
	s_add_i32 s21, s23, s21
	s_mul_i32 s11, s11, s22
	s_add_i32 s21, s21, s11
	s_mul_i32 s10, s10, s22
	s_mul_hi_u32 s23, s19, s10
	s_mul_i32 s24, s19, s10
	s_mul_i32 s26, s22, s21
	s_mul_hi_u32 s10, s22, s10
	s_mul_hi_u32 s25, s22, s21
	s_add_u32 s10, s10, s26
	s_addc_u32 s22, 0, s25
	s_add_u32 s10, s10, s24
	s_mul_hi_u32 s11, s19, s21
	s_addc_u32 s10, s22, s23
	s_addc_u32 s11, s11, 0
	s_mul_i32 s21, s19, s21
	s_add_u32 s10, s10, s21
	s_addc_u32 s11, 0, s11
	v_add_co_u32_e32 v1, vcc, s10, v1
	s_cmp_lg_u64 vcc, 0
	s_addc_u32 s19, s19, s11
	s_ashr_i32 s10, s3, 31
	s_add_u32 s22, s2, s10
	s_mov_b32 s11, s10
	s_addc_u32 s23, s3, s10
	s_xor_b64 s[22:23], s[22:23], s[10:11]
	v_readfirstlane_b32 s21, v1
	s_mul_i32 s11, s22, s19
	s_mul_hi_u32 s24, s22, s21
	s_mul_hi_u32 s3, s22, s19
	s_add_u32 s11, s24, s11
	s_addc_u32 s3, 0, s3
	s_mul_hi_u32 s25, s23, s21
	s_mul_i32 s21, s23, s21
	s_add_u32 s11, s11, s21
	s_mul_hi_u32 s24, s23, s19
	s_addc_u32 s3, s3, s25
	s_addc_u32 s11, s24, 0
	s_mul_i32 s19, s23, s19
	s_add_u32 s3, s3, s19
	s_addc_u32 s11, 0, s11
	s_mul_i32 s11, s9, s11
	s_mul_hi_u32 s24, s9, s3
	s_add_i32 s24, s24, s11
	s_mul_i32 s11, s9, s3
	v_mov_b32_e32 v1, s11
	s_add_u32 s19, s3, 1
	s_add_u32 s21, s3, 2
	v_sub_co_u32_e32 v1, vcc, s22, v1
	s_cmp_lg_u64 vcc, 0
	s_subb_u32 s11, s23, s24
	v_subrev_co_u32_e32 v2, vcc, s9, v1
	s_cmp_lg_u64 vcc, 0
	s_subb_u32 s22, s11, 0
	v_cmp_le_u32_e32 vcc, s9, v2
	s_cmp_eq_u32 s22, 0
	v_cndmask_b32_e64 v2, 0, -1, vcc
	s_cselect_b64 vcc, -1, 0
	v_cndmask_b32_e32 v2, -1, v2, vcc
	v_mov_b32_e32 v3, s19
	v_mov_b32_e32 v4, s21
	v_cmp_ne_u32_e32 vcc, 0, v2
	v_cndmask_b32_e32 v2, v3, v4, vcc
	v_cmp_le_u32_e32 vcc, s9, v1
	s_cmp_eq_u32 s11, 0
	v_cndmask_b32_e64 v1, 0, -1, vcc
	s_cselect_b64 vcc, -1, 0
	v_cndmask_b32_e32 v1, -1, v1, vcc
	v_mov_b32_e32 v3, s3
	v_cmp_ne_u32_e32 vcc, 0, v1
	v_cndmask_b32_e32 v1, v3, v2, vcc
	v_xor_b32_e32 v1, s10, v1
	v_subrev_co_u32_e32 v2, vcc, s10, v1
	s_cbranch_execnz .LBB17_6
.LBB17_5:
	v_cvt_f32_u32_e32 v1, s9
	s_sub_i32 s0, 0, s9
	s_mov_b32 s1, 0
	v_rcp_iflag_f32_e32 v1, v1
	v_mul_f32_e32 v1, 0x4f7ffffe, v1
	v_cvt_u32_f32_e32 v1, v1
	v_readfirstlane_b32 s3, v1
	s_mul_i32 s0, s0, s3
	s_mul_hi_u32 s0, s3, s0
	s_add_i32 s3, s3, s0
	s_mul_hi_u32 s0, s2, s3
	s_mul_i32 s10, s0, s9
	s_sub_i32 s2, s2, s10
	s_add_i32 s3, s0, 1
	s_sub_i32 s10, s2, s9
	s_cmp_ge_u32 s2, s9
	s_cselect_b32 s0, s3, s0
	s_cselect_b32 s2, s10, s2
	s_add_i32 s3, s0, 1
	s_cmp_ge_u32 s2, s9
	s_cselect_b32 s0, s3, s0
	v_pk_mov_b32 v[2:3], s[0:1], s[0:1] op_sel:[0,1]
.LBB17_6:
	s_waitcnt lgkmcnt(0)
	s_mul_hi_u32 s0, s20, s16
	s_add_i32 s0, s0, s20
	v_mul_hi_u32 v1, v2, s16
	s_lshr_b32 s19, s0, s17
	v_add_u32_e32 v1, v1, v2
	s_mul_i32 s0, s19, s18
	v_lshrrev_b32_e32 v1, s17, v1
	s_cmp_eq_u32 s0, s20
	v_cmp_eq_u32_e64 s[0:1], s19, v1
	v_mul_lo_u32 v1, v1, s18
	v_cmp_eq_u32_e32 vcc, s20, v2
	s_cselect_b64 s[10:11], -1, 0
	v_cmp_ne_u32_e64 s[2:3], v1, v2
	s_and_b64 s[0:1], s[0:1], s[2:3]
	s_or_b64 s[2:3], vcc, s[10:11]
	s_or_b64 s[0:1], s[2:3], s[0:1]
	s_and_b64 vcc, exec, s[0:1]
	s_cbranch_vccnz .LBB17_24
; %bb.7:
	s_load_dwordx8 s[24:31], s[4:5], 0x20
	s_load_dword s0, s[4:5], 0x40
	s_mov_b32 s10, 0
	s_waitcnt lgkmcnt(0)
	s_mul_hi_u32 s1, s20, s24
	s_add_i32 s1, s1, s20
	s_lshr_b32 s11, s1, s25
	s_mul_i32 s1, s11, s26
	s_sub_i32 s1, s20, s1
	s_mul_hi_u32 s2, s1, s27
	s_add_i32 s2, s1, s2
	s_lshr_b32 s23, s2, s28
	s_mul_i32 s2, s23, s29
	s_sub_i32 s1, s1, s2
	;; [unrolled: 5-line block ×3, first 2 shown]
	s_mul_hi_u32 s1, s0, s16
	s_add_i32 s0, s0, s1
	s_lshr_b32 s24, s0, s17
	s_lshl_b32 s0, s24, 4
	s_lshl_b32 s25, s2, 2
	s_add_i32 s0, s0, s7
	s_cmp_lt_i32 s0, s12
	s_cselect_b64 s[0:1], -1, 0
	s_add_i32 s25, s25, s8
	s_cmp_lt_i32 s25, s14
	s_cselect_b64 s[2:3], -1, 0
	s_and_b64 s[0:1], s[0:1], s[2:3]
	s_andn2_b64 vcc, exec, s[0:1]
	s_cbranch_vccnz .LBB17_24
; %bb.8:
	s_load_dwordx4 s[0:3], s[4:5], 0x0
	s_lshl_b32 s4, s7, 2
	s_add_i32 s8, s4, s8
	s_lshl_b32 s4, s9, 8
	s_mov_b32 s5, s10
	s_lshl_b64 s[4:5], s[4:5], 2
	s_waitcnt lgkmcnt(0)
	s_add_u32 s21, s2, s4
	s_mul_i32 s4, s11, s12
	s_addc_u32 s22, s3, s5
	s_mul_i32 s23, s23, s14
	s_add_i32 s4, s4, s7
	s_mul_i32 s4, s4, s13
	s_add_i32 s7, s25, s23
	;; [unrolled: 2-line block ×3, first 2 shown]
	s_mulk_i32 s5, 0x600
	s_mulk_i32 s4, 0x60
	s_add_i32 s5, s5, s4
	v_add_u32_e32 v2, s5, v0
	v_ashrrev_i32_e32 v3, 31, v2
	v_lshlrev_b64 v[2:3], 2, v[2:3]
	v_mov_b32_e32 v1, s1
	v_add_co_u32_e32 v2, vcc, s0, v2
	v_addc_co_u32_e32 v3, vcc, v1, v3, vcc
	global_load_dword v5, v[2:3], off
	s_mul_i32 s4, s8, 0x60
	v_add_u32_e32 v4, s4, v0
	v_cvt_f32_u32_e32 v0, s9
	v_cvt_f32_ubyte0_e32 v1, 0
	s_lshl_b32 s0, s6, 6
	s_add_i32 s0, s8, s0
	v_mac_f32_e32 v0, 0x4f800000, v1
	v_rcp_f32_e32 v0, v0
	v_cvt_f32_u32_e32 v1, s9
	s_ashr_i32 s1, s0, 31
	s_lshl_b64 s[0:1], s[0:1], 3
	v_mul_f32_e32 v0, 0x5f7ffffc, v0
	v_rcp_iflag_f32_e32 v1, v1
	s_add_u32 s0, s2, s0
	v_mul_f32_e32 v9, 0x2f800000, v0
	s_addc_u32 s1, s3, s1
	v_trunc_f32_e32 v10, v9
	s_load_dwordx2 s[0:1], s[0:1], 0x0
	v_mac_f32_e32 v0, 0xcf800000, v10
	v_cvt_u32_f32_e32 v9, v0
	v_mul_f32_e32 v0, 0x4f7ffffe, v1
	v_cvt_u32_f32_e32 v10, v10
	v_cvt_u32_f32_e32 v11, v0
	s_add_i32 s12, s6, -1
	s_waitcnt lgkmcnt(0)
	v_mov_b32_e32 v6, s1
	v_mov_b32_e32 v7, s0
	;; [unrolled: 1-line block ×3, first 2 shown]
	s_mov_b32 s6, 0x3fb8aa3b
	s_mov_b32 s7, 0xc2ce8ed0
	;; [unrolled: 1-line block ×4, first 2 shown]
	v_mov_b32_e32 v12, 0x7f800000
	s_mul_hi_i32 s11, s12, s15
	s_cmp_lg_u64 s[10:11], 0
	s_mul_i32 s4, s12, s15
	s_cbranch_scc0 .LBB17_15
.LBB17_9:
	s_sub_u32 s0, 0, s9
	v_readfirstlane_b32 s5, v9
	v_readfirstlane_b32 s24, v10
	s_subb_u32 s1, 0, 0
	s_mul_hi_u32 s23, s0, s5
	s_mul_i32 s25, s0, s24
	s_mul_i32 s20, s1, s5
	s_add_i32 s23, s23, s25
	s_add_i32 s23, s23, s20
	s_mul_i32 s26, s0, s5
	s_mul_hi_u32 s20, s5, s23
	s_mul_i32 s25, s5, s23
	s_mul_hi_u32 s5, s5, s26
	s_add_u32 s5, s5, s25
	s_addc_u32 s20, 0, s20
	s_mul_hi_u32 s27, s24, s26
	s_mul_i32 s26, s24, s26
	s_add_u32 s5, s5, s26
	s_mul_hi_u32 s25, s24, s23
	s_addc_u32 s5, s20, s27
	s_addc_u32 s20, s25, 0
	s_mul_i32 s23, s24, s23
	s_add_u32 s5, s5, s23
	s_addc_u32 s20, 0, s20
	v_add_co_u32_e32 v0, vcc, s5, v9
	s_cmp_lg_u64 vcc, 0
	s_addc_u32 s5, s24, s20
	v_readfirstlane_b32 s23, v0
	s_mul_i32 s20, s0, s5
	s_mul_hi_u32 s24, s0, s23
	s_add_i32 s20, s24, s20
	s_mul_i32 s1, s1, s23
	s_add_i32 s20, s20, s1
	s_mul_i32 s0, s0, s23
	s_mul_hi_u32 s24, s5, s0
	s_mul_i32 s25, s5, s0
	s_mul_i32 s27, s23, s20
	s_mul_hi_u32 s0, s23, s0
	s_mul_hi_u32 s26, s23, s20
	s_add_u32 s0, s0, s27
	s_addc_u32 s23, 0, s26
	s_add_u32 s0, s0, s25
	s_mul_hi_u32 s1, s5, s20
	s_addc_u32 s0, s23, s24
	s_addc_u32 s1, s1, 0
	s_mul_i32 s20, s5, s20
	s_add_u32 s0, s0, s20
	s_addc_u32 s1, 0, s1
	v_add_co_u32_e32 v0, vcc, s0, v0
	s_cmp_lg_u64 vcc, 0
	s_addc_u32 s5, s5, s1
	s_ashr_i32 s0, s11, 31
	s_add_u32 s24, s4, s0
	s_mov_b32 s1, s0
	s_addc_u32 s25, s11, s0
	s_xor_b64 s[24:25], s[24:25], s[0:1]
	v_readfirstlane_b32 s20, v0
	s_mul_i32 s11, s24, s5
	s_mul_hi_u32 s23, s24, s20
	s_mul_hi_u32 s1, s24, s5
	s_add_u32 s11, s23, s11
	s_addc_u32 s1, 0, s1
	s_mul_hi_u32 s26, s25, s20
	s_mul_i32 s20, s25, s20
	s_add_u32 s11, s11, s20
	s_mul_hi_u32 s23, s25, s5
	s_addc_u32 s1, s1, s26
	s_addc_u32 s11, s23, 0
	s_mul_i32 s5, s25, s5
	s_add_u32 s1, s1, s5
	s_addc_u32 s5, 0, s11
	s_mul_i32 s5, s9, s5
	s_mul_hi_u32 s23, s9, s1
	s_add_i32 s23, s23, s5
	s_mul_i32 s5, s9, s1
	v_mov_b32_e32 v0, s5
	s_add_u32 s11, s1, 1
	s_add_u32 s20, s1, 2
	v_sub_co_u32_e32 v0, vcc, s24, v0
	s_cmp_lg_u64 vcc, 0
	s_subb_u32 s5, s25, s23
	v_subrev_co_u32_e32 v1, vcc, s9, v0
	s_cmp_lg_u64 vcc, 0
	s_subb_u32 s23, s5, 0
	v_cmp_le_u32_e32 vcc, s9, v1
	s_cmp_eq_u32 s23, 0
	v_cndmask_b32_e64 v1, 0, -1, vcc
	s_cselect_b64 vcc, -1, 0
	v_cndmask_b32_e32 v1, -1, v1, vcc
	v_mov_b32_e32 v13, s11
	v_mov_b32_e32 v14, s20
	v_cmp_ne_u32_e32 vcc, 0, v1
	v_cndmask_b32_e32 v1, v13, v14, vcc
	v_cmp_le_u32_e32 vcc, s9, v0
	s_cmp_eq_u32 s5, 0
	v_cndmask_b32_e64 v0, 0, -1, vcc
	s_cselect_b64 vcc, -1, 0
	v_cndmask_b32_e32 v0, -1, v0, vcc
	v_mov_b32_e32 v13, s1
	v_cmp_ne_u32_e32 vcc, 0, v0
	v_cndmask_b32_e32 v0, v13, v1, vcc
	v_xor_b32_e32 v0, s0, v0
	v_subrev_co_u32_e32 v0, vcc, s0, v0
	s_cbranch_execnz .LBB17_11
.LBB17_10:
	s_sub_i32 s0, 0, s9
	v_mul_lo_u32 v0, s0, v11
	v_mul_hi_u32 v0, v11, v0
	v_add_u32_e32 v0, v11, v0
	v_mul_hi_u32 v0, s4, v0
	v_mul_lo_u32 v13, v0, s9
	v_sub_u32_e32 v13, s4, v13
	v_add_u32_e32 v1, 1, v0
	v_subrev_u32_e32 v14, s9, v13
	v_cmp_le_u32_e32 vcc, s9, v13
	v_cndmask_b32_e32 v13, v13, v14, vcc
	v_cndmask_b32_e32 v0, v0, v1, vcc
	v_add_u32_e32 v1, 1, v0
	v_cmp_le_u32_e32 vcc, s9, v13
	v_cndmask_b32_e32 v0, v0, v1, vcc
.LBB17_11:
	v_cmp_ne_u32_e32 vcc, v8, v0
	s_cbranch_vccz .LBB17_14
; %bb.12:
	s_add_i32 s0, s12, s9
	s_lshl_b32 s0, s0, 6
	v_mul_hi_u32 v1, v0, s16
	s_add_i32 s0, s0, s8
	s_mov_b32 s1, s10
	v_add_u32_e32 v1, v1, v0
	s_lshl_b64 s[0:1], s[0:1], 3
	v_lshrrev_b32_e32 v1, s17, v1
	s_add_u32 s4, s2, s0
	v_mul_lo_u32 v13, v1, s18
	s_addc_u32 s5, s3, s1
	v_cmp_eq_u32_e32 vcc, v13, v0
	v_cmp_gt_u32_e64 s[0:1], s19, v1
	s_or_b64 s[0:1], s[0:1], vcc
	s_and_b64 vcc, exec, s[0:1]
	s_cbranch_vccnz .LBB17_16
; %bb.13:
	s_add_i32 s11, s12, -1
	s_mov_b64 s[0:1], 0
	s_branch .LBB17_17
.LBB17_14:
                                        ; implicit-def: $sgpr0_sgpr1
                                        ; implicit-def: $vgpr14
                                        ; implicit-def: $vgpr1
                                        ; implicit-def: $vgpr13
                                        ; implicit-def: $sgpr11
                                        ; implicit-def: $vgpr0
	s_branch .LBB17_18
.LBB17_15:
                                        ; implicit-def: $vgpr0_vgpr1
	s_branch .LBB17_10
.LBB17_16:
	s_mov_b64 s[0:1], -1
	s_mov_b32 s11, s12
	v_mov_b32_e32 v0, v8
.LBB17_17:
	s_mul_i32 s20, s12, 0x1800
	v_add_u32_e32 v14, s20, v4
	v_ashrrev_i32_e32 v15, 31, v14
	v_lshlrev_b64 v[14:15], 2, v[14:15]
	v_mov_b32_e32 v1, s22
	v_add_co_u32_e32 v14, vcc, s21, v14
	v_addc_co_u32_e32 v15, vcc, v1, v15, vcc
	global_load_dword v14, v[14:15], off
	s_load_dwordx2 s[4:5], s[4:5], 0x0
	v_max_f32_e32 v1, v7, v7
	s_waitcnt lgkmcnt(0)
	v_max_f32_e64 v13, s4, s4
	v_max_f32_e32 v1, v1, v13
	v_sub_f32_e32 v13, v7, v1
	v_sub_f32_e32 v15, s4, v1
	v_mul_f32_e32 v16, 0x3fb8aa3b, v13
	v_mul_f32_e32 v17, 0x3fb8aa3b, v15
	v_fma_f32 v18, v13, s6, -v16
	v_rndne_f32_e32 v19, v16
	v_fma_f32 v20, v15, s6, -v17
	v_rndne_f32_e32 v21, v17
	v_fmac_f32_e32 v18, 0x32a5705f, v13
	v_sub_f32_e32 v16, v16, v19
	v_fmac_f32_e32 v20, 0x32a5705f, v15
	v_sub_f32_e32 v17, v17, v21
	v_add_f32_e32 v16, v16, v18
	v_cvt_i32_f32_e32 v19, v19
	v_add_f32_e32 v17, v17, v20
	v_exp_f32_e32 v16, v16
	v_cvt_i32_f32_e32 v21, v21
	v_exp_f32_e32 v17, v17
	v_cmp_ngt_f32_e32 vcc, s7, v13
	v_ldexp_f32 v16, v16, v19
	v_cndmask_b32_e32 v16, 0, v16, vcc
	v_ldexp_f32 v17, v17, v21
	v_cmp_ngt_f32_e32 vcc, s7, v15
	v_cndmask_b32_e32 v17, 0, v17, vcc
	v_cmp_nlt_f32_e32 vcc, s13, v13
	v_cndmask_b32_e32 v16, v12, v16, vcc
	v_cmp_nlt_f32_e32 vcc, s13, v15
	v_cndmask_b32_e32 v17, v12, v17, vcc
	v_cmp_le_f32_e32 vcc, s14, v13
	v_cndmask_b32_e32 v16, 0, v16, vcc
	v_cmp_le_f32_e32 vcc, s14, v15
	v_cndmask_b32_e32 v15, 0, v17, vcc
	v_mul_f32_e32 v13, s5, v15
	v_fmac_f32_e32 v13, v6, v16
	s_waitcnt vmcnt(0)
	v_mul_f32_e32 v14, v14, v15
	v_fmac_f32_e32 v14, v5, v16
	s_cbranch_execnz .LBB17_19
.LBB17_18:
	s_add_i32 s11, s12, -1
	s_mov_b64 s[0:1], 0
	v_mov_b32_e32 v0, v8
	v_mov_b32_e32 v13, v6
	;; [unrolled: 1-line block ×3, first 2 shown]
	s_waitcnt vmcnt(0)
	v_mov_b32_e32 v14, v5
.LBB17_19:
	s_andn2_b64 vcc, exec, s[0:1]
	s_cbranch_vccz .LBB17_23
; %bb.20:
	v_mov_b32_e32 v8, v0
	s_mov_b32 s12, s11
	v_mov_b32_e32 v6, v13
	v_mov_b32_e32 v7, v1
	s_waitcnt vmcnt(0)
	v_mov_b32_e32 v5, v14
	s_mul_hi_i32 s11, s12, s15
	s_cmp_lg_u64 s[10:11], 0
	s_mul_i32 s4, s12, s15
	s_cbranch_scc1 .LBB17_9
	s_branch .LBB17_15
.LBB17_21:
                                        ; implicit-def: $sgpr20_sgpr21
	s_load_dwordx4 s[16:19], s[4:5], 0x44
	s_branch .LBB17_2
.LBB17_22:
                                        ; implicit-def: $vgpr2_vgpr3
	s_branch .LBB17_5
.LBB17_23:
	v_div_scale_f32 v0, s[0:1], v13, v13, v14
	v_rcp_f32_e32 v1, v0
	v_div_scale_f32 v4, vcc, v14, v13, v14
	s_waitcnt vmcnt(0)
	v_fma_f32 v5, -v0, v1, 1.0
	v_fmac_f32_e32 v1, v5, v1
	v_mul_f32_e32 v5, v4, v1
	v_fma_f32 v6, -v0, v5, v4
	v_fmac_f32_e32 v5, v6, v1
	v_fma_f32 v0, -v0, v5, v4
	v_div_fmas_f32 v0, v0, v1, v5
	v_div_fixup_f32 v0, v0, v13, v14
	global_store_dword v[2:3], v0, off
.LBB17_24:
	s_endpgm
	.section	.rodata,"a",@progbits
	.p2align	6, 0x0
	.amdhsa_kernel _ZL33flash_attn_stream_k_fixup_generalILi96ELi16ELi4EEvPfPK15HIP_vector_typeIfLj2EEiiiiS1_IjLj3EES5_S5_S5_
		.amdhsa_group_segment_fixed_size 0
		.amdhsa_private_segment_fixed_size 0
		.amdhsa_kernarg_size 336
		.amdhsa_user_sgpr_count 6
		.amdhsa_user_sgpr_private_segment_buffer 1
		.amdhsa_user_sgpr_dispatch_ptr 0
		.amdhsa_user_sgpr_queue_ptr 0
		.amdhsa_user_sgpr_kernarg_segment_ptr 1
		.amdhsa_user_sgpr_dispatch_id 0
		.amdhsa_user_sgpr_flat_scratch_init 0
		.amdhsa_user_sgpr_kernarg_preload_length 0
		.amdhsa_user_sgpr_kernarg_preload_offset 0
		.amdhsa_user_sgpr_private_segment_size 0
		.amdhsa_uses_dynamic_stack 0
		.amdhsa_system_sgpr_private_segment_wavefront_offset 0
		.amdhsa_system_sgpr_workgroup_id_x 1
		.amdhsa_system_sgpr_workgroup_id_y 1
		.amdhsa_system_sgpr_workgroup_id_z 1
		.amdhsa_system_sgpr_workgroup_info 0
		.amdhsa_system_vgpr_workitem_id 0
		.amdhsa_next_free_vgpr 22
		.amdhsa_next_free_sgpr 32
		.amdhsa_accum_offset 24
		.amdhsa_reserve_vcc 1
		.amdhsa_reserve_flat_scratch 0
		.amdhsa_float_round_mode_32 0
		.amdhsa_float_round_mode_16_64 0
		.amdhsa_float_denorm_mode_32 3
		.amdhsa_float_denorm_mode_16_64 3
		.amdhsa_dx10_clamp 1
		.amdhsa_ieee_mode 1
		.amdhsa_fp16_overflow 0
		.amdhsa_tg_split 0
		.amdhsa_exception_fp_ieee_invalid_op 0
		.amdhsa_exception_fp_denorm_src 0
		.amdhsa_exception_fp_ieee_div_zero 0
		.amdhsa_exception_fp_ieee_overflow 0
		.amdhsa_exception_fp_ieee_underflow 0
		.amdhsa_exception_fp_ieee_inexact 0
		.amdhsa_exception_int_div_zero 0
	.end_amdhsa_kernel
	.section	.text._ZL33flash_attn_stream_k_fixup_generalILi96ELi16ELi4EEvPfPK15HIP_vector_typeIfLj2EEiiiiS1_IjLj3EES5_S5_S5_,"axG",@progbits,_ZL33flash_attn_stream_k_fixup_generalILi96ELi16ELi4EEvPfPK15HIP_vector_typeIfLj2EEiiiiS1_IjLj3EES5_S5_S5_,comdat
.Lfunc_end17:
	.size	_ZL33flash_attn_stream_k_fixup_generalILi96ELi16ELi4EEvPfPK15HIP_vector_typeIfLj2EEiiiiS1_IjLj3EES5_S5_S5_, .Lfunc_end17-_ZL33flash_attn_stream_k_fixup_generalILi96ELi16ELi4EEvPfPK15HIP_vector_typeIfLj2EEiiiiS1_IjLj3EES5_S5_S5_
                                        ; -- End function
	.section	.AMDGPU.csdata,"",@progbits
; Kernel info:
; codeLenInByte = 2828
; NumSgprs: 36
; NumVgprs: 22
; NumAgprs: 0
; TotalNumVgprs: 22
; ScratchSize: 0
; MemoryBound: 0
; FloatMode: 240
; IeeeMode: 1
; LDSByteSize: 0 bytes/workgroup (compile time only)
; SGPRBlocks: 4
; VGPRBlocks: 2
; NumSGPRsForWavesPerEU: 36
; NumVGPRsForWavesPerEU: 22
; AccumOffset: 24
; Occupancy: 8
; WaveLimiterHint : 0
; COMPUTE_PGM_RSRC2:SCRATCH_EN: 0
; COMPUTE_PGM_RSRC2:USER_SGPR: 6
; COMPUTE_PGM_RSRC2:TRAP_HANDLER: 0
; COMPUTE_PGM_RSRC2:TGID_X_EN: 1
; COMPUTE_PGM_RSRC2:TGID_Y_EN: 1
; COMPUTE_PGM_RSRC2:TGID_Z_EN: 1
; COMPUTE_PGM_RSRC2:TIDIG_COMP_CNT: 0
; COMPUTE_PGM_RSRC3_GFX90A:ACCUM_OFFSET: 5
; COMPUTE_PGM_RSRC3_GFX90A:TG_SPLIT: 0
	.section	.text._ZL26flash_attn_combine_resultsILi96EEvPKfPK15HIP_vector_typeIfLj2EEPfi,"axG",@progbits,_ZL26flash_attn_combine_resultsILi96EEvPKfPK15HIP_vector_typeIfLj2EEPfi,comdat
	.globl	_ZL26flash_attn_combine_resultsILi96EEvPKfPK15HIP_vector_typeIfLj2EEPfi ; -- Begin function _ZL26flash_attn_combine_resultsILi96EEvPKfPK15HIP_vector_typeIfLj2EEPfi
	.p2align	8
	.type	_ZL26flash_attn_combine_resultsILi96EEvPKfPK15HIP_vector_typeIfLj2EEPfi,@function
_ZL26flash_attn_combine_resultsILi96EEvPKfPK15HIP_vector_typeIfLj2EEPfi: ; @_ZL26flash_attn_combine_resultsILi96EEvPKfPK15HIP_vector_typeIfLj2EEPfi
; %bb.0:
	s_load_dwordx2 s[0:1], s[4:5], 0x20
	s_load_dword s21, s[4:5], 0x18
	s_load_dwordx4 s[16:19], s[4:5], 0x0
	s_load_dwordx2 s[14:15], s[4:5], 0x10
	s_waitcnt lgkmcnt(0)
	s_mul_i32 s0, s0, s8
	s_add_i32 s0, s0, s6
	s_mul_i32 s20, s0, s1
	s_add_i32 s20, s20, s7
	s_lshl_b32 s10, s21, 1
	s_mul_i32 s0, s20, s21
	v_cmp_gt_i32_e32 vcc, s10, v0
	s_and_saveexec_b64 s[2:3], vcc
	s_cbranch_execz .LBB18_13
; %bb.1:
	v_xad_u32 v1, v0, -1, s10
	s_movk_i32 s4, 0x5f
	s_ashr_i32 s1, s0, 31
	v_cmp_lt_u32_e32 vcc, s4, v1
	s_mov_b64 s[6:7], -1
	v_mov_b32_e32 v2, v0
	s_and_saveexec_b64 s[4:5], vcc
	s_cbranch_execz .LBB18_10
; %bb.2:
	s_mov_b32 s6, 0xaaaaaaab
	v_mul_hi_u32 v1, v1, s6
	v_lshrrev_b32_e32 v6, 6, v1
	s_lshl_b64 s[6:7], s[0:1], 3
	v_add_u32_e32 v2, -1, v6
	s_add_u32 s11, s18, s6
	v_add_u32_e32 v1, 0x60, v0
	v_lshrrev_b32_e32 v3, 1, v2
	s_addc_u32 s12, s19, s7
	v_add_u32_e32 v7, 1, v3
	v_cmp_lt_u32_e32 vcc, 13, v2
	v_mov_b32_e32 v4, 0
	v_pk_mov_b32 v[2:3], v[0:1], v[0:1] op_sel:[0,1]
	s_and_saveexec_b64 s[6:7], vcc
	s_cbranch_execz .LBB18_6
; %bb.3:
	v_and_b32_e32 v8, -8, v7
	s_mov_b32 s13, 0
	v_lshl_add_u32 v9, v0, 2, 0
	s_mov_b64 s[8:9], 0
	v_mov_b32_e32 v10, s12
	v_mov_b32_e32 v5, 0
	v_pk_mov_b32 v[2:3], v[0:1], v[0:1] op_sel:[0,1]
.LBB18_4:                               ; =>This Inner Loop Header: Depth=1
	v_mov_b32_e32 v4, v2
	v_lshlrev_b64 v[26:27], 2, v[4:5]
	v_add_u32_e32 v12, 0xc0, v3
	v_mov_b32_e32 v13, v5
	v_add_co_u32_e32 v26, vcc, s11, v26
	v_lshlrev_b64 v[12:13], 2, v[12:13]
	v_addc_co_u32_e32 v27, vcc, v10, v27, vcc
	v_add_u32_e32 v14, 0x180, v3
	v_mov_b32_e32 v15, v5
	v_add_co_u32_e32 v12, vcc, s11, v12
	v_lshlrev_b64 v[14:15], 2, v[14:15]
	v_addc_co_u32_e32 v13, vcc, v10, v13, vcc
	;; [unrolled: 5-line block ×7, first 2 shown]
	v_mov_b32_e32 v4, v3
	v_add_co_u32_e32 v24, vcc, s11, v24
	v_lshlrev_b64 v[28:29], 2, v[4:5]
	v_addc_co_u32_e32 v25, vcc, v10, v25, vcc
	v_add_u32_e32 v4, 0xc0, v2
	v_add_co_u32_e32 v28, vcc, s11, v28
	v_addc_co_u32_e32 v29, vcc, v10, v29, vcc
	global_load_dword v1, v[26:27], off
	v_lshlrev_b64 v[26:27], 2, v[4:5]
	v_add_u32_e32 v4, 0x180, v2
	v_add_co_u32_e32 v26, vcc, s11, v26
	v_addc_co_u32_e32 v27, vcc, v10, v27, vcc
	v_lshlrev_b64 v[30:31], 2, v[4:5]
	v_add_u32_e32 v4, 0x240, v2
	global_load_dword v11, v[28:29], off
	global_load_dword v32, v[26:27], off
	;; [unrolled: 1-line block ×3, first 2 shown]
	v_add_co_u32_e32 v12, vcc, s11, v30
	v_addc_co_u32_e32 v13, vcc, v10, v31, vcc
	v_lshlrev_b64 v[26:27], 2, v[4:5]
	v_add_u32_e32 v4, 0x300, v2
	v_add_co_u32_e32 v26, vcc, s11, v26
	v_addc_co_u32_e32 v27, vcc, v10, v27, vcc
	v_lshlrev_b64 v[28:29], 2, v[4:5]
	v_add_u32_e32 v4, 0x3c0, v2
	global_load_dword v30, v[12:13], off
	global_load_dword v31, v[14:15], off
	;; [unrolled: 1-line block ×4, first 2 shown]
	v_add_co_u32_e32 v12, vcc, s11, v28
	v_addc_co_u32_e32 v13, vcc, v10, v29, vcc
	v_lshlrev_b64 v[14:15], 2, v[4:5]
	v_add_u32_e32 v4, 0x480, v2
	v_add_co_u32_e32 v14, vcc, s11, v14
	v_addc_co_u32_e32 v15, vcc, v10, v15, vcc
	v_lshlrev_b64 v[16:17], 2, v[4:5]
	v_add_u32_e32 v4, 0x540, v2
	global_load_dword v26, v[12:13], off
	global_load_dword v27, v[18:19], off
	;; [unrolled: 1-line block ×4, first 2 shown]
	v_add_co_u32_e32 v12, vcc, s11, v16
	v_addc_co_u32_e32 v13, vcc, v10, v17, vcc
	v_lshlrev_b64 v[14:15], 2, v[4:5]
	v_add_co_u32_e32 v14, vcc, s11, v14
	v_addc_co_u32_e32 v15, vcc, v10, v15, vcc
	global_load_dword v16, v[12:13], off
	global_load_dword v17, v[22:23], off
	;; [unrolled: 1-line block ×4, first 2 shown]
	v_add_u32_e32 v8, -8, v8
	s_add_i32 s13, s13, 16
	v_cmp_eq_u32_e32 vcc, 0, v8
	v_add_u32_e32 v12, 0x200, v9
	v_add_u32_e32 v13, 0x400, v9
	;; [unrolled: 1-line block ×8, first 2 shown]
	v_mov_b32_e32 v4, s13
	s_or_b64 s[8:9], vcc, s[8:9]
	v_add_u32_e32 v2, 0x600, v2
	s_waitcnt vmcnt(14)
	ds_write2_b32 v9, v1, v11 offset1:96
	v_add_u32_e32 v9, 0x1800, v9
	s_waitcnt vmcnt(12)
	ds_write2_b32 v12, v32, v33 offset0:64 offset1:160
	s_waitcnt vmcnt(10)
	ds_write2_b32 v13, v30, v31 offset0:128 offset1:224
	;; [unrolled: 2-line block ×3, first 2 shown]
	s_waitcnt vmcnt(6)
	ds_write2_b32 v15, v26, v27 offset1:96
	s_waitcnt vmcnt(4)
	ds_write2_b32 v20, v28, v29 offset0:64 offset1:160
	s_waitcnt vmcnt(2)
	ds_write2_b32 v21, v16, v17 offset0:128 offset1:224
	;; [unrolled: 2-line block ×3, first 2 shown]
	s_andn2_b64 exec, exec, s[8:9]
	s_cbranch_execnz .LBB18_4
; %bb.5:
	s_or_b64 exec, exec, s[8:9]
.LBB18_6:
	s_or_b64 exec, exec, s[6:7]
	v_and_b32_e32 v1, 7, v7
	v_cmp_ne_u32_e32 vcc, 0, v1
	s_and_saveexec_b64 s[6:7], vcc
	s_cbranch_execz .LBB18_9
; %bb.7:
	s_movk_i32 s8, 0x180
	v_mul_lo_u32 v4, v4, s8
	v_lshlrev_b32_e32 v5, 2, v0
	v_add3_u32 v7, v4, v5, 0
	s_mov_b64 s[8:9], 0
	v_mov_b32_e32 v8, s12
	v_mov_b32_e32 v5, 0
.LBB18_8:                               ; =>This Inner Loop Header: Depth=1
	v_mov_b32_e32 v4, v2
	v_lshlrev_b64 v[10:11], 2, v[4:5]
	v_mov_b32_e32 v4, v3
	v_add_co_u32_e32 v10, vcc, s11, v10
	v_addc_co_u32_e32 v11, vcc, v8, v11, vcc
	v_lshlrev_b64 v[12:13], 2, v[4:5]
	v_add_co_u32_e32 v12, vcc, s11, v12
	v_addc_co_u32_e32 v13, vcc, v8, v13, vcc
	global_load_dword v4, v[10:11], off
	global_load_dword v9, v[12:13], off
	v_add_u32_e32 v1, -1, v1
	v_cmp_eq_u32_e32 vcc, 0, v1
	v_add_u32_e32 v2, 0xc0, v2
	v_add_u32_e32 v3, 0xc0, v3
	s_or_b64 s[8:9], vcc, s[8:9]
	s_waitcnt vmcnt(0)
	ds_write2_b32 v7, v4, v9 offset1:96
	v_add_u32_e32 v7, 0x300, v7
	s_andn2_b64 exec, exec, s[8:9]
	s_cbranch_execnz .LBB18_8
.LBB18_9:
	s_or_b64 exec, exec, s[6:7]
	v_add_u32_e32 v1, 1, v6
	v_and_b32_e32 v4, 0x7fffffe, v1
	s_movk_i32 s6, 0x60
	v_mad_u64_u32 v[2:3], s[6:7], v4, s6, v[0:1]
	v_cmp_ne_u32_e32 vcc, v1, v4
	s_orn2_b64 s[6:7], vcc, exec
.LBB18_10:
	s_or_b64 exec, exec, s[4:5]
	s_and_b64 exec, exec, s[6:7]
	s_cbranch_execz .LBB18_13
; %bb.11:
	s_lshl_b64 s[4:5], s[0:1], 3
	v_mov_b32_e32 v3, 0
	s_add_u32 s1, s18, s4
	v_lshlrev_b64 v[4:5], 2, v[2:3]
	s_addc_u32 s4, s19, s5
	v_mov_b32_e32 v1, s4
	v_add_co_u32_e32 v4, vcc, s1, v4
	v_addc_co_u32_e32 v5, vcc, v1, v5, vcc
	v_lshl_add_u32 v1, v2, 2, 0
	s_mov_b64 s[4:5], 0
.LBB18_12:                              ; =>This Inner Loop Header: Depth=1
	global_load_dword v3, v[4:5], off
	v_add_co_u32_e32 v4, vcc, 0x180, v4
	v_add_u32_e32 v2, 0x60, v2
	v_addc_co_u32_e32 v5, vcc, 0, v5, vcc
	v_cmp_le_i32_e32 vcc, s10, v2
	s_or_b64 s[4:5], vcc, s[4:5]
	s_waitcnt vmcnt(0)
	ds_write_b32 v1, v3
	v_add_u32_e32 v1, 0x180, v1
	s_andn2_b64 exec, exec, s[4:5]
	s_cbranch_execnz .LBB18_12
.LBB18_13:
	s_or_b64 exec, exec, s[2:3]
	v_mov_b32_e32 v1, 0
	s_waitcnt lgkmcnt(0)
	s_barrier
	ds_read_b32 v1, v1
	s_cmp_lt_i32 s21, 2
	s_cbranch_scc1 .LBB18_21
; %bb.14:
	s_add_i32 s1, s21, -1
	s_add_i32 s2, s21, -2
	s_cmp_lt_u32 s2, 7
	s_cbranch_scc1 .LBB18_18
; %bb.15:
	s_mov_b32 s4, 0
	s_add_i32 s2, 0, 8
	s_and_b32 s3, s1, -8
.LBB18_16:                              ; =>This Inner Loop Header: Depth=1
	v_mov_b32_e32 v8, s2
	ds_read2_b32 v[2:3], v8 offset1:2
	ds_read2_b32 v[4:5], v8 offset0:4 offset1:6
	ds_read2_b32 v[6:7], v8 offset0:8 offset1:10
	;; [unrolled: 1-line block ×3, first 2 shown]
	s_mov_b32 s5, s4
	s_waitcnt lgkmcnt(3)
	v_max3_f32 v1, v1, v2, v3
	s_waitcnt lgkmcnt(2)
	v_max3_f32 v1, v1, v4, v5
	s_add_i32 s2, s2, 64
	s_add_i32 s4, s4, 8
	s_waitcnt lgkmcnt(1)
	v_max3_f32 v1, v1, v6, v7
	s_cmp_eq_u32 s3, s4
	s_waitcnt lgkmcnt(0)
	v_max3_f32 v1, v1, v8, v9
	s_cbranch_scc0 .LBB18_16
; %bb.17:
	s_add_i32 s2, s5, 9
	s_and_b32 s1, s1, 7
	s_cmp_eq_u32 s1, 0
	s_cbranch_scc0 .LBB18_19
	s_branch .LBB18_21
.LBB18_18:
	s_mov_b32 s2, 1
	s_and_b32 s1, s1, 7
	s_cmp_eq_u32 s1, 0
	s_cbranch_scc1 .LBB18_21
.LBB18_19:
	s_lshl_b32 s2, s2, 3
	s_add_i32 s2, s2, 0
.LBB18_20:                              ; =>This Inner Loop Header: Depth=1
	v_mov_b32_e32 v2, s2
	ds_read_b32 v2, v2
	s_waitcnt lgkmcnt(1)
	v_max_f32_e32 v1, v1, v1
	s_add_i32 s2, s2, 8
	s_add_i32 s1, s1, -1
	s_cmp_lg_u32 s1, 0
	s_waitcnt lgkmcnt(0)
	v_max_f32_e32 v2, v2, v2
	v_max_f32_e32 v1, v1, v2
	s_cbranch_scc1 .LBB18_20
.LBB18_21:
	s_cmp_lt_i32 s21, 1
	s_cbranch_scc1 .LBB18_26
; %bb.22:
	s_mul_i32 s18, s0, 0x60
	s_ashr_i32 s19, s18, 31
	s_cmp_lt_u32 s21, 8
	v_mov_b32_e32 v8, 0
	s_cbranch_scc1 .LBB18_27
; %bb.23:
	s_lshl_b64 s[0:1], s[18:19], 2
	s_add_u32 s23, s16, s0
	s_addc_u32 s0, s17, s1
	v_lshlrev_b32_e32 v2, 2, v0
	v_mov_b32_e32 v10, s0
	v_add_co_u32_e32 v2, vcc, s23, v2
	v_addc_co_u32_e32 v3, vcc, 0, v10, vcc
	v_add_co_u32_e32 v2, vcc, 0x180, v2
	s_and_b32 s22, s21, 0x7ffffff8
	v_addc_co_u32_e32 v3, vcc, 0, v3, vcc
	v_or_b32_e32 v4, 0x180, v0
	s_mov_b32 s24, 0
	v_mov_b32_e32 v7, 0
	s_mov_b32 s25, 0x3fb8aa3b
	s_mov_b32 s26, 0xc2ce8ed0
	;; [unrolled: 1-line block ×3, first 2 shown]
	v_mov_b32_e32 v11, 0x7f800000
	s_mov_b32 s28, 0
	v_mov_b32_e32 v9, 0
	v_mov_b32_e32 v8, 0
.LBB18_24:                              ; =>This Inner Loop Header: Depth=1
	v_add_u32_e32 v6, 0xfffffe80, v4
	global_load_dword v36, v[2:3], off
	v_add_co_u32_e32 v2, vcc, 0xc00, v2
	v_lshlrev_b64 v[28:29], 2, v[6:7]
	v_addc_co_u32_e32 v3, vcc, 0, v3, vcc
	v_mov_b32_e32 v5, v7
	v_add_co_u32_e32 v28, vcc, s23, v28
	v_lshlrev_b64 v[30:31], 2, v[4:5]
	v_addc_co_u32_e32 v29, vcc, v10, v29, vcc
	v_add_u32_e32 v6, 0xffffff40, v4
	v_add_co_u32_e32 v30, vcc, s23, v30
	v_lshlrev_b64 v[32:33], 2, v[6:7]
	v_addc_co_u32_e32 v31, vcc, v10, v31, vcc
	v_add_u32_e32 v6, 0xffffffa0, v4
	v_add_co_u32_e32 v32, vcc, s23, v32
	v_mov_b32_e32 v24, s24
	v_addc_co_u32_e32 v33, vcc, v10, v33, vcc
	v_lshlrev_b64 v[34:35], 2, v[6:7]
	ds_read2_b64 v[12:15], v24 offset1:1
	ds_read2_b64 v[16:19], v24 offset0:2 offset1:3
	ds_read2_b64 v[20:23], v24 offset0:4 offset1:5
	;; [unrolled: 1-line block ×3, first 2 shown]
	v_add_u32_e32 v6, 0x60, v4
	global_load_dword v5, v[28:29], off
	global_load_dword v37, v[32:33], off
	v_add_co_u32_e32 v28, vcc, s23, v34
	v_addc_co_u32_e32 v29, vcc, v10, v35, vcc
	v_lshlrev_b64 v[32:33], 2, v[6:7]
	v_add_u32_e32 v6, 0xc0, v4
	v_add_co_u32_e32 v32, vcc, s23, v32
	v_addc_co_u32_e32 v33, vcc, v10, v33, vcc
	v_lshlrev_b64 v[34:35], 2, v[6:7]
	v_add_u32_e32 v6, 0x120, v4
	global_load_dword v38, v[28:29], off
	global_load_dword v39, v[30:31], off
	v_add_co_u32_e32 v28, vcc, s23, v34
	v_addc_co_u32_e32 v29, vcc, v10, v35, vcc
	v_lshlrev_b64 v[30:31], 2, v[6:7]
	global_load_dword v32, v[32:33], off
	v_add_co_u32_e32 v30, vcc, s23, v30
	v_addc_co_u32_e32 v31, vcc, v10, v31, vcc
	global_load_dword v30, v[30:31], off
	s_waitcnt lgkmcnt(3)
	v_sub_f32_e32 v12, v12, v1
	global_load_dword v28, v[28:29], off
	v_sub_f32_e32 v14, v14, v1
	v_mul_f32_e32 v6, 0x3fb8aa3b, v12
	s_waitcnt lgkmcnt(2)
	v_sub_f32_e32 v16, v16, v1
	v_mul_f32_e32 v33, 0x3fb8aa3b, v14
	v_fma_f32 v29, v12, s25, -v6
	v_rndne_f32_e32 v44, v6
	v_sub_f32_e32 v18, v18, v1
	s_waitcnt lgkmcnt(1)
	v_sub_f32_e32 v20, v20, v1
	v_mul_f32_e32 v34, 0x3fb8aa3b, v16
	v_fma_f32 v45, v14, s25, -v33
	v_rndne_f32_e32 v46, v33
	v_fmac_f32_e32 v29, 0x32a5705f, v12
	v_sub_f32_e32 v6, v6, v44
	v_mul_f32_e32 v35, 0x3fb8aa3b, v18
	v_mul_f32_e32 v40, 0x3fb8aa3b, v20
	v_fma_f32 v47, v16, s25, -v34
	v_rndne_f32_e32 v48, v34
	v_add_f32_e32 v6, v6, v29
	v_fmac_f32_e32 v45, 0x32a5705f, v14
	v_sub_f32_e32 v33, v33, v46
	v_sub_f32_e32 v22, v22, v1
	s_waitcnt lgkmcnt(0)
	v_sub_f32_e32 v24, v24, v1
	v_fma_f32 v49, v18, s25, -v35
	v_rndne_f32_e32 v50, v35
	v_fma_f32 v31, v20, s25, -v40
	v_rndne_f32_e32 v29, v40
	v_add_f32_e32 v33, v33, v45
	v_fmac_f32_e32 v47, 0x32a5705f, v16
	v_sub_f32_e32 v34, v34, v48
	v_cvt_i32_f32_e32 v44, v44
	v_exp_f32_e32 v6, v6
	v_mul_f32_e32 v41, 0x3fb8aa3b, v22
	v_mul_f32_e32 v42, 0x3fb8aa3b, v24
	v_add_f32_e32 v34, v34, v47
	v_fmac_f32_e32 v49, 0x32a5705f, v18
	v_sub_f32_e32 v35, v35, v50
	v_fmac_f32_e32 v31, 0x32a5705f, v20
	v_sub_f32_e32 v40, v40, v29
	v_cvt_i32_f32_e32 v46, v46
	v_exp_f32_e32 v33, v33
	v_sub_f32_e32 v26, v26, v1
	v_fma_f32 v45, v22, s25, -v41
	v_rndne_f32_e32 v47, v41
	v_add_f32_e32 v35, v35, v49
	v_fma_f32 v49, v24, s25, -v42
	v_add_f32_e32 v31, v40, v31
	v_rndne_f32_e32 v40, v42
	v_cvt_i32_f32_e32 v48, v48
	v_exp_f32_e32 v34, v34
	v_mul_f32_e32 v43, 0x3fb8aa3b, v26
	v_fmac_f32_e32 v45, 0x32a5705f, v22
	v_sub_f32_e32 v41, v41, v47
	v_fmac_f32_e32 v49, 0x32a5705f, v24
	v_sub_f32_e32 v42, v42, v40
	v_cvt_i32_f32_e32 v50, v50
	v_exp_f32_e32 v35, v35
	v_add_f32_e32 v41, v41, v45
	v_fma_f32 v45, v26, s25, -v43
	v_add_f32_e32 v42, v42, v49
	v_rndne_f32_e32 v49, v43
	v_cvt_i32_f32_e32 v29, v29
	v_exp_f32_e32 v31, v31
	v_ldexp_f32 v6, v6, v44
	v_cmp_ngt_f32_e64 s[12:13], s26, v12
	v_cvt_i32_f32_e32 v47, v47
	v_fmac_f32_e32 v45, 0x32a5705f, v26
	v_sub_f32_e32 v43, v43, v49
	v_exp_f32_e32 v41, v41
	v_ldexp_f32 v33, v33, v46
	v_cmp_ngt_f32_e32 vcc, s26, v14
	v_cndmask_b32_e64 v6, 0, v6, s[12:13]
	v_cmp_nlt_f32_e64 s[12:13], s27, v12
	v_cvt_i32_f32_e32 v40, v40
	v_add_f32_e32 v43, v43, v45
	v_exp_f32_e32 v42, v42
	v_ldexp_f32 v34, v34, v48
	v_cmp_ngt_f32_e64 s[0:1], s26, v16
	v_cndmask_b32_e32 v33, 0, v33, vcc
	v_cmp_nlt_f32_e32 vcc, s27, v14
	v_cndmask_b32_e64 v6, v11, v6, s[12:13]
	v_cvt_i32_f32_e32 v49, v49
	v_exp_f32_e32 v43, v43
	v_ldexp_f32 v35, v35, v50
	v_cmp_ngt_f32_e64 s[2:3], s26, v18
	v_cndmask_b32_e64 v14, 0, v34, s[0:1]
	v_cmp_nlt_f32_e64 s[0:1], s27, v16
	v_cndmask_b32_e32 v12, v11, v33, vcc
	v_fmac_f32_e32 v9, v6, v13
	s_waitcnt vmcnt(6)
	v_fmac_f32_e32 v8, v5, v6
	v_ldexp_f32 v29, v31, v29
	v_cmp_ngt_f32_e64 s[4:5], s26, v20
	v_cndmask_b32_e64 v16, 0, v35, s[2:3]
	v_cmp_nlt_f32_e64 s[2:3], s27, v18
	v_cndmask_b32_e64 v14, v11, v14, s[0:1]
	v_fmac_f32_e32 v9, v12, v15
	v_fmac_f32_e32 v8, v36, v12
	v_ldexp_f32 v31, v41, v47
	v_cmp_ngt_f32_e64 s[6:7], s26, v22
	v_cndmask_b32_e64 v18, 0, v29, s[4:5]
	v_cmp_nlt_f32_e64 s[4:5], s27, v20
	v_cndmask_b32_e64 v16, v11, v16, s[2:3]
	v_fmac_f32_e32 v9, v14, v17
	s_waitcnt vmcnt(5)
	v_fmac_f32_e32 v8, v37, v14
	v_ldexp_f32 v40, v42, v40
	v_cmp_ngt_f32_e64 s[8:9], s26, v24
	v_cndmask_b32_e64 v20, 0, v31, s[6:7]
	v_cmp_nlt_f32_e64 s[6:7], s27, v22
	v_cndmask_b32_e64 v18, v11, v18, s[4:5]
	v_fmac_f32_e32 v9, v16, v19
	s_waitcnt vmcnt(4)
	;; [unrolled: 8-line block ×3, first 2 shown]
	v_fmac_f32_e32 v8, v39, v18
	v_cndmask_b32_e64 v24, 0, v41, s[10:11]
	v_cmp_nlt_f32_e64 s[10:11], s27, v26
	v_cndmask_b32_e64 v22, v11, v22, s[8:9]
	v_fmac_f32_e32 v9, v20, v23
	s_waitcnt vmcnt(2)
	v_fmac_f32_e32 v8, v32, v20
	s_add_i32 s28, s28, 8
	s_add_i32 s24, s24, 64
	v_cndmask_b32_e64 v24, v11, v24, s[10:11]
	v_fmac_f32_e32 v9, v22, v25
	s_waitcnt vmcnt(0)
	v_fmac_f32_e32 v8, v28, v22
	s_cmp_eq_u32 s22, s28
	v_add_u32_e32 v4, 0x300, v4
	v_fmac_f32_e32 v9, v24, v27
	v_fmac_f32_e32 v8, v30, v24
	s_cbranch_scc0 .LBB18_24
; %bb.25:
	s_and_b32 s0, s21, 7
	s_cmp_eq_u32 s0, 0
	s_cbranch_scc0 .LBB18_28
	s_branch .LBB18_30
.LBB18_26:
	s_waitcnt lgkmcnt(0)
	v_mov_b32_e32 v1, 0x7fc00000
	s_branch .LBB18_31
.LBB18_27:
	s_mov_b32 s22, 0
	v_mov_b32_e32 v9, 0
	s_and_b32 s0, s21, 7
	s_cmp_eq_u32 s0, 0
	s_cbranch_scc1 .LBB18_30
.LBB18_28:
	s_lshl_b64 s[2:3], s[18:19], 2
	s_mul_i32 s1, s22, 0x60
	v_add_u32_e32 v2, s1, v0
	v_mov_b32_e32 v3, 0
	s_add_u32 s1, s16, s2
	v_lshlrev_b64 v[2:3], 2, v[2:3]
	s_addc_u32 s2, s17, s3
	v_mov_b32_e32 v4, s2
	v_add_co_u32_e32 v2, vcc, s1, v2
	s_lshl_b32 s1, s22, 3
	v_addc_co_u32_e32 v3, vcc, v4, v3, vcc
	s_add_i32 s1, s1, 0
	s_mov_b32 s2, 0x3fb8aa3b
	s_mov_b32 s3, 0xc2ce8ed0
	;; [unrolled: 1-line block ×3, first 2 shown]
	v_mov_b32_e32 v4, 0x7f800000
.LBB18_29:                              ; =>This Inner Loop Header: Depth=1
	global_load_dword v5, v[2:3], off
	v_mov_b32_e32 v6, s1
	ds_read_b64 v[6:7], v6
	v_add_co_u32_e32 v2, vcc, 0x180, v2
	v_addc_co_u32_e32 v3, vcc, 0, v3, vcc
	s_waitcnt lgkmcnt(0)
	v_sub_f32_e32 v6, v6, v1
	v_mul_f32_e32 v10, 0x3fb8aa3b, v6
	v_fma_f32 v11, v6, s2, -v10
	v_rndne_f32_e32 v12, v10
	v_fmac_f32_e32 v11, 0x32a5705f, v6
	v_sub_f32_e32 v10, v10, v12
	v_add_f32_e32 v10, v10, v11
	v_cvt_i32_f32_e32 v12, v12
	v_exp_f32_e32 v10, v10
	v_cmp_ngt_f32_e32 vcc, s3, v6
	s_add_i32 s1, s1, 8
	s_add_i32 s0, s0, -1
	v_ldexp_f32 v10, v10, v12
	v_cndmask_b32_e32 v10, 0, v10, vcc
	v_cmp_nlt_f32_e32 vcc, s4, v6
	v_cndmask_b32_e32 v6, v4, v10, vcc
	s_cmp_lg_u32 s0, 0
	v_fmac_f32_e32 v9, v6, v7
	s_waitcnt vmcnt(0)
	v_fmac_f32_e32 v8, v5, v6
	s_cbranch_scc1 .LBB18_29
.LBB18_30:
	s_waitcnt lgkmcnt(0)
	v_div_scale_f32 v1, s[0:1], v9, v9, v8
	v_rcp_f32_e32 v2, v1
	v_div_scale_f32 v3, vcc, v8, v9, v8
	v_fma_f32 v4, -v1, v2, 1.0
	v_fmac_f32_e32 v2, v4, v2
	v_mul_f32_e32 v4, v3, v2
	v_fma_f32 v5, -v1, v4, v3
	v_fmac_f32_e32 v4, v5, v2
	v_fma_f32 v1, -v1, v4, v3
	v_div_fmas_f32 v1, v1, v2, v4
	v_div_fixup_f32 v1, v1, v9, v8
.LBB18_31:
	s_mul_i32 s0, s20, 0x60
	s_ashr_i32 s1, s0, 31
	s_lshl_b64 s[0:1], s[0:1], 2
	s_add_u32 s0, s14, s0
	s_addc_u32 s1, s15, s1
	v_lshlrev_b32_e32 v0, 2, v0
	global_store_dword v0, v1, s[0:1]
	s_endpgm
	.section	.rodata,"a",@progbits
	.p2align	6, 0x0
	.amdhsa_kernel _ZL26flash_attn_combine_resultsILi96EEvPKfPK15HIP_vector_typeIfLj2EEPfi
		.amdhsa_group_segment_fixed_size 0
		.amdhsa_private_segment_fixed_size 0
		.amdhsa_kernarg_size 288
		.amdhsa_user_sgpr_count 6
		.amdhsa_user_sgpr_private_segment_buffer 1
		.amdhsa_user_sgpr_dispatch_ptr 0
		.amdhsa_user_sgpr_queue_ptr 0
		.amdhsa_user_sgpr_kernarg_segment_ptr 1
		.amdhsa_user_sgpr_dispatch_id 0
		.amdhsa_user_sgpr_flat_scratch_init 0
		.amdhsa_user_sgpr_kernarg_preload_length 0
		.amdhsa_user_sgpr_kernarg_preload_offset 0
		.amdhsa_user_sgpr_private_segment_size 0
		.amdhsa_uses_dynamic_stack 0
		.amdhsa_system_sgpr_private_segment_wavefront_offset 0
		.amdhsa_system_sgpr_workgroup_id_x 1
		.amdhsa_system_sgpr_workgroup_id_y 1
		.amdhsa_system_sgpr_workgroup_id_z 1
		.amdhsa_system_sgpr_workgroup_info 0
		.amdhsa_system_vgpr_workitem_id 0
		.amdhsa_next_free_vgpr 51
		.amdhsa_next_free_sgpr 29
		.amdhsa_accum_offset 52
		.amdhsa_reserve_vcc 1
		.amdhsa_reserve_flat_scratch 0
		.amdhsa_float_round_mode_32 0
		.amdhsa_float_round_mode_16_64 0
		.amdhsa_float_denorm_mode_32 3
		.amdhsa_float_denorm_mode_16_64 3
		.amdhsa_dx10_clamp 1
		.amdhsa_ieee_mode 1
		.amdhsa_fp16_overflow 0
		.amdhsa_tg_split 0
		.amdhsa_exception_fp_ieee_invalid_op 0
		.amdhsa_exception_fp_denorm_src 0
		.amdhsa_exception_fp_ieee_div_zero 0
		.amdhsa_exception_fp_ieee_overflow 0
		.amdhsa_exception_fp_ieee_underflow 0
		.amdhsa_exception_fp_ieee_inexact 0
		.amdhsa_exception_int_div_zero 0
	.end_amdhsa_kernel
	.section	.text._ZL26flash_attn_combine_resultsILi96EEvPKfPK15HIP_vector_typeIfLj2EEPfi,"axG",@progbits,_ZL26flash_attn_combine_resultsILi96EEvPKfPK15HIP_vector_typeIfLj2EEPfi,comdat
.Lfunc_end18:
	.size	_ZL26flash_attn_combine_resultsILi96EEvPKfPK15HIP_vector_typeIfLj2EEPfi, .Lfunc_end18-_ZL26flash_attn_combine_resultsILi96EEvPKfPK15HIP_vector_typeIfLj2EEPfi
                                        ; -- End function
	.section	.AMDGPU.csdata,"",@progbits
; Kernel info:
; codeLenInByte = 3168
; NumSgprs: 33
; NumVgprs: 51
; NumAgprs: 0
; TotalNumVgprs: 51
; ScratchSize: 0
; MemoryBound: 0
; FloatMode: 240
; IeeeMode: 1
; LDSByteSize: 0 bytes/workgroup (compile time only)
; SGPRBlocks: 4
; VGPRBlocks: 6
; NumSGPRsForWavesPerEU: 33
; NumVGPRsForWavesPerEU: 51
; AccumOffset: 52
; Occupancy: 8
; WaveLimiterHint : 0
; COMPUTE_PGM_RSRC2:SCRATCH_EN: 0
; COMPUTE_PGM_RSRC2:USER_SGPR: 6
; COMPUTE_PGM_RSRC2:TRAP_HANDLER: 0
; COMPUTE_PGM_RSRC2:TGID_X_EN: 1
; COMPUTE_PGM_RSRC2:TGID_Y_EN: 1
; COMPUTE_PGM_RSRC2:TGID_Z_EN: 1
; COMPUTE_PGM_RSRC2:TIDIG_COMP_CNT: 0
; COMPUTE_PGM_RSRC3_GFX90A:ACCUM_OFFSET: 12
; COMPUTE_PGM_RSRC3_GFX90A:TG_SPLIT: 0
	.section	.text._ZL18flash_attn_ext_f16ILi112ELi112ELi16ELi4ELb0ELb0EEvPKcS1_S1_S1_S1_PKiPfP15HIP_vector_typeIfLj2EEffffjfiS5_IjLj3EEiiiiiiiiiiiliiliiiiil,"axG",@progbits,_ZL18flash_attn_ext_f16ILi112ELi112ELi16ELi4ELb0ELb0EEvPKcS1_S1_S1_S1_PKiPfP15HIP_vector_typeIfLj2EEffffjfiS5_IjLj3EEiiiiiiiiiiiliiliiiiil,comdat
	.globl	_ZL18flash_attn_ext_f16ILi112ELi112ELi16ELi4ELb0ELb0EEvPKcS1_S1_S1_S1_PKiPfP15HIP_vector_typeIfLj2EEffffjfiS5_IjLj3EEiiiiiiiiiiiliiliiiiil ; -- Begin function _ZL18flash_attn_ext_f16ILi112ELi112ELi16ELi4ELb0ELb0EEvPKcS1_S1_S1_S1_PKiPfP15HIP_vector_typeIfLj2EEffffjfiS5_IjLj3EEiiiiiiiiiiiliiliiiiil
	.p2align	8
	.type	_ZL18flash_attn_ext_f16ILi112ELi112ELi16ELi4ELb0ELb0EEvPKcS1_S1_S1_S1_PKiPfP15HIP_vector_typeIfLj2EEffffjfiS5_IjLj3EEiiiiiiiiiiiliiliiiiil,@function
_ZL18flash_attn_ext_f16ILi112ELi112ELi16ELi4ELb0ELb0EEvPKcS1_S1_S1_S1_PKiPfP15HIP_vector_typeIfLj2EEffffjfiS5_IjLj3EEiiiiiiiiiiiliiliiiiil: ; @_ZL18flash_attn_ext_f16ILi112ELi112ELi16ELi4ELb0ELb0EEvPKcS1_S1_S1_S1_PKiPfP15HIP_vector_typeIfLj2EEffffjfiS5_IjLj3EEiiiiiiiiiiiliiliiiiil
; %bb.0:
	s_load_dwordx2 s[2:3], s[4:5], 0x80
	s_load_dwordx4 s[28:31], s[4:5], 0x64
	s_mov_b32 s20, s6
                                        ; implicit-def: $vgpr238 : SGPR spill to VGPR lane
	s_load_dword s21, s[4:5], 0xd0
	s_mov_b32 s0, 0
	s_waitcnt lgkmcnt(0)
	s_abs_i32 s1, s3
	v_cvt_f32_u32_e32 v1, s1
	s_sub_i32 s8, 0, s1
	s_abs_i32 s7, s29
	s_xor_b32 s6, s29, s3
	v_rcp_iflag_f32_e32 v1, v1
	s_ashr_i32 s6, s6, 31
	v_cvt_f32_ubyte0_e32 v3, 0
	v_mul_f32_e32 v1, 0x4f7ffffe, v1
	v_cvt_u32_f32_e32 v1, v1
	v_readfirstlane_b32 s9, v1
	s_mul_i32 s8, s8, s9
	s_mul_hi_u32 s8, s9, s8
	s_add_i32 s9, s9, s8
	s_mul_hi_u32 s8, s7, s9
	s_mul_i32 s9, s8, s1
	s_sub_i32 s7, s7, s9
	s_add_i32 s10, s8, 1
	s_sub_i32 s9, s7, s1
	s_cmp_ge_u32 s7, s1
	s_cselect_b32 s8, s10, s8
	s_cselect_b32 s7, s9, s7
	s_add_i32 s9, s8, 1
	s_cmp_ge_u32 s7, s1
	s_cselect_b32 s1, s9, s8
	s_add_i32 s2, s2, 63
	s_xor_b32 s1, s1, s6
	s_ashr_i32 s7, s2, 31
	s_sub_i32 s33, s1, s6
	s_lshr_b32 s1, s7, 26
	s_add_i32 s2, s2, s1
	s_add_i32 s1, s28, 15
	s_lshr_b32 s6, s1, 4
	s_add_i32 s1, s33, 3
	s_ashr_i32 s7, s2, 6
	s_ashr_i32 s2, s1, 31
	s_lshr_b32 s2, s2, 30
	s_add_i32 s1, s1, s2
	s_ashr_i32 s1, s1, 2
	s_mul_i32 s89, s6, s7
	v_writelane_b32 v238, s6, 0
	s_mul_i32 s1, s89, s1
	v_writelane_b32 v238, s1, 1
	s_mul_i32 s1, s1, s3
	s_mul_i32 s6, s1, s30
	s_ashr_i32 s8, s6, 31
	v_writelane_b32 v238, s1, 2
	s_mul_i32 s1, s8, s20
	s_mul_hi_u32 s2, s6, s20
	s_add_i32 s1, s2, s1
	v_cvt_f32_u32_e32 v1, s21
	s_add_u32 s2, s4, 0xd0
	s_addc_u32 s3, s5, 0
	s_mul_i32 s9, s6, s20
	v_writelane_b32 v238, s2, 3
	s_cmp_lg_u64 s[0:1], 0
	v_writelane_b32 v238, s3, 4
	s_cbranch_scc0 .LBB19_2
; %bb.1:
	v_madmk_f32 v2, v3, 0x4f800000, v1
	v_rcp_f32_e32 v2, v2
	s_sub_u32 s0, 0, s21
	s_subb_u32 s10, 0, 0
	s_mov_b64 s[2:3], 0
	v_mul_f32_e32 v2, 0x5f7ffffc, v2
	v_mul_f32_e32 v4, 0x2f800000, v2
	v_trunc_f32_e32 v4, v4
	v_madmk_f32 v2, v4, 0xcf800000, v2
	v_cvt_u32_f32_e32 v4, v4
	v_cvt_u32_f32_e32 v2, v2
	v_readfirstlane_b32 s11, v4
	v_readfirstlane_b32 s12, v2
	s_mul_hi_u32 s14, s0, s12
	s_mul_i32 s15, s0, s11
	s_mul_i32 s13, s10, s12
	s_add_i32 s14, s14, s15
	s_add_i32 s14, s14, s13
	s_mul_i32 s16, s0, s12
	s_mul_hi_u32 s13, s12, s14
	s_mul_i32 s15, s12, s14
	s_mul_hi_u32 s12, s12, s16
	s_add_u32 s12, s12, s15
	s_addc_u32 s13, 0, s13
	s_mul_hi_u32 s17, s11, s16
	s_mul_i32 s16, s11, s16
	s_add_u32 s12, s12, s16
	s_mul_hi_u32 s15, s11, s14
	s_addc_u32 s12, s13, s17
	s_addc_u32 s13, s15, 0
	s_mul_i32 s14, s11, s14
	s_add_u32 s12, s12, s14
	s_addc_u32 s13, 0, s13
	v_add_co_u32_e32 v2, vcc, s12, v2
	s_cmp_lg_u64 vcc, 0
	s_addc_u32 s11, s11, s13
	v_readfirstlane_b32 s13, v2
	s_mul_i32 s12, s0, s11
	s_mul_hi_u32 s14, s0, s13
	s_add_i32 s12, s14, s12
	s_mul_i32 s10, s10, s13
	s_add_i32 s12, s12, s10
	s_mul_i32 s0, s0, s13
	s_mul_hi_u32 s14, s11, s0
	s_mul_i32 s15, s11, s0
	s_mul_i32 s17, s13, s12
	s_mul_hi_u32 s0, s13, s0
	s_mul_hi_u32 s16, s13, s12
	s_add_u32 s0, s0, s17
	s_addc_u32 s13, 0, s16
	s_add_u32 s0, s0, s15
	s_mul_hi_u32 s10, s11, s12
	s_addc_u32 s0, s13, s14
	s_addc_u32 s10, s10, 0
	s_mul_i32 s12, s11, s12
	s_add_u32 s0, s0, s12
	s_addc_u32 s10, 0, s10
	v_add_co_u32_e32 v2, vcc, s0, v2
	s_cmp_lg_u64 vcc, 0
	s_addc_u32 s12, s11, s10
	s_ashr_i32 s10, s1, 31
	s_add_u32 s0, s9, s10
	s_mov_b32 s11, s10
	s_addc_u32 s1, s1, s10
	s_xor_b64 s[0:1], s[0:1], s[10:11]
	v_readfirstlane_b32 s15, v2
	s_mul_i32 s14, s0, s12
	s_mul_hi_u32 s16, s0, s15
	s_mul_hi_u32 s13, s0, s12
	s_add_u32 s14, s16, s14
	s_addc_u32 s13, 0, s13
	s_mul_hi_u32 s17, s1, s15
	s_mul_i32 s15, s1, s15
	s_add_u32 s14, s14, s15
	s_mul_hi_u32 s16, s1, s12
	s_addc_u32 s13, s13, s17
	s_addc_u32 s14, s16, 0
	s_mul_i32 s12, s1, s12
	s_add_u32 s12, s13, s12
	s_addc_u32 s13, 0, s14
	s_add_u32 s14, s12, 1
	s_addc_u32 s15, s13, 0
	s_add_u32 s16, s12, 2
	s_mul_i32 s18, s21, s13
	s_mul_hi_u32 s19, s21, s12
	s_addc_u32 s17, s13, 0
	s_add_i32 s19, s19, s18
	s_mul_i32 s18, s21, s12
	v_mov_b32_e32 v2, s18
	v_sub_co_u32_e32 v2, vcc, s0, v2
	s_cmp_lg_u64 vcc, 0
	s_subb_u32 s0, s1, s19
	v_subrev_co_u32_e32 v4, vcc, s21, v2
	s_cmp_lg_u64 vcc, 0
	s_subb_u32 s1, s0, 0
	v_readfirstlane_b32 s18, v4
	s_cmp_ge_u32 s18, s21
	s_cselect_b32 s18, -1, 0
	s_cmp_eq_u32 s1, 0
	s_cselect_b32 s1, s18, -1
	s_cmp_lg_u32 s1, 0
	s_cselect_b32 s1, s17, s15
	v_readfirstlane_b32 s15, v2
	s_cselect_b32 s14, s16, s14
	s_cmp_ge_u32 s15, s21
	s_cselect_b32 s15, -1, 0
	s_cmp_eq_u32 s0, 0
	s_cselect_b32 s0, s15, -1
	s_cmp_lg_u32 s0, 0
	s_cselect_b32 s1, s1, s13
	s_cselect_b32 s0, s14, s12
	s_xor_b64 s[0:1], s[0:1], s[10:11]
	s_sub_u32 s54, s0, s10
	s_branch .LBB19_3
.LBB19_2:
	s_mov_b64 s[2:3], -1
                                        ; implicit-def: $sgpr54_sgpr55
.LBB19_3:
	s_load_dwordx2 s[0:1], s[4:5], 0x74
	v_cvt_f32_u32_e32 v2, s21
	s_andn2_b64 vcc, exec, s[2:3]
	s_waitcnt lgkmcnt(0)
	v_writelane_b32 v238, s0, 5
	v_writelane_b32 v238, s1, 6
	s_cbranch_vccnz .LBB19_5
; %bb.4:
	v_rcp_iflag_f32_e32 v4, v2
	s_sub_i32 s0, 0, s21
	v_mul_f32_e32 v4, 0x4f7ffffe, v4
	v_cvt_u32_f32_e32 v4, v4
	v_readfirstlane_b32 s1, v4
	s_mul_i32 s0, s0, s1
	s_mul_hi_u32 s0, s1, s0
	s_add_i32 s1, s1, s0
	s_mul_hi_u32 s0, s9, s1
	s_mul_i32 s2, s0, s21
	s_sub_i32 s2, s9, s2
	s_add_i32 s1, s0, 1
	s_sub_i32 s3, s2, s21
	s_cmp_ge_u32 s2, s21
	s_cselect_b32 s0, s1, s0
	s_cselect_b32 s2, s3, s2
	s_add_i32 s1, s0, 1
	s_cmp_ge_u32 s2, s21
	s_cselect_b32 s54, s1, s0
.LBB19_5:
	s_add_i32 s0, s20, 1
	s_mul_i32 s1, s8, s0
	s_mul_hi_u32 s2, s6, s0
	s_add_i32 s3, s2, s1
	s_mov_b32 s2, 0
	s_cmp_lg_u64 s[2:3], 0
	s_mul_i32 s2, s6, s0
	s_cbranch_scc0 .LBB19_7
; %bb.6:
	v_madmk_f32 v1, v3, 0x4f800000, v1
	v_rcp_f32_e32 v1, v1
	s_sub_u32 s6, 0, s21
	s_subb_u32 s8, 0, 0
	s_mov_b64 s[0:1], 0
	v_mul_f32_e32 v1, 0x5f7ffffc, v1
	v_mul_f32_e32 v3, 0x2f800000, v1
	v_trunc_f32_e32 v3, v3
	v_madmk_f32 v1, v3, 0xcf800000, v1
	v_cvt_u32_f32_e32 v3, v3
	v_cvt_u32_f32_e32 v1, v1
	v_readfirstlane_b32 s9, v3
	v_readfirstlane_b32 s10, v1
	s_mul_hi_u32 s12, s6, s10
	s_mul_i32 s13, s6, s9
	s_mul_i32 s11, s8, s10
	s_add_i32 s12, s12, s13
	s_add_i32 s12, s12, s11
	s_mul_i32 s14, s6, s10
	s_mul_hi_u32 s11, s10, s12
	s_mul_i32 s13, s10, s12
	s_mul_hi_u32 s10, s10, s14
	s_add_u32 s10, s10, s13
	s_addc_u32 s11, 0, s11
	s_mul_hi_u32 s15, s9, s14
	s_mul_i32 s14, s9, s14
	s_add_u32 s10, s10, s14
	s_mul_hi_u32 s13, s9, s12
	s_addc_u32 s10, s11, s15
	s_addc_u32 s11, s13, 0
	s_mul_i32 s12, s9, s12
	s_add_u32 s10, s10, s12
	s_addc_u32 s11, 0, s11
	v_add_co_u32_e32 v1, vcc, s10, v1
	s_cmp_lg_u64 vcc, 0
	s_addc_u32 s9, s9, s11
	v_readfirstlane_b32 s11, v1
	s_mul_i32 s10, s6, s9
	s_mul_hi_u32 s12, s6, s11
	s_add_i32 s10, s12, s10
	s_mul_i32 s8, s8, s11
	s_add_i32 s10, s10, s8
	s_mul_i32 s6, s6, s11
	s_mul_hi_u32 s12, s9, s6
	s_mul_i32 s13, s9, s6
	s_mul_i32 s15, s11, s10
	s_mul_hi_u32 s6, s11, s6
	s_mul_hi_u32 s14, s11, s10
	s_add_u32 s6, s6, s15
	s_addc_u32 s11, 0, s14
	s_add_u32 s6, s6, s13
	s_mul_hi_u32 s8, s9, s10
	s_addc_u32 s6, s11, s12
	s_addc_u32 s8, s8, 0
	s_mul_i32 s10, s9, s10
	s_add_u32 s6, s6, s10
	s_addc_u32 s8, 0, s8
	v_add_co_u32_e32 v1, vcc, s6, v1
	s_cmp_lg_u64 vcc, 0
	s_addc_u32 s6, s9, s8
	s_ashr_i32 s8, s3, 31
	s_add_u32 s10, s2, s8
	s_mov_b32 s9, s8
	s_addc_u32 s11, s3, s8
	s_xor_b64 s[10:11], s[10:11], s[8:9]
	v_readfirstlane_b32 s13, v1
	s_mul_i32 s12, s10, s6
	s_mul_hi_u32 s14, s10, s13
	s_mul_hi_u32 s3, s10, s6
	s_add_u32 s12, s14, s12
	s_addc_u32 s3, 0, s3
	s_mul_hi_u32 s15, s11, s13
	s_mul_i32 s13, s11, s13
	s_add_u32 s12, s12, s13
	s_mul_hi_u32 s14, s11, s6
	s_addc_u32 s3, s3, s15
	s_addc_u32 s12, s14, 0
	s_mul_i32 s6, s11, s6
	s_add_u32 s3, s3, s6
	s_addc_u32 s6, 0, s12
	s_add_u32 s12, s3, 1
	s_addc_u32 s13, s6, 0
	s_add_u32 s14, s3, 2
	s_mul_i32 s16, s21, s6
	s_mul_hi_u32 s17, s21, s3
	s_addc_u32 s15, s6, 0
	s_add_i32 s17, s17, s16
	s_mul_i32 s16, s21, s3
	v_mov_b32_e32 v1, s16
	v_sub_co_u32_e32 v1, vcc, s10, v1
	s_cmp_lg_u64 vcc, 0
	s_subb_u32 s10, s11, s17
	v_subrev_co_u32_e32 v3, vcc, s21, v1
	s_cmp_lg_u64 vcc, 0
	s_subb_u32 s11, s10, 0
	v_readfirstlane_b32 s16, v3
	s_cmp_ge_u32 s16, s21
	s_cselect_b32 s16, -1, 0
	s_cmp_eq_u32 s11, 0
	s_cselect_b32 s11, s16, -1
	s_cmp_lg_u32 s11, 0
	s_cselect_b32 s11, s15, s13
	v_readfirstlane_b32 s13, v1
	s_cselect_b32 s12, s14, s12
	s_cmp_ge_u32 s13, s21
	s_cselect_b32 s13, -1, 0
	s_cmp_eq_u32 s10, 0
	s_cselect_b32 s10, s13, -1
	s_cmp_lg_u32 s10, 0
	s_cselect_b32 s11, s11, s6
	s_cselect_b32 s10, s12, s3
	s_xor_b64 s[10:11], s[10:11], s[8:9]
	s_sub_u32 s6, s10, s8
	v_writelane_b32 v238, s6, 8
	v_writelane_b32 v238, s7, 9
	s_branch .LBB19_8
.LBB19_7:
	s_mov_b64 s[0:1], -1
                                        ; implicit-def: $sgpr8_sgpr9
                                        ; kill: killed $sgpr8_sgpr9
.LBB19_8:
	s_load_dwordx2 s[46:47], s[4:5], 0x5c
	s_andn2_b64 vcc, exec, s[0:1]
	v_writelane_b32 v238, s20, 7
	s_cbranch_vccnz .LBB19_10
; %bb.9:
	v_rcp_iflag_f32_e32 v1, v2
	s_sub_i32 s0, 0, s21
	v_mul_f32_e32 v1, 0x4f7ffffe, v1
	v_cvt_u32_f32_e32 v1, v1
	v_readfirstlane_b32 s1, v1
	s_mul_i32 s0, s0, s1
	s_mul_hi_u32 s0, s1, s0
	s_add_i32 s1, s1, s0
	s_mul_hi_u32 s0, s2, s1
	s_mul_i32 s3, s0, s21
	s_sub_i32 s2, s2, s3
	s_add_i32 s1, s0, 1
	s_sub_i32 s3, s2, s21
	s_cmp_ge_u32 s2, s21
	s_cselect_b32 s0, s1, s0
	s_cselect_b32 s2, s3, s2
	s_add_i32 s1, s0, 1
	s_cmp_ge_u32 s2, s21
	s_cselect_b32 s0, s1, s0
	v_writelane_b32 v238, s0, 8
	v_writelane_b32 v238, s1, 9
.LBB19_10:
	v_writelane_b32 v238, s21, 10
	s_load_dwordx16 s[12:27], s[4:5], 0x0
	s_load_dword s6, s[4:5], 0x40
	s_load_dwordx2 s[2:3], s[4:5], 0x8c
	s_load_dwordx4 s[36:39], s[4:5], 0x98
	s_load_dwordx2 s[0:1], s[4:5], 0xa8
	s_abs_i32 s59, s7
	v_cvt_f32_u32_e32 v1, s59
	s_waitcnt lgkmcnt(0)
	s_ashr_i32 s40, s2, 2
	s_sub_i32 s2, 0, s59
	v_writelane_b32 v238, s0, 11
	v_writelane_b32 v238, s1, 12
	s_load_dwordx2 s[10:11], s[4:5], 0xb8
	s_load_dwordx2 s[0:1], s[4:5], 0xc8
	v_rcp_iflag_f32_e32 v1, v1
	s_ashr_i32 s55, s31, 3
	s_ashr_i32 s30, s38, 2
	s_waitcnt lgkmcnt(0)
	s_ashr_i32 s44, s11, 1
	v_mul_f32_e32 v1, 0x4f7ffffe, v1
	v_writelane_b32 v238, s0, 13
	v_cvt_u32_f32_e32 v1, v1
	v_writelane_b32 v238, s1, 14
	v_readlane_b32 s0, v238, 5
	v_readlane_b32 s1, v238, 6
	s_mov_b32 s1, s3
	v_readfirstlane_b32 s3, v1
	s_ashr_i32 s73, s0, 3
	v_writelane_b32 v238, s0, 15
	s_mul_i32 s2, s2, s3
	v_writelane_b32 v238, s1, 16
	s_ashr_i32 s1, s7, 31
	s_mul_hi_u32 s2, s3, s2
	v_writelane_b32 v238, s1, 17
	s_abs_i32 s1, s54
	s_add_i32 s76, s3, s2
	s_mul_hi_u32 s2, s1, s76
	s_mul_i32 s2, s2, s59
	s_sub_i32 s1, s1, s2
	s_ashr_i32 s0, s54, 31
	s_sub_i32 s2, s1, s59
	s_cmp_ge_u32 s1, s59
	s_cselect_b32 s1, s2, s1
	s_sub_i32 s2, s1, s59
	s_cmp_ge_u32 s1, s59
	s_cselect_b32 s1, s2, s1
	s_xor_b32 s1, s1, s0
	s_sub_i32 s34, s1, s0
	v_readlane_b32 s0, v238, 8
	s_mov_b32 s8, s0
	s_sub_i32 s0, s0, s54
	s_add_i32 s2, s0, s34
	s_min_i32 s86, s7, s2
	s_cmp_gt_i32 s8, s54
	v_readlane_b32 s1, v238, 9
	s_cselect_b64 s[4:5], -1, 0
	s_cmp_le_i32 s8, s54
	v_cvt_f16_f32_e32 v1, s6
	s_cselect_b64 s[0:1], -1, 0
	s_cmp_gt_i32 s7, s2
	s_cselect_b64 s[2:3], -1, 0
	s_or_b64 s[0:1], s[2:3], s[0:1]
	v_bfe_u32 v59, v0, 10, 10
	s_mov_b32 s61, 0
	s_and_b64 vcc, exec, s[0:1]
	v_pack_b32_f16 v61, v1, v1
	v_lshlrev_b32_e32 v63, 4, v59
	v_writelane_b32 v238, s73, 18
	s_cbranch_vccnz .LBB19_299
; %bb.11:
	v_writelane_b32 v238, s46, 21
	s_cmp_eq_u64 s[20:21], 0
	v_writelane_b32 v238, s47, 22
	s_cselect_b64 s[0:1], -1, 0
	v_writelane_b32 v238, s0, 23
	s_cmp_lg_u64 s[22:23], 0
	v_and_b32_e32 v1, 0x3ff, v0
	v_writelane_b32 v238, s1, 24
	s_cselect_b64 s[0:1], -1, 0
	v_lshrrev_b32_e32 v2, 3, v1
	v_writelane_b32 v238, s0, 25
	v_and_b32_e32 v26, 15, v1
	v_lshlrev_b32_e32 v15, 2, v2
	v_writelane_b32 v238, s1, 26
	v_lshl_add_u32 v14, v59, 3, v2
	v_mul_u32_u24_e32 v3, 0xf0, v26
	v_and_b32_e32 v2, 0x78, v15
	v_add3_u32 v65, 0, v3, v2
	v_lshrrev_b32_e32 v2, 1, v1
	v_lshrrev_b32_e32 v7, 2, v1
	v_readlane_b32 s6, v238, 7
	s_movk_i32 s3, 0xf0
	v_lshl_add_u32 v6, v59, 5, v2
	v_add_u32_e32 v12, v63, v7
	s_lshl_b32 s60, s6, 6
	s_ashr_i32 s45, s44, 31
	s_ashr_i32 s41, s40, 31
	v_cmp_gt_u32_e64 s[0:1], 64, v6
	v_mul_u32_u24_e32 v16, 0xf0, v6
	v_mad_u32_u24 v4, v6, s3, 0
	v_mul_lo_u32 v2, s40, v6
	v_lshlrev_b32_e32 v17, 2, v1
	v_mad_u32_u24 v19, v12, s3, 0
	v_mad_u32_u24 v20, v14, s3, 0
	s_ashr_i32 s31, s30, 31
	v_mul_lo_u32 v10, s30, v6
	v_or_b32_e32 v6, 3, v7
	s_add_i32 s3, 0, 0xf00
	s_add_i32 s4, 0, 0x1e00
	s_add_i32 s5, 0, 0x2d00
	s_add_i32 s8, 0, 0xf20
	s_add_i32 s9, 0, 0x1e20
	s_mov_b32 s64, s10
	s_add_i32 s10, 0, 0x2d20
	s_add_i32 s11, 0, 0xf40
	;; [unrolled: 1-line block ×20, first 2 shown]
	s_lshl_b64 s[62:63], s[60:61], 3
	v_mul_u32_u24_e32 v24, 0xf0, v6
	v_lshlrev_b32_e32 v27, 1, v26
	v_and_b32_e32 v32, 12, v17
	s_add_u32 s6, s26, s62
	v_readlane_b32 s74, v238, 1
	v_and_b32_e32 v30, 4, v17
	v_add3_u32 v73, 0, v24, v27
	s_movk_i32 s51, 0x80
	v_lshlrev_b32_e32 v24, 2, v32
	v_and_b32_e32 v34, 28, v17
	s_addc_u32 s60, s27, s63
	s_abs_i32 s62, s74
	v_lshlrev_b32_e32 v18, 2, v30
	s_movk_i32 s2, 0xc0
	v_add_u32_e32 v22, 0x1e00, v20
	v_add3_u32 v89, v19, v24, s51
	v_lshlrev_b32_e32 v17, 2, v34
	v_cvt_f32_u32_e32 v24, s62
	v_add3_u32 v67, v4, v18, s2
	v_add_u32_e32 v91, v20, v17
	v_add_u32_e32 v93, v22, v17
	;; [unrolled: 1-line block ×3, first 2 shown]
	v_or_b32_e32 v18, v63, v1
	v_and_b32_e32 v28, 7, v1
	v_lshlrev_b32_e32 v18, 3, v18
	v_add_co_u32_e32 v38, vcc, s6, v18
	v_lshlrev_b32_e32 v18, 2, v28
	v_add_u32_e32 v95, v20, v18
	v_add_u32_e32 v97, v22, v18
	v_rcp_iflag_f32_e32 v18, v24
	v_readlane_b32 s75, v238, 2
	v_mov_b32_e32 v19, s60
	s_abs_i32 s6, s75
	v_addc_co_u32_e32 v39, vcc, 0, v19, vcc
	v_cvt_f32_u32_e32 v19, s6
	s_abs_i32 s63, s89
	v_add3_u32 v99, v17, v16, s2
	v_mul_f32_e32 v17, 0x4f7ffffe, v18
	v_cvt_f32_u32_e32 v18, s63
	v_rcp_iflag_f32_e32 v19, v19
	v_cvt_u32_f32_e32 v17, v17
	s_mov_b32 s60, s64
	v_rcp_iflag_f32_e32 v18, v18
	v_mul_f32_e32 v16, 0x4f7ffffe, v19
	v_writelane_b32 v238, s60, 27
	s_abs_i32 s64, s64
	v_ashrrev_i32_e32 v11, 31, v10
	v_cvt_u32_f32_e32 v16, v16
	v_writelane_b32 v238, s61, 28
	v_cvt_f32_u32_e32 v19, s64
	v_readfirstlane_b32 s60, v17
	v_mul_f32_e32 v17, 0x4f7ffffe, v18
	v_and_b32_e32 v18, 1, v1
	v_lshlrev_b32_e32 v18, 4, v18
	v_lshlrev_b64 v[40:41], 2, v[10:11]
	v_add_co_u32_e32 v10, vcc, v18, v40
	v_mul_lo_u32 v4, s40, v12
	v_mul_lo_u32 v12, s30, v12
	v_addc_co_u32_e32 v11, vcc, 0, v41, vcc
	v_ashrrev_i32_e32 v13, 31, v12
	v_and_b32_e32 v36, 3, v1
	v_readfirstlane_b32 s69, v16
	v_rcp_iflag_f32_e32 v16, v19
	v_mov_b32_e32 v19, s17
	v_add_co_u32_e32 v10, vcc, s16, v10
	v_addc_co_u32_e32 v11, vcc, v11, v19, vcc
	v_lshlrev_b32_e32 v19, 4, v36
	v_lshlrev_b64 v[42:43], 2, v[12:13]
	v_add_co_u32_e32 v12, vcc, v19, v42
	v_mul_lo_u32 v8, s30, v14
	v_addc_co_u32_e32 v13, vcc, 0, v43, vcc
	v_ashrrev_i32_e32 v9, 31, v8
	v_mov_b32_e32 v20, s17
	v_add_co_u32_e32 v12, vcc, s16, v12
	v_addc_co_u32_e32 v13, vcc, v13, v20, vcc
	v_lshlrev_b32_e32 v20, 4, v28
	v_lshlrev_b64 v[44:45], 2, v[8:9]
	v_add_u32_e32 v21, 32, v14
	v_add_co_u32_e32 v8, vcc, v20, v44
	v_mul_lo_u32 v6, s30, v21
	v_addc_co_u32_e32 v9, vcc, 0, v45, vcc
	v_and_b32_e32 v23, 60, v7
	v_ashrrev_i32_e32 v7, 31, v6
	v_mov_b32_e32 v22, s17
	v_add_co_u32_e32 v108, vcc, s16, v8
	v_addc_co_u32_e32 v109, vcc, v22, v9, vcc
	v_lshlrev_b64 v[46:47], 2, v[6:7]
	v_add_co_u32_e32 v6, vcc, v20, v46
	v_addc_co_u32_e32 v7, vcc, 0, v47, vcc
	v_ashrrev_i32_e32 v3, 31, v2
	v_mov_b32_e32 v8, s17
	v_add_co_u32_e32 v110, vcc, s16, v6
	v_addc_co_u32_e32 v111, vcc, v8, v7, vcc
	v_lshlrev_b64 v[48:49], 2, v[2:3]
	v_add_co_u32_e32 v2, vcc, v18, v48
	v_mul_f32_e32 v16, 0x4f7ffffe, v16
	v_addc_co_u32_e32 v3, vcc, 0, v49, vcc
	v_ashrrev_i32_e32 v5, 31, v4
	v_cvt_u32_f32_e32 v16, v16
	v_mov_b32_e32 v6, s15
	v_add_co_u32_e32 v7, vcc, s14, v2
	v_addc_co_u32_e32 v6, vcc, v3, v6, vcc
	v_lshlrev_b64 v[50:51], 2, v[4:5]
	v_add_co_u32_e32 v2, vcc, v19, v50
	v_addc_co_u32_e32 v3, vcc, 0, v51, vcc
	s_sub_i32 s71, 0, s64
	v_add_co_u32_e32 v5, vcc, s14, v2
	v_mul_lo_u32 v2, s71, v16
	v_mul_hi_u32 v2, v16, v2
	v_mov_b32_e32 v4, s15
	v_add_u32_e32 v112, v16, v2
	v_mul_lo_u32 v2, s40, v14
	v_addc_co_u32_e32 v4, vcc, v3, v4, vcc
	v_ashrrev_i32_e32 v3, 31, v2
	v_lshlrev_b64 v[52:53], 2, v[2:3]
	v_add_co_u32_e32 v3, vcc, v20, v52
	v_addc_co_u32_e32 v8, vcc, 0, v53, vcc
	v_lshl_add_u32 v2, s40, 5, v2
	v_mov_b32_e32 v9, s15
	v_add_co_u32_e32 v113, vcc, s14, v3
	v_ashrrev_i32_e32 v3, 31, v2
	v_addc_co_u32_e32 v114, vcc, v9, v8, vcc
	v_lshlrev_b64 v[54:55], 2, v[2:3]
	v_add_co_u32_e32 v2, vcc, v20, v54
	v_addc_co_u32_e32 v3, vcc, 0, v55, vcc
	v_mov_b32_e32 v8, s15
	v_add_co_u32_e32 v115, vcc, s14, v2
	v_addc_co_u32_e32 v116, vcc, v8, v3, vcc
	v_and_or_b32 v3, v1, 12, v63
	s_movk_i32 s71, 0x90
	v_lshrrev_b32_e32 v3, 2, v3
	v_cvt_u32_f32_e32 v17, v17
	v_lshrrev_b32_e32 v2, 5, v1
	v_mad_u32_u24 v3, v3, s71, 0
	v_or_b32_e32 v8, 4, v15
	v_lshl_add_u32 v117, v59, 1, v2
	v_add_u32_e32 v118, v3, v8
	v_lshl_add_u32 v119, v23, 1, v3
	v_mul_u32_u24_e32 v3, 0x78, v23
	v_or_b32_e32 v3, v3, v26
	v_add_u32_e32 v9, 24, v117
	v_lshlrev_b32_e32 v3, 1, v3
	v_lshrrev_b32_e32 v148, 2, v9
	v_add_u32_e32 v9, 40, v117
	v_readfirstlane_b32 s70, v17
	v_lshrrev_b32_e32 v2, 4, v1
	v_add_u32_e32 v121, s3, v3
	v_lshrrev_b32_e32 v149, 2, v9
	s_movk_i32 s3, 0x7f0
	v_add_u32_e32 v9, 16, v117
	v_and_b32_e32 v15, 15, v117
	v_add_u32_e32 v16, 32, v117
	v_add_u32_e32 v17, 48, v117
	v_lshl_add_u32 v2, v59, 2, v2
	v_lshrrev_b32_e32 v150, 2, v9
	v_and_or_b32 v9, v9, s3, v15
	v_lshrrev_b32_e32 v151, 2, v16
	v_and_or_b32 v16, v16, s3, v15
	v_and_or_b32 v15, v17, s3, v15
	v_lshrrev_b32_e32 v152, 2, v17
	v_add_u32_e32 v17, 56, v117
	v_add_u32_e32 v122, s4, v3
	;; [unrolled: 1-line block ×3, first 2 shown]
	v_cmp_gt_u32_e64 s[4:5], 16, v1
	v_lshrrev_b32_e32 v153, 2, v17
	v_mad_u32_u24 v17, v2, 60, v26
	v_writelane_b32 v238, s4, 29
	v_lshl_add_u32 v154, v17, 2, 0
	v_lshrrev_b32_e32 v155, 2, v2
	v_mul_u32_u24_e32 v17, 60, v2
	v_add_u32_e32 v18, 16, v2
	v_add_u32_e32 v19, 32, v2
	;; [unrolled: 1-line block ×3, first 2 shown]
	v_and_b32_e32 v2, 15, v2
	s_movk_i32 s3, 0xff0
	v_writelane_b32 v238, s5, 30
	v_lshrrev_b32_e32 v156, 2, v18
	v_and_or_b32 v18, v18, s3, v2
	v_lshrrev_b32_e32 v157, 2, v19
	v_and_or_b32 v19, v19, s3, v2
	v_and_or_b32 v2, v20, s3, v2
	s_ashr_i32 s3, s75, 31
	v_writelane_b32 v238, s3, 31
	s_sub_i32 s3, 0, s6
	s_mul_i32 s3, s3, s69
	s_mul_hi_u32 s3, s69, s3
	s_add_i32 s3, s69, s3
	v_writelane_b32 v238, s3, 32
	s_ashr_i32 s3, s74, 31
	v_writelane_b32 v238, s3, 33
	s_sub_i32 s3, 0, s62
	s_mul_i32 s3, s3, s60
	s_mul_hi_u32 s3, s60, s3
	s_add_i32 s3, s60, s3
	v_writelane_b32 v238, s3, 34
	s_ashr_i32 s3, s89, 31
	v_writelane_b32 v238, s3, 35
	s_sub_i32 s3, 0, s63
	s_mul_i32 s3, s3, s70
	v_add_co_u32_e32 v178, vcc, s2, v10
	v_lshrrev_b32_e32 v158, 2, v20
	v_mul_u32_u24_e32 v20, 60, v18
	v_mad_u32_u24 v18, v18, 60, v26
	s_mul_hi_u32 s3, s70, s3
	v_addc_co_u32_e32 v179, vcc, 0, v11, vcc
	v_lshl_add_u32 v161, v18, 2, 0
	v_mul_u32_u24_e32 v18, 60, v19
	v_mad_u32_u24 v19, v19, 60, v26
	s_add_i32 s3, s70, s3
	v_add_co_u32_e32 v180, vcc, s51, v12
	v_lshl_add_u32 v162, v19, 2, 0
	v_mul_u32_u24_e32 v19, 60, v2
	v_mad_u32_u24 v2, v2, 60, v26
	v_writelane_b32 v238, s3, 36
	s_mov_b32 s4, s44
	v_addc_co_u32_e32 v181, vcc, 0, v13, vcc
	v_lshl_add_u32 v163, v2, 2, 0
	v_lshlrev_b32_e32 v2, 1, v1
	v_writelane_b32 v238, s4, 19
	v_add_co_u32_e32 v182, vcc, s2, v7
	v_add_u32_e32 v120, 0, v3
	v_add3_u32 v124, 0, 32, v3
	v_add_u32_e32 v125, s8, v3
	v_add_u32_e32 v126, s9, v3
	v_add_u32_e32 v127, s10, v3
	v_add3_u32 v128, 0, 64, v3
	v_add_u32_e32 v129, s11, v3
	v_add_u32_e32 v130, s35, v3
	;; [unrolled: 1-line block ×20, first 2 shown]
	v_mul_u32_u24_e32 v8, 60, v117
	v_mul_u32_u24_e32 v9, 60, v9
	;; [unrolled: 1-line block ×4, first 2 shown]
	v_and_b32_e32 v56, 62, v2
	v_writelane_b32 v238, s5, 20
	s_lshl_b64 s[4:5], s[44:45], 1
	v_addc_co_u32_e32 v183, vcc, 0, v6, vcc
	v_mbcnt_lo_u32_b32 v2, -1, 0
	v_bfe_u32 v58, v1, 3, 2
	v_bfe_u32 v64, v1, 4, 2
	v_mul_u32_u24_e32 v25, 0xf0, v23
	s_movk_i32 s72, 0xf00
	v_mul_u32_u24_e32 v3, 0xf0, v3
	v_lshlrev_b32_e32 v8, 2, v8
	v_lshrrev_b32_e32 v159, 2, v14
	v_mul_u32_u24_e32 v14, 60, v14
	v_lshlrev_b32_e32 v9, 2, v9
	v_lshlrev_b32_e32 v16, 2, v16
	;; [unrolled: 1-line block ×3, first 2 shown]
	v_lshl_add_u32 v164, v56, 1, 0
	v_writelane_b32 v238, s4, 37
	v_add_co_u32_e32 v184, vcc, s51, v5
	v_mbcnt_hi_u32_b32 v187, -1, v2
	v_mul_lo_u32 v2, s73, v58
	v_add_u32_e32 v191, 8, v117
	v_and_b32_e32 v62, 31, v1
	v_mul_lo_u32 v1, v64, s73
	v_and_b32_e32 v68, 3, v117
	v_add3_u32 v69, 0, v25, v27
	v_lshrrev_b32_e32 v160, 2, v21
	v_add_u32_e32 v165, v164, v8
	v_add_u32_e32 v166, 0, v8
	;; [unrolled: 1-line block ×8, first 2 shown]
	v_lshl_add_u32 v173, v17, 2, 0
	v_lshl_add_u32 v174, v20, 2, 0
	;; [unrolled: 1-line block ×5, first 2 shown]
	v_writelane_b32 v238, s5, 38
	s_lshl_b64 s[68:69], s[30:31], 8
	s_lshl_b64 s[70:71], s[40:41], 8
	v_addc_co_u32_e32 v185, vcc, 0, v4, vcc
	s_mov_b32 s45, 0x3fb8aa3b
	s_mov_b32 s65, 0xc2ce8ed0
	;; [unrolled: 1-line block ×5, first 2 shown]
	v_add_u32_e32 v186, 0, v3
	v_add3_u32 v60, v2, v28, 48
	v_mad_u32_u24 v188, v59, s72, v65
	v_mov_b32_e32 v189, 0
	v_mul_u32_u24_e32 v190, 0x90, v117
	v_add_u32_e32 v192, 32, v119
	v_add_u32_e32 v193, 64, v119
	;; [unrolled: 1-line block ×3, first 2 shown]
	v_lshrrev_b32_e32 v195, 2, v117
	v_lshrrev_b32_e32 v196, 2, v191
	v_add3_u32 v66, v1, v26, 32
	v_mov_b32_e32 v197, 0x7f800000
	v_mad_u64_u32 v[70:71], s[2:3], v68, s73, v[62:63]
	v_lshlrev_b32_e32 v72, 2, v62
	v_writelane_b32 v238, s76, 39
	s_branch .LBB19_13
.LBB19_12:                              ;   in Loop: Header=BB19_13 Depth=1
	s_or_b64 exec, exec, s[4:5]
	s_add_i32 s2, s54, s7
	s_abs_i32 s4, s2
	s_mul_hi_u32 s5, s4, s76
	s_mul_i32 s5, s5, s59
	s_sub_i32 s4, s4, s5
	s_ashr_i32 s3, s2, 31
	s_sub_i32 s5, s4, s59
	s_cmp_ge_u32 s4, s59
	s_cselect_b32 s4, s5, s4
	s_sub_i32 s5, s4, s59
	s_cmp_ge_u32 s4, s59
	s_cselect_b32 s4, s5, s4
	s_xor_b32 s4, s4, s3
	s_sub_i32 s3, s3, s4
	s_add_i32 s54, s2, s3
	v_readlane_b32 s2, v238, 8
	s_mov_b32 s4, s2
	s_sub_i32 s2, s2, s54
	s_min_i32 s86, s7, s2
	s_cmp_gt_i32 s4, s54
	v_readlane_b32 s3, v238, 9
	s_cselect_b64 s[4:5], -1, 0
	s_cmp_le_i32 s7, s2
	s_cselect_b64 s[2:3], -1, 0
	s_and_b64 s[2:3], s[2:3], s[4:5]
	s_mov_b32 s34, 0
	s_and_b64 vcc, exec, s[2:3]
	s_cbranch_vccz .LBB19_301
.LBB19_13:                              ; =>This Loop Header: Depth=1
                                        ;     Child Loop BB19_79 Depth 2
                                        ;     Child Loop BB19_218 Depth 2
	s_ashr_i32 s2, s54, 31
	v_readlane_b32 s3, v238, 31
	s_xor_b32 s2, s2, s3
	s_abs_i32 s3, s54
	v_readlane_b32 s4, v238, 32
	s_mul_hi_u32 s4, s3, s4
	s_mul_i32 s5, s4, s6
	s_sub_i32 s3, s3, s5
	s_add_i32 s5, s4, 1
	s_sub_i32 s8, s3, s6
	s_cmp_ge_u32 s3, s6
	s_cselect_b32 s4, s5, s4
	s_cselect_b32 s3, s8, s3
	s_add_i32 s5, s4, 1
	s_cmp_ge_u32 s3, s6
	s_cselect_b32 s3, s5, s4
	s_xor_b32 s3, s3, s2
	s_sub_i32 s8, s3, s2
	v_readlane_b32 s2, v238, 2
	s_mul_i32 s2, s8, s2
	s_sub_i32 s2, s54, s2
	s_ashr_i32 s3, s2, 31
	v_readlane_b32 s4, v238, 33
	s_xor_b32 s3, s3, s4
	s_abs_i32 s4, s2
	v_readlane_b32 s5, v238, 34
	s_mul_hi_u32 s5, s4, s5
	s_mul_i32 s9, s5, s62
	s_sub_i32 s4, s4, s9
	s_add_i32 s9, s5, 1
	s_sub_i32 s10, s4, s62
	s_cmp_ge_u32 s4, s62
	s_cselect_b32 s5, s9, s5
	s_cselect_b32 s4, s10, s4
	s_add_i32 s9, s5, 1
	s_cmp_ge_u32 s4, s62
	s_cselect_b32 s4, s9, s5
	s_xor_b32 s4, s4, s3
	s_sub_i32 s9, s4, s3
	v_readlane_b32 s3, v238, 1
	s_mul_i32 s3, s9, s3
	s_sub_i32 s3, s2, s3
	s_ashr_i32 s2, s3, 31
	v_readlane_b32 s4, v238, 35
	s_xor_b32 s2, s2, s4
	s_abs_i32 s4, s3
	v_readlane_b32 s5, v238, 36
	s_mul_hi_u32 s5, s4, s5
	s_mul_i32 s10, s5, s63
	s_sub_i32 s4, s4, s10
	s_add_i32 s10, s5, 1
	s_sub_i32 s11, s4, s63
	s_cmp_ge_u32 s4, s63
	s_cselect_b32 s5, s10, s5
	s_cselect_b32 s4, s11, s4
	s_add_i32 s10, s5, 1
	s_cmp_ge_u32 s4, s63
	s_cselect_b32 s4, s10, s5
	s_xor_b32 s4, s4, s2
	s_sub_i32 s2, s4, s2
	s_mul_i32 s4, s2, s89
	s_sub_i32 s3, s3, s4
	s_ashr_i32 s4, s3, 31
	v_readlane_b32 s5, v238, 17
	s_abs_i32 s3, s3
	s_xor_b32 s4, s4, s5
	s_mul_hi_u32 s5, s3, s76
	s_mul_i32 s10, s5, s59
	s_sub_i32 s3, s3, s10
	s_add_i32 s10, s5, 1
	s_sub_i32 s11, s3, s59
	s_cmp_ge_u32 s3, s59
	s_cselect_b32 s5, s10, s5
	s_cselect_b32 s3, s11, s3
	s_add_i32 s10, s5, 1
	s_cmp_ge_u32 s3, s59
	s_cselect_b32 s3, s10, s5
	v_readlane_b32 s10, v238, 25
	s_xor_b32 s3, s3, s4
	v_readlane_b32 s11, v238, 26
	s_andn2_b64 vcc, exec, s[10:11]
	s_sub_i32 s74, s3, s4
	s_cbranch_vccnz .LBB19_15
; %bb.14:                               ;   in Loop: Header=BB19_13 Depth=1
	v_readlane_b32 s3, v238, 0
	s_mul_i32 s3, s8, s3
	s_add_i32 s4, s74, s3
	s_ashr_i32 s5, s4, 31
	s_lshl_b64 s[4:5], s[4:5], 2
	s_add_u32 s4, s22, s4
	s_addc_u32 s5, s23, s5
	global_load_dword v1, v189, s[4:5]
	s_waitcnt vmcnt(0)
	v_readfirstlane_b32 s3, v1
	s_ashr_i32 s4, s3, 31
	s_lshr_b32 s4, s4, 26
	s_add_i32 s3, s3, s4
	s_ashr_i32 s3, s3, 6
	s_min_i32 s86, s86, s3
.LBB19_15:                              ;   in Loop: Header=BB19_13 Depth=1
	v_readlane_b32 s4, v238, 5
	v_readlane_b32 s5, v238, 6
	s_mul_i32 s3, s9, s33
	s_lshl_b32 s88, s2, 2
	s_mul_i32 s2, s8, s5
	s_add_i32 s10, s88, s3
	s_ashr_i32 s3, s2, 31
	s_add_u32 s2, s12, s2
	s_mul_i32 s4, s10, s4
	s_addc_u32 s3, s13, s3
	s_ashr_i32 s5, s4, 31
	s_add_u32 s77, s2, s4
	s_addc_u32 s58, s3, s5
	s_ashr_i32 s11, s8, 31
	s_mul_i32 s2, s8, s37
	s_mul_hi_u32 s3, s8, s36
	s_add_i32 s2, s3, s2
	s_mul_i32 s3, s11, s36
	v_readlane_b32 s4, v238, 15
	s_add_i32 s42, s2, s3
	s_mul_i32 s87, s8, s36
	v_readlane_b32 s5, v238, 16
	s_add_u32 s2, s14, s87
	s_mul_i32 s50, s9, s5
	s_addc_u32 s3, s15, s42
	s_ashr_i32 s84, s50, 31
	s_add_u32 s49, s2, s50
	s_addc_u32 s48, s3, s84
	s_abs_i32 s2, s8
	v_mul_hi_u32 v1, s2, v112
	v_mul_lo_u32 v1, v1, s64
	v_sub_u32_e32 v1, s2, v1
	v_subrev_u32_e32 v2, s64, v1
	v_cmp_le_u32_e32 vcc, s64, v1
	v_cndmask_b32_e32 v1, v1, v2, vcc
	v_subrev_u32_e32 v2, s64, v1
	v_cmp_le_u32_e32 vcc, s64, v1
	v_cndmask_b32_e32 v1, v1, v2, vcc
	v_xor_b32_e32 v1, s11, v1
	v_subrev_u32_e32 v2, s11, v1
	v_readlane_b32 s2, v238, 13
	v_ashrrev_i32_e32 v1, 31, v2
	v_readlane_b32 s3, v238, 14
	v_mul_lo_u32 v3, v2, s3
	v_mul_hi_u32 v4, v2, s2
	v_mul_lo_u32 v1, v1, s2
	v_mul_lo_u32 v2, v2, s2
	s_mul_i32 s2, s28, s29
	s_mul_i32 s2, s2, s8
	s_add_i32 s2, s10, s2
	s_mul_i32 s60, s2, 56
	v_readlane_b32 s46, v238, 11
	s_lshl_b64 s[2:3], s[60:61], 3
	v_readlane_b32 s47, v238, 12
	s_add_u32 s2, s24, s2
	s_mul_i32 s35, s8, s47
	s_mul_hi_u32 s43, s8, s46
	s_addc_u32 s3, s25, s3
	s_add_i32 s35, s43, s35
	s_mul_i32 s11, s11, s46
	s_add_i32 s76, s35, s11
	s_mul_i32 s43, s8, s46
	s_add_u32 s8, s16, s43
	s_mul_i32 s60, s9, s39
	s_addc_u32 s11, s17, s76
	s_ashr_i32 s85, s60, 31
	s_add_u32 s46, s8, s60
	s_addc_u32 s47, s11, s85
	s_ashr_i32 s11, s10, 31
	s_lshl_b64 s[8:9], s[10:11], 2
	s_add_u32 s10, s20, s8
	v_add_u32_e32 v3, v4, v3
	s_addc_u32 s11, s21, s9
	v_readlane_b32 s8, v238, 23
	v_add_u32_e32 v1, v3, v1
	v_mov_b32_e32 v3, s19
	v_add_co_u32_e64 v74, s[4:5], s18, v2
	v_readlane_b32 s9, v238, 24
	v_addc_co_u32_e64 v198, vcc, v3, v1, s[4:5]
	s_and_b64 s[8:9], s[8:9], exec
	v_or_b32_e32 v27, s88, v68
	s_cselect_b32 s73, 0, s11
	s_cselect_b32 s72, 0, s10
	s_cmp_lg_u32 s34, 0
	v_cmp_gt_i32_e32 vcc, s33, v27
	s_cbranch_scc0 .LBB19_74
; %bb.16:                               ;   in Loop: Header=BB19_13 Depth=1
	s_lshl_b32 s56, s74, 4
	v_add_u32_e32 v101, s56, v195
	v_cmp_le_i32_e64 s[8:9], s28, v101
	s_xor_b64 s[10:11], vcc, -1
	s_or_b64 s[8:9], s[8:9], s[10:11]
	s_and_saveexec_b64 s[66:67], s[8:9]
	s_xor_b64 s[8:9], exec, s[66:67]
	s_cbranch_execz .LBB19_18
; %bb.17:                               ;   in Loop: Header=BB19_13 Depth=1
	ds_write_b32 v165, v189
.LBB19_18:                              ;   in Loop: Header=BB19_13 Depth=1
	s_andn2_saveexec_b64 s[8:9], s[8:9]
	s_cbranch_execz .LBB19_20
; %bb.19:                               ;   in Loop: Header=BB19_13 Depth=1
	v_mad_u64_u32 v[2:3], s[66:67], v101, s55, v[70:71]
	v_ashrrev_i32_e32 v3, 31, v2
	v_lshlrev_b64 v[2:3], 3, v[2:3]
	v_mov_b32_e32 v4, s58
	v_add_co_u32_e32 v2, vcc, s77, v2
	v_addc_co_u32_e32 v3, vcc, v4, v3, vcc
	global_load_dwordx2 v[2:3], v[2:3], off
	s_waitcnt vmcnt(0)
	v_cvt_f16_f32_e32 v2, v2
	v_cvt_f16_f32_e32 v3, v3
	v_pack_b32_f16 v2, v2, v3
	v_pk_mul_f16 v2, v61, v2
	ds_write_b32 v165, v2
.LBB19_20:                              ;   in Loop: Header=BB19_13 Depth=1
	s_or_b64 exec, exec, s[8:9]
	v_add_u32_e32 v100, s56, v196
	v_cmp_le_i32_e32 vcc, s28, v100
	s_or_b64 s[8:9], vcc, s[10:11]
	s_and_saveexec_b64 s[66:67], s[8:9]
	s_xor_b64 s[8:9], exec, s[66:67]
	s_cbranch_execz .LBB19_22
; %bb.21:                               ;   in Loop: Header=BB19_13 Depth=1
	ds_write_b32 v165, v189 offset:1920
.LBB19_22:                              ;   in Loop: Header=BB19_13 Depth=1
	s_andn2_saveexec_b64 s[8:9], s[8:9]
	s_cbranch_execz .LBB19_24
; %bb.23:                               ;   in Loop: Header=BB19_13 Depth=1
	v_mad_u64_u32 v[2:3], s[66:67], v100, s55, v[70:71]
	v_ashrrev_i32_e32 v3, 31, v2
	v_lshlrev_b64 v[2:3], 3, v[2:3]
	v_mov_b32_e32 v4, s58
	v_add_co_u32_e32 v2, vcc, s77, v2
	v_addc_co_u32_e32 v3, vcc, v4, v3, vcc
	global_load_dwordx2 v[2:3], v[2:3], off
	s_waitcnt vmcnt(0)
	v_cvt_f16_f32_e32 v2, v2
	v_cvt_f16_f32_e32 v3, v3
	v_pack_b32_f16 v2, v2, v3
	v_pk_mul_f16 v2, v61, v2
	ds_write_b32 v165, v2 offset:1920
.LBB19_24:                              ;   in Loop: Header=BB19_13 Depth=1
	s_or_b64 exec, exec, s[8:9]
	v_add_u32_e32 v98, s56, v150
	v_cmp_le_i32_e32 vcc, s28, v98
	s_or_b64 s[8:9], vcc, s[10:11]
	s_and_saveexec_b64 s[66:67], s[8:9]
	s_xor_b64 s[8:9], exec, s[66:67]
	s_cbranch_execz .LBB19_26
; %bb.25:                               ;   in Loop: Header=BB19_13 Depth=1
	ds_write_b32 v165, v189 offset:3840
.LBB19_26:                              ;   in Loop: Header=BB19_13 Depth=1
	s_andn2_saveexec_b64 s[8:9], s[8:9]
	s_cbranch_execz .LBB19_28
; %bb.27:                               ;   in Loop: Header=BB19_13 Depth=1
	v_mad_u64_u32 v[2:3], s[66:67], v98, s55, v[70:71]
	v_ashrrev_i32_e32 v3, 31, v2
	v_lshlrev_b64 v[2:3], 3, v[2:3]
	v_mov_b32_e32 v4, s58
	v_add_co_u32_e32 v2, vcc, s77, v2
	v_addc_co_u32_e32 v3, vcc, v4, v3, vcc
	global_load_dwordx2 v[2:3], v[2:3], off
	s_waitcnt vmcnt(0)
	v_cvt_f16_f32_e32 v2, v2
	v_cvt_f16_f32_e32 v3, v3
	v_pack_b32_f16 v2, v2, v3
	v_pk_mul_f16 v2, v61, v2
	ds_write_b32 v165, v2 offset:3840
.LBB19_28:                              ;   in Loop: Header=BB19_13 Depth=1
	;; [unrolled: 27-line block ×7, first 2 shown]
	s_or_b64 exec, exec, s[8:9]
	v_or_b32_e32 v88, s88, v64
	v_add_u32_e32 v57, s56, v155
	v_cmp_gt_i32_e64 s[8:9], s33, v88
	v_cmp_le_i32_e32 vcc, s28, v57
	s_xor_b64 s[8:9], s[8:9], -1
	s_or_b64 s[10:11], vcc, s[8:9]
	s_and_saveexec_b64 s[66:67], s[10:11]
	s_xor_b64 s[10:11], exec, s[66:67]
	s_cbranch_execz .LBB19_50
; %bb.49:                               ;   in Loop: Header=BB19_13 Depth=1
	ds_write_b32 v154, v189 offset:128
.LBB19_50:                              ;   in Loop: Header=BB19_13 Depth=1
	s_andn2_saveexec_b64 s[10:11], s[10:11]
	s_cbranch_execz .LBB19_52
; %bb.51:                               ;   in Loop: Header=BB19_13 Depth=1
	v_mad_u64_u32 v[2:3], s[66:67], v57, s55, v[66:67]
	v_ashrrev_i32_e32 v3, 31, v2
	v_lshlrev_b64 v[2:3], 3, v[2:3]
	v_mov_b32_e32 v4, s58
	v_add_co_u32_e32 v2, vcc, s77, v2
	v_addc_co_u32_e32 v3, vcc, v4, v3, vcc
	global_load_dwordx2 v[2:3], v[2:3], off
	s_waitcnt vmcnt(0)
	v_cvt_f16_f32_e32 v2, v2
	v_cvt_f16_f32_e32 v3, v3
	v_pack_b32_f16 v2, v2, v3
	v_pk_mul_f16 v2, v61, v2
	ds_write_b32 v154, v2 offset:128
.LBB19_52:                              ;   in Loop: Header=BB19_13 Depth=1
	s_or_b64 exec, exec, s[10:11]
	v_add_u32_e32 v37, s56, v156
	v_cmp_le_i32_e32 vcc, s28, v37
	s_or_b64 s[10:11], vcc, s[8:9]
	s_and_saveexec_b64 s[66:67], s[10:11]
	s_xor_b64 s[10:11], exec, s[66:67]
	s_cbranch_execz .LBB19_54
; %bb.53:                               ;   in Loop: Header=BB19_13 Depth=1
	ds_write_b32 v154, v189 offset:3968
.LBB19_54:                              ;   in Loop: Header=BB19_13 Depth=1
	s_andn2_saveexec_b64 s[10:11], s[10:11]
	s_cbranch_execz .LBB19_56
; %bb.55:                               ;   in Loop: Header=BB19_13 Depth=1
	v_mad_u64_u32 v[2:3], s[66:67], v37, s55, v[66:67]
	v_ashrrev_i32_e32 v3, 31, v2
	v_lshlrev_b64 v[2:3], 3, v[2:3]
	v_mov_b32_e32 v4, s58
	v_add_co_u32_e32 v2, vcc, s77, v2
	v_addc_co_u32_e32 v3, vcc, v4, v3, vcc
	global_load_dwordx2 v[2:3], v[2:3], off
	s_waitcnt vmcnt(0)
	v_cvt_f16_f32_e32 v2, v2
	v_cvt_f16_f32_e32 v3, v3
	v_pack_b32_f16 v2, v2, v3
	v_pk_mul_f16 v2, v61, v2
	ds_write_b32 v154, v2 offset:3968
.LBB19_56:                              ;   in Loop: Header=BB19_13 Depth=1
	s_or_b64 exec, exec, s[10:11]
	v_add_u32_e32 v35, s56, v157
	v_cmp_le_i32_e32 vcc, s28, v35
	s_or_b64 s[10:11], vcc, s[8:9]
	s_and_saveexec_b64 s[66:67], s[10:11]
	s_xor_b64 s[10:11], exec, s[66:67]
	s_cbranch_execz .LBB19_58
; %bb.57:                               ;   in Loop: Header=BB19_13 Depth=1
	ds_write_b32 v154, v189 offset:7808
.LBB19_58:                              ;   in Loop: Header=BB19_13 Depth=1
	s_andn2_saveexec_b64 s[10:11], s[10:11]
	s_cbranch_execz .LBB19_60
; %bb.59:                               ;   in Loop: Header=BB19_13 Depth=1
	v_mad_u64_u32 v[2:3], s[66:67], v35, s55, v[66:67]
	v_ashrrev_i32_e32 v3, 31, v2
	v_lshlrev_b64 v[2:3], 3, v[2:3]
	v_mov_b32_e32 v4, s58
	v_add_co_u32_e32 v2, vcc, s77, v2
	v_addc_co_u32_e32 v3, vcc, v4, v3, vcc
	global_load_dwordx2 v[2:3], v[2:3], off
	s_waitcnt vmcnt(0)
	v_cvt_f16_f32_e32 v2, v2
	v_cvt_f16_f32_e32 v3, v3
	v_pack_b32_f16 v2, v2, v3
	v_pk_mul_f16 v2, v61, v2
	ds_write_b32 v154, v2 offset:7808
.LBB19_60:                              ;   in Loop: Header=BB19_13 Depth=1
	s_or_b64 exec, exec, s[10:11]
	v_add_u32_e32 v29, s56, v158
	v_cmp_le_i32_e32 vcc, s28, v29
	s_or_b64 s[8:9], vcc, s[8:9]
	s_and_saveexec_b64 s[10:11], s[8:9]
	s_xor_b64 s[8:9], exec, s[10:11]
	s_cbranch_execz .LBB19_62
; %bb.61:                               ;   in Loop: Header=BB19_13 Depth=1
	ds_write_b32 v154, v189 offset:11648
.LBB19_62:                              ;   in Loop: Header=BB19_13 Depth=1
	s_andn2_saveexec_b64 s[8:9], s[8:9]
	s_cbranch_execz .LBB19_64
; %bb.63:                               ;   in Loop: Header=BB19_13 Depth=1
	v_mad_u64_u32 v[2:3], s[10:11], v29, s55, v[66:67]
	v_ashrrev_i32_e32 v3, 31, v2
	v_lshlrev_b64 v[2:3], 3, v[2:3]
	v_mov_b32_e32 v4, s58
	v_add_co_u32_e32 v2, vcc, s77, v2
	v_addc_co_u32_e32 v3, vcc, v4, v3, vcc
	global_load_dwordx2 v[2:3], v[2:3], off
	s_waitcnt vmcnt(0)
	v_cvt_f16_f32_e32 v2, v2
	v_cvt_f16_f32_e32 v3, v3
	v_pack_b32_f16 v2, v2, v3
	v_pk_mul_f16 v2, v61, v2
	ds_write_b32 v154, v2 offset:11648
.LBB19_64:                              ;   in Loop: Header=BB19_13 Depth=1
	s_or_b64 exec, exec, s[8:9]
	v_or_b32_e32 v33, s88, v58
	v_cmp_gt_i32_e32 vcc, s33, v33
	v_add_u32_e32 v31, s56, v159
	s_xor_b64 s[8:9], vcc, -1
	v_cmp_le_i32_e32 vcc, s28, v31
	s_or_b64 s[10:11], vcc, s[8:9]
	s_and_saveexec_b64 s[66:67], s[10:11]
	s_xor_b64 s[10:11], exec, s[66:67]
	s_cbranch_execz .LBB19_66
; %bb.65:                               ;   in Loop: Header=BB19_13 Depth=1
	ds_write_b32 v95, v189 offset:192
.LBB19_66:                              ;   in Loop: Header=BB19_13 Depth=1
	s_andn2_saveexec_b64 s[10:11], s[10:11]
	s_cbranch_execz .LBB19_68
; %bb.67:                               ;   in Loop: Header=BB19_13 Depth=1
	v_mad_u64_u32 v[2:3], s[66:67], v31, s55, v[60:61]
	v_ashrrev_i32_e32 v3, 31, v2
	v_lshlrev_b64 v[2:3], 3, v[2:3]
	v_mov_b32_e32 v4, s58
	v_add_co_u32_e32 v2, vcc, s77, v2
	v_addc_co_u32_e32 v3, vcc, v4, v3, vcc
	global_load_dwordx2 v[2:3], v[2:3], off
	s_waitcnt vmcnt(0)
	v_cvt_f16_f32_e32 v2, v2
	v_cvt_f16_f32_e32 v3, v3
	v_pack_b32_f16 v2, v2, v3
	v_pk_mul_f16 v2, v61, v2
	ds_write_b32 v95, v2 offset:192
.LBB19_68:                              ;   in Loop: Header=BB19_13 Depth=1
	s_or_b64 exec, exec, s[10:11]
	v_add_u32_e32 v71, s56, v160
	v_cmp_le_i32_e32 vcc, s28, v71
	s_or_b64 s[8:9], vcc, s[8:9]
	s_and_saveexec_b64 s[10:11], s[8:9]
	s_xor_b64 s[8:9], exec, s[10:11]
	s_cbranch_execz .LBB19_70
; %bb.69:                               ;   in Loop: Header=BB19_13 Depth=1
	ds_write_b32 v97, v189 offset:192
.LBB19_70:                              ;   in Loop: Header=BB19_13 Depth=1
	s_andn2_saveexec_b64 s[8:9], s[8:9]
	s_cbranch_execz .LBB19_72
; %bb.71:                               ;   in Loop: Header=BB19_13 Depth=1
	v_mad_u64_u32 v[2:3], s[10:11], v71, s55, v[60:61]
	v_ashrrev_i32_e32 v3, 31, v2
	v_lshlrev_b64 v[2:3], 3, v[2:3]
	v_mov_b32_e32 v4, s58
	v_add_co_u32_e32 v2, vcc, s77, v2
	v_addc_co_u32_e32 v3, vcc, v4, v3, vcc
	global_load_dwordx2 v[2:3], v[2:3], off
	s_waitcnt vmcnt(0)
	v_cvt_f16_f32_e32 v2, v2
	v_cvt_f16_f32_e32 v3, v3
	v_pack_b32_f16 v2, v2, v3
	v_pk_mul_f16 v2, v61, v2
	ds_write_b32 v97, v2 offset:192
.LBB19_72:                              ;   in Loop: Header=BB19_13 Depth=1
	s_or_b64 exec, exec, s[8:9]
	s_waitcnt lgkmcnt(0)
	s_barrier
	ds_read2_b64 v[10:13], v188 offset1:4
	ds_read2_b64 v[6:9], v188 offset0:8 offset1:12
	ds_read2_b64 v[2:5], v188 offset0:16 offset1:20
	ds_read_b64 v[78:79], v188 offset:192
	s_add_i32 s35, s86, -1
	v_add_u32_e32 v16, s56, v117
	v_add_u32_e32 v14, s56, v191
	v_readlane_b32 s10, v238, 21
	s_cmp_gt_i32 s35, s34
	v_readlane_b32 s11, v238, 22
	v_mul_hi_u32 v17, s10, v16
	v_mul_hi_u32 v15, s10, v14
	s_waitcnt lgkmcnt(0)
	s_barrier
	s_cbranch_scc1 .LBB19_76
; %bb.73:                               ;   in Loop: Header=BB19_13 Depth=1
	v_add_u32_e32 v18, v16, v17
	v_lshrrev_b32_e32 v18, s11, v18
	v_mul_lo_u32 v18, v18, s28
	v_readlane_b32 s8, v238, 19
	v_sub_u32_e32 v18, v16, v18
	v_readlane_b32 s9, v238, 20
	s_mov_b32 s10, s8
	v_mad_i64_i32 v[22:23], s[8:9], v18, s10, 0
	v_add_u32_e32 v18, v14, v15
	v_lshrrev_b32_e32 v18, s11, v18
	v_mul_lo_u32 v18, v18, s28
	v_sub_u32_e32 v18, v14, v18
	v_mad_i64_i32 v[24:25], s[8:9], v18, s10, 0
	s_mov_b64 s[8:9], 0
	s_mov_b32 s10, 0xfeffffff
	s_mov_b32 s56, 0
	;; [unrolled: 1-line block ×3, first 2 shown]
	s_branch .LBB19_77
.LBB19_74:                              ;   in Loop: Header=BB19_13 Depth=1
	s_mov_b64 s[10:11], 0
                                        ; implicit-def: $vgpr2_vgpr3
                                        ; implicit-def: $vgpr71
	s_cbranch_execnz .LBB19_157
.LBB19_75:                              ;   in Loop: Header=BB19_13 Depth=1
	v_readlane_b32 s46, v238, 21
	v_readlane_b32 s47, v238, 22
	;; [unrolled: 1-line block ×3, first 2 shown]
	s_and_saveexec_b64 s[4:5], s[10:11]
	s_cbranch_execz .LBB19_12
	s_branch .LBB19_296
.LBB19_76:                              ;   in Loop: Header=BB19_13 Depth=1
	s_mov_b64 s[8:9], -1
                                        ; implicit-def: $sgpr11
                                        ; implicit-def: $sgpr56
                                        ; implicit-def: $sgpr10
                                        ; implicit-def: $vgpr22_vgpr23
                                        ; implicit-def: $vgpr24_vgpr25
.LBB19_77:                              ;   in Loop: Header=BB19_13 Depth=1
	s_andn2_b64 vcc, exec, s[8:9]
	v_mov_b32_e32 v208, s11
	v_mov_b32_e32 v80, s56
	v_mov_b32_e32 v76, s10
	v_mov_b32_e32 v209, s11
	v_mov_b32_e32 v77, s11
	v_mov_b32_e32 v102, s11
	v_mov_b32_e32 v103, s11
	v_mov_b32_e32 v104, s11
	v_mov_b32_e32 v107, s11
	v_mov_b32_e32 v199, s11
	v_mov_b32_e32 v202, s11
	v_mov_b32_e32 v203, s11
	v_mov_b32_e32 v204, s11
	v_mov_b32_e32 v205, s11
	v_mov_b32_e32 v207, s11
	v_mov_b32_e32 v206, s11
	s_cbranch_vccnz .LBB19_85
; %bb.78:                               ;   in Loop: Header=BB19_13 Depth=1
	v_readlane_b32 s10, v238, 21
	v_readlane_b32 s11, v238, 22
	v_add_u32_e32 v15, v14, v15
	v_lshrrev_b32_e32 v15, s11, v15
	v_readlane_b32 s8, v238, 19
	v_mul_lo_u32 v15, v15, s28
	v_lshlrev_b32_e32 v18, 1, v56
	v_readlane_b32 s9, v238, 20
	s_mov_b32 s10, s8
	v_sub_u32_e32 v14, v14, v15
	v_add_co_u32_e32 v105, vcc, v74, v18
	v_mad_i64_i32 v[24:25], s[8:9], v14, s10, 0
	v_and_b32_e32 v14, 64, v187
	v_addc_co_u32_e32 v106, vcc, 0, v198, vcc
	v_add_u32_e32 v14, 64, v14
	v_xor_b32_e32 v15, 32, v187
	v_add_u32_e32 v17, v16, v17
	v_cmp_lt_i32_e32 vcc, v15, v14
	v_lshrrev_b32_e32 v17, s11, v17
	v_cndmask_b32_e32 v15, v187, v15, vcc
	v_mul_lo_u32 v17, v17, s28
	v_lshlrev_b32_e32 v200, 2, v15
	v_xor_b32_e32 v15, 16, v187
	v_sub_u32_e32 v16, v16, v17
	v_cmp_lt_i32_e32 vcc, v15, v14
	v_mad_i64_i32 v[22:23], s[8:9], v16, s10, 0
	v_cndmask_b32_e32 v14, v187, v15, vcc
	v_mov_b32_e32 v206, 0
	v_lshlrev_b32_e32 v201, 2, v14
	s_lshl_b32 s8, s34, 6
	v_mov_b32_e32 v212, 0
	v_mov_b32_e32 v213, 0xfeffffff
	;; [unrolled: 1-line block ×15, first 2 shown]
.LBB19_79:                              ;   Parent Loop BB19_13 Depth=1
                                        ; =>  This Inner Loop Header: Depth=2
	s_ashr_i32 s9, s8, 31
	s_lshl_b64 s[10:11], s[8:9], 1
	v_add_co_u32_e32 v16, vcc, s10, v105
	v_mov_b32_e32 v14, s11
	v_addc_co_u32_e32 v17, vcc, v106, v14, vcc
	v_lshlrev_b64 v[14:15], 1, v[22:23]
	v_add_co_u32_e32 v14, vcc, v16, v14
	v_addc_co_u32_e32 v15, vcc, v17, v15, vcc
	global_load_dword v14, v[14:15], off
	v_add_u32_e32 v18, v164, v190
	s_mul_hi_i32 s11, s8, s40
	s_mul_i32 s10, s8, s40
	s_lshl_b64 s[10:11], s[10:11], 2
	s_add_u32 s9, s49, s10
	s_addc_u32 s56, s48, s11
	s_waitcnt vmcnt(0)
	ds_write_b32 v18, v14 offset:15360
	v_lshlrev_b64 v[14:15], 1, v[24:25]
	v_add_co_u32_e32 v14, vcc, v16, v14
	v_addc_co_u32_e32 v15, vcc, v17, v15, vcc
	global_load_dword v14, v[14:15], off
	s_waitcnt vmcnt(0)
	ds_write_b32 v18, v14 offset:16512
	s_and_saveexec_b64 s[10:11], s[0:1]
	s_cbranch_execz .LBB19_81
; %bb.80:                               ;   in Loop: Header=BB19_79 Depth=2
	v_mov_b32_e32 v14, s56
	v_add_co_u32_e32 v15, vcc, s9, v48
	v_addc_co_u32_e32 v16, vcc, v14, v49, vcc
	v_lshlrev_b32_e32 v14, 2, v30
	v_add_co_u32_e32 v14, vcc, v15, v14
	v_addc_co_u32_e32 v15, vcc, 0, v16, vcc
	global_load_dwordx4 v[14:17], v[14:15], off offset:192
	s_waitcnt vmcnt(0)
	ds_write_b128 v67, v[14:17]
.LBB19_81:                              ;   in Loop: Header=BB19_79 Depth=2
	s_or_b64 exec, exec, s[10:11]
	v_add_co_u32_e32 v14, vcc, s9, v50
	v_mov_b32_e32 v15, s56
	v_addc_co_u32_e32 v15, vcc, v15, v51, vcc
	v_lshlrev_b32_e32 v211, 2, v32
	v_add_co_u32_e32 v14, vcc, v14, v211
	v_addc_co_u32_e32 v15, vcc, 0, v15, vcc
	global_load_dwordx4 v[14:17], v[14:15], off offset:128
	v_lshlrev_b32_e32 v210, 2, v34
	v_add_u32_e32 v76, 0x800, v65
	s_mul_hi_i32 s11, s8, s30
	s_mul_i32 s10, s8, s30
	s_lshl_b64 s[10:11], s[10:11], 2
	s_waitcnt vmcnt(0)
	ds_write_b128 v89, v[14:17]
	v_add_co_u32_e32 v14, vcc, s9, v52
	v_mov_b32_e32 v15, s56
	v_addc_co_u32_e32 v15, vcc, v15, v53, vcc
	v_add_co_u32_e32 v14, vcc, v14, v210
	v_addc_co_u32_e32 v15, vcc, 0, v15, vcc
	global_load_dwordx4 v[14:17], v[14:15], off
	s_waitcnt vmcnt(0)
	ds_write_b128 v91, v[14:17]
	v_add_co_u32_e32 v14, vcc, s9, v54
	v_mov_b32_e32 v15, s56
	v_addc_co_u32_e32 v15, vcc, v15, v55, vcc
	v_add_co_u32_e32 v14, vcc, v14, v210
	v_addc_co_u32_e32 v15, vcc, 0, v15, vcc
	global_load_dwordx4 v[14:17], v[14:15], off
	s_add_u32 s56, s46, s10
	s_addc_u32 s9, s47, s11
	s_waitcnt vmcnt(0)
	ds_write_b128 v93, v[14:17]
	s_waitcnt lgkmcnt(0)
	s_barrier
	ds_read2_b64 v[14:17], v65 offset1:4
	s_waitcnt lgkmcnt(0)
	v_mfma_f32_16x16x16f16 v[18:21], v[14:15], v[10:11], 0
	v_mfma_f32_16x16x16f16 v[14:17], v[16:17], v[12:13], v[18:21]
	s_nop 7
	s_nop 1
	ds_read2_b64 v[18:21], v65 offset0:8 offset1:12
	s_waitcnt lgkmcnt(0)
	v_mfma_f32_16x16x16f16 v[14:17], v[18:19], v[6:7], v[14:17]
	v_mfma_f32_16x16x16f16 v[14:17], v[20:21], v[8:9], v[14:17]
	ds_read2_b64 v[18:21], v65 offset0:16 offset1:20
	s_waitcnt lgkmcnt(0)
	v_mfma_f32_16x16x16f16 v[14:17], v[18:19], v[2:3], v[14:17]
	ds_read_b64 v[18:19], v65 offset:192
	v_mfma_f32_16x16x16f16 v[14:17], v[20:21], v[4:5], v[14:17]
	s_waitcnt lgkmcnt(0)
	v_mfma_f32_16x16x16f16 v[18:21], v[18:19], v[78:79], v[14:17]
	s_nop 7
	s_nop 0
	ds_read2_b64 v[14:17], v76 offset0:224 offset1:228
	s_waitcnt lgkmcnt(0)
	v_mfma_f32_16x16x16f16 v[80:83], v[14:15], v[10:11], 0
	v_mfma_f32_16x16x16f16 v[14:17], v[16:17], v[12:13], v[80:83]
	s_nop 7
	s_nop 1
	ds_read2_b64 v[80:83], v76 offset0:232 offset1:236
	s_waitcnt lgkmcnt(0)
	v_mfma_f32_16x16x16f16 v[14:17], v[80:81], v[6:7], v[14:17]
	v_mfma_f32_16x16x16f16 v[14:17], v[82:83], v[8:9], v[14:17]
	ds_read2_b64 v[80:83], v76 offset0:240 offset1:244
	v_add_u32_e32 v76, 0x1800, v65
	s_waitcnt lgkmcnt(0)
	v_mfma_f32_16x16x16f16 v[14:17], v[80:81], v[2:3], v[14:17]
	ds_read_b64 v[80:81], v65 offset:4032
	v_mfma_f32_16x16x16f16 v[14:17], v[82:83], v[4:5], v[14:17]
	s_waitcnt lgkmcnt(0)
	v_mfma_f32_16x16x16f16 v[14:17], v[80:81], v[78:79], v[14:17]
	ds_read2_b64 v[80:83], v76 offset0:192 offset1:196
	s_waitcnt lgkmcnt(0)
	v_mfma_f32_16x16x16f16 v[84:87], v[80:81], v[10:11], 0
	v_mfma_f32_16x16x16f16 v[80:83], v[82:83], v[12:13], v[84:87]
	s_nop 7
	s_nop 1
	ds_read2_b64 v[84:87], v76 offset0:200 offset1:204
	s_waitcnt lgkmcnt(0)
	v_mfma_f32_16x16x16f16 v[80:83], v[84:85], v[6:7], v[80:83]
	v_mfma_f32_16x16x16f16 v[80:83], v[86:87], v[8:9], v[80:83]
	ds_read2_b64 v[84:87], v76 offset0:208 offset1:212
	v_add_u32_e32 v76, 0x2800, v65
	s_waitcnt lgkmcnt(0)
	v_mfma_f32_16x16x16f16 v[80:83], v[84:85], v[2:3], v[80:83]
	ds_read_b64 v[84:85], v65 offset:7872
	v_mfma_f32_16x16x16f16 v[80:83], v[86:87], v[4:5], v[80:83]
	s_waitcnt lgkmcnt(0)
	v_mfma_f32_16x16x16f16 v[214:217], v[84:85], v[78:79], v[80:83]
	s_nop 7
	s_nop 0
	ds_read2_b64 v[80:83], v76 offset0:160 offset1:164
	s_waitcnt lgkmcnt(0)
	v_mfma_f32_16x16x16f16 v[84:87], v[80:81], v[10:11], 0
	v_mfma_f32_16x16x16f16 v[80:83], v[82:83], v[12:13], v[84:87]
	s_nop 7
	s_nop 1
	ds_read2_b64 v[84:87], v76 offset0:168 offset1:172
	s_waitcnt lgkmcnt(0)
	v_mfma_f32_16x16x16f16 v[80:83], v[84:85], v[6:7], v[80:83]
	v_mfma_f32_16x16x16f16 v[80:83], v[86:87], v[8:9], v[80:83]
	ds_read2_b64 v[84:87], v76 offset0:176 offset1:180
	s_waitcnt lgkmcnt(0)
	v_mfma_f32_16x16x16f16 v[80:83], v[84:85], v[2:3], v[80:83]
	ds_read_b64 v[84:85], v65 offset:11712
	s_waitcnt lgkmcnt(0)
	s_barrier
	v_mfma_f32_16x16x16f16 v[80:83], v[86:87], v[4:5], v[80:83]
	v_mfma_f32_16x16x16f16 v[218:221], v[84:85], v[78:79], v[80:83]
	ds_read_b32 v76, v119 offset:15360
	s_nop 7
	s_nop 0
	ds_read_b32 v80, v118 offset:15360
	v_add_u32_e32 v81, 0x3c00, v192
	ds_read2_b32 v[82:83], v81 offset1:1
	v_add_u32_e32 v81, 0x3c00, v193
	ds_read2_b32 v[222:223], v81 offset1:1
	;; [unrolled: 2-line block ×3, first 2 shown]
	s_waitcnt lgkmcnt(3)
	v_cvt_f32_f16_sdwa v81, v80 dst_sel:DWORD dst_unused:UNUSED_PAD src0_sel:WORD_1
	v_cvt_f32_f16_e32 v80, v80
	v_pk_add_f32 v[84:85], v[20:21], v[80:81]
	v_cvt_f32_f16_sdwa v21, v76 dst_sel:DWORD dst_unused:UNUSED_PAD src0_sel:WORD_1
	v_cvt_f32_f16_e32 v20, v76
	v_add_f32_e32 v80, 0x40051340, v84
	v_add_f32_e32 v81, 0x40051340, v85
	v_pk_add_f32 v[86:87], v[18:19], v[20:21]
	v_add_f32_e32 v18, 0x40051340, v86
	v_add_f32_e32 v19, 0x40051340, v87
	v_max3_f32 v18, v213, v18, v19
	v_max3_f32 v20, v18, v80, v81
	s_waitcnt lgkmcnt(2)
	v_cvt_f32_f16_e32 v18, v83
	v_cvt_f32_f16_sdwa v19, v83 dst_sel:DWORD dst_unused:UNUSED_PAD src0_sel:WORD_1
	v_pk_add_f32 v[80:81], v[16:17], v[18:19]
	v_cvt_f32_f16_e32 v16, v82
	v_cvt_f32_f16_sdwa v17, v82 dst_sel:DWORD dst_unused:UNUSED_PAD src0_sel:WORD_1
	v_add_f32_e32 v18, 0x40051340, v80
	v_add_f32_e32 v19, 0x40051340, v81
	v_pk_add_f32 v[82:83], v[14:15], v[16:17]
	v_add_f32_e32 v14, 0x40051340, v82
	v_add_f32_e32 v15, 0x40051340, v83
	v_max3_f32 v14, v20, v14, v15
	v_max3_f32 v18, v14, v18, v19
	s_waitcnt lgkmcnt(1)
	v_cvt_f32_f16_e32 v14, v223
	v_cvt_f32_f16_sdwa v15, v223 dst_sel:DWORD dst_unused:UNUSED_PAD src0_sel:WORD_1
	v_pk_add_f32 v[16:17], v[216:217], v[14:15]
	v_cvt_f32_f16_e32 v14, v222
	v_cvt_f32_f16_sdwa v15, v222 dst_sel:DWORD dst_unused:UNUSED_PAD src0_sel:WORD_1
	v_add_f32_e32 v19, 0x40051340, v16
	v_add_f32_e32 v76, 0x40051340, v17
	v_pk_add_f32 v[20:21], v[214:215], v[14:15]
	v_add_f32_e32 v14, 0x40051340, v20
	v_add_f32_e32 v15, 0x40051340, v21
	v_max3_f32 v14, v18, v14, v15
	v_max3_f32 v76, v14, v19, v76
	s_waitcnt lgkmcnt(0)
	v_cvt_f32_f16_e32 v18, v224
	v_cvt_f32_f16_sdwa v19, v224 dst_sel:DWORD dst_unused:UNUSED_PAD src0_sel:WORD_1
	v_cvt_f32_f16_e32 v14, v225
	v_cvt_f32_f16_sdwa v15, v225 dst_sel:DWORD dst_unused:UNUSED_PAD src0_sel:WORD_1
	v_pk_add_f32 v[18:19], v[218:219], v[18:19]
	v_add_f32_e32 v216, 0x40051340, v18
	v_pk_add_f32 v[14:15], v[220:221], v[14:15]
	v_add_f32_e32 v217, 0x40051340, v19
	v_add_f32_e32 v214, 0x40051340, v14
	;; [unrolled: 1-line block ×3, first 2 shown]
	v_max3_f32 v76, v76, v216, v217
	v_max3_f32 v76, v76, v214, v215
	ds_bpermute_b32 v214, v200, v76
	s_waitcnt lgkmcnt(0)
	v_max_f32_e32 v214, v214, v214
	v_max_f32_e32 v76, v76, v214
	ds_bpermute_b32 v214, v201, v76
	s_and_saveexec_b64 s[10:11], s[0:1]
	s_cbranch_execz .LBB19_83
; %bb.82:                               ;   in Loop: Header=BB19_79 Depth=2
	v_mov_b32_e32 v215, s9
	v_add_co_u32_e32 v216, vcc, s56, v40
	v_addc_co_u32_e32 v215, vcc, v215, v41, vcc
	v_lshlrev_b32_e32 v217, 2, v30
	v_add_co_u32_e32 v216, vcc, v216, v217
	v_addc_co_u32_e32 v217, vcc, 0, v215, vcc
	global_load_dwordx4 v[216:219], v[216:217], off offset:192
	s_waitcnt vmcnt(0)
	ds_write_b128 v67, v[216:219]
.LBB19_83:                              ;   in Loop: Header=BB19_79 Depth=2
	s_or_b64 exec, exec, s[10:11]
	s_waitcnt lgkmcnt(0)
	v_max_f32_e32 v214, v214, v214
	v_max_f32_e32 v76, v76, v76
	;; [unrolled: 1-line block ×3, first 2 shown]
	v_pk_add_f32 v[86:87], v[86:87], v[76:77] op_sel_hi:[1,0] neg_lo:[0,1] neg_hi:[0,1]
	v_mul_f32_e32 v214, 0x3fb8aa3b, v87
	v_fma_f32 v215, v87, s45, -v214
	v_rndne_f32_e32 v216, v214
	v_fmac_f32_e32 v215, 0x32a5705f, v87
	v_sub_f32_e32 v214, v214, v216
	v_add_f32_e32 v214, v214, v215
	v_exp_f32_e32 v214, v214
	v_cvt_i32_f32_e32 v215, v216
	v_cmp_ngt_f32_e32 vcc, s65, v87
	v_pk_add_f32 v[84:85], v[84:85], v[76:77] op_sel_hi:[1,0] neg_lo:[0,1] neg_hi:[0,1]
	v_pk_add_f32 v[82:83], v[82:83], v[76:77] op_sel_hi:[1,0] neg_lo:[0,1] neg_hi:[0,1]
	v_ldexp_f32 v214, v214, v215
	v_cndmask_b32_e32 v214, 0, v214, vcc
	v_cmp_nlt_f32_e32 vcc, s52, v87
	v_mul_f32_e32 v87, 0x3fb8aa3b, v86
	v_fma_f32 v215, v86, s45, -v87
	v_rndne_f32_e32 v216, v87
	v_fmac_f32_e32 v215, 0x32a5705f, v86
	v_sub_f32_e32 v87, v87, v216
	v_add_f32_e32 v87, v87, v215
	v_exp_f32_e32 v87, v87
	v_cvt_i32_f32_e32 v215, v216
	v_cndmask_b32_e32 v214, v197, v214, vcc
	v_cmp_ngt_f32_e32 vcc, s65, v86
	v_pk_add_f32 v[80:81], v[80:81], v[76:77] op_sel_hi:[1,0] neg_lo:[0,1] neg_hi:[0,1]
	v_ldexp_f32 v87, v87, v215
	v_cndmask_b32_e32 v87, 0, v87, vcc
	v_cmp_nlt_f32_e32 vcc, s52, v86
	v_mul_f32_e32 v86, 0x3fb8aa3b, v85
	v_cndmask_b32_e32 v215, v197, v87, vcc
	v_fma_f32 v87, v85, s45, -v86
	v_rndne_f32_e32 v216, v86
	v_fmac_f32_e32 v87, 0x32a5705f, v85
	v_sub_f32_e32 v86, v86, v216
	v_add_f32_e32 v86, v86, v87
	v_exp_f32_e32 v86, v86
	v_cvt_i32_f32_e32 v87, v216
	v_cmp_ngt_f32_e32 vcc, s65, v85
	v_pk_add_f32 v[20:21], v[20:21], v[76:77] op_sel_hi:[1,0] neg_lo:[0,1] neg_hi:[0,1]
	v_pk_add_f32 v[16:17], v[16:17], v[76:77] op_sel_hi:[1,0] neg_lo:[0,1] neg_hi:[0,1]
	v_ldexp_f32 v86, v86, v87
	v_cndmask_b32_e32 v86, 0, v86, vcc
	v_cmp_nlt_f32_e32 vcc, s52, v85
	v_mul_f32_e32 v85, 0x3fb8aa3b, v84
	v_cndmask_b32_e32 v216, v197, v86, vcc
	v_fma_f32 v86, v84, s45, -v85
	v_rndne_f32_e32 v87, v85
	v_fmac_f32_e32 v86, 0x32a5705f, v84
	v_sub_f32_e32 v85, v85, v87
	v_add_f32_e32 v85, v85, v86
	v_exp_f32_e32 v85, v85
	v_cvt_i32_f32_e32 v86, v87
	v_cmp_ngt_f32_e32 vcc, s65, v84
	v_pk_add_f32 v[14:15], v[14:15], v[76:77] op_sel_hi:[1,0] neg_lo:[0,1] neg_hi:[0,1]
	s_add_i32 s34, s34, 1
	v_ldexp_f32 v85, v85, v86
	v_cndmask_b32_e32 v85, 0, v85, vcc
	v_cmp_nlt_f32_e32 vcc, s52, v84
	v_mul_f32_e32 v84, 0x3fb8aa3b, v83
	v_cndmask_b32_e32 v217, v197, v85, vcc
	v_fma_f32 v85, v83, s45, -v84
	v_rndne_f32_e32 v86, v84
	v_fmac_f32_e32 v85, 0x32a5705f, v83
	v_sub_f32_e32 v84, v84, v86
	v_add_f32_e32 v84, v84, v85
	v_exp_f32_e32 v84, v84
	v_cvt_i32_f32_e32 v85, v86
	v_cmp_ngt_f32_e32 vcc, s65, v83
	s_add_i32 s8, s8, 64
	s_cmp_lt_i32 s34, s35
	v_ldexp_f32 v84, v84, v85
	v_cndmask_b32_e32 v84, 0, v84, vcc
	v_cmp_nlt_f32_e32 vcc, s52, v83
	v_mul_f32_e32 v83, 0x3fb8aa3b, v82
	v_cndmask_b32_e32 v218, v197, v84, vcc
	v_fma_f32 v84, v82, s45, -v83
	v_rndne_f32_e32 v85, v83
	v_fmac_f32_e32 v84, 0x32a5705f, v82
	v_sub_f32_e32 v83, v83, v85
	v_add_f32_e32 v83, v83, v84
	v_exp_f32_e32 v83, v83
	v_cvt_i32_f32_e32 v84, v85
	v_cmp_ngt_f32_e32 vcc, s65, v82
	v_ldexp_f32 v83, v83, v84
	v_cndmask_b32_e32 v83, 0, v83, vcc
	v_cmp_nlt_f32_e32 vcc, s52, v82
	v_mul_f32_e32 v82, 0x3fb8aa3b, v81
	v_cndmask_b32_e32 v219, v197, v83, vcc
	v_fma_f32 v83, v81, s45, -v82
	v_rndne_f32_e32 v84, v82
	v_fmac_f32_e32 v83, 0x32a5705f, v81
	v_sub_f32_e32 v82, v82, v84
	v_add_f32_e32 v82, v82, v83
	v_exp_f32_e32 v82, v82
	v_cvt_i32_f32_e32 v83, v84
	v_cmp_ngt_f32_e32 vcc, s65, v81
	;; [unrolled: 13-line block ×4, first 2 shown]
	v_ldexp_f32 v80, v80, v81
	v_cndmask_b32_e32 v80, 0, v80, vcc
	v_cmp_nlt_f32_e32 vcc, s52, v21
	v_cndmask_b32_e32 v21, v197, v80, vcc
	v_mul_f32_e32 v80, 0x3fb8aa3b, v20
	v_fma_f32 v81, v20, s45, -v80
	v_rndne_f32_e32 v82, v80
	v_fmac_f32_e32 v81, 0x32a5705f, v20
	v_sub_f32_e32 v80, v80, v82
	v_add_f32_e32 v80, v80, v81
	v_exp_f32_e32 v80, v80
	v_cvt_i32_f32_e32 v81, v82
	v_cmp_ngt_f32_e32 vcc, s65, v20
	v_ldexp_f32 v80, v80, v81
	v_cndmask_b32_e32 v80, 0, v80, vcc
	v_cmp_nlt_f32_e32 vcc, s52, v20
	v_cndmask_b32_e32 v20, v197, v80, vcc
	v_mul_f32_e32 v80, 0x3fb8aa3b, v17
	v_fma_f32 v81, v17, s45, -v80
	v_rndne_f32_e32 v82, v80
	v_fmac_f32_e32 v81, 0x32a5705f, v17
	v_sub_f32_e32 v80, v80, v82
	v_add_f32_e32 v80, v80, v81
	v_exp_f32_e32 v80, v80
	v_cvt_i32_f32_e32 v81, v82
	v_cmp_ngt_f32_e32 vcc, s65, v17
	v_ldexp_f32 v80, v80, v81
	v_cndmask_b32_e32 v80, 0, v80, vcc
	v_cmp_nlt_f32_e32 vcc, s52, v17
	v_mul_f32_e32 v17, 0x3fb8aa3b, v16
	v_cndmask_b32_e32 v222, v197, v80, vcc
	v_fma_f32 v80, v16, s45, -v17
	v_rndne_f32_e32 v81, v17
	v_fmac_f32_e32 v80, 0x32a5705f, v16
	v_sub_f32_e32 v17, v17, v81
	v_add_f32_e32 v17, v17, v80
	v_exp_f32_e32 v17, v17
	v_cvt_i32_f32_e32 v80, v81
	v_cmp_ngt_f32_e32 vcc, s65, v16
	v_ldexp_f32 v17, v17, v80
	v_cndmask_b32_e32 v17, 0, v17, vcc
	v_cmp_nlt_f32_e32 vcc, s52, v16
	v_cndmask_b32_e32 v223, v197, v17, vcc
	v_pk_add_f32 v[16:17], v[18:19], v[76:77] op_sel_hi:[1,0] neg_lo:[0,1] neg_hi:[0,1]
	v_mul_f32_e32 v18, 0x3fb8aa3b, v17
	v_fma_f32 v19, v17, s45, -v18
	v_rndne_f32_e32 v80, v18
	v_fmac_f32_e32 v19, 0x32a5705f, v17
	v_sub_f32_e32 v18, v18, v80
	v_add_f32_e32 v18, v18, v19
	v_exp_f32_e32 v18, v18
	v_cvt_i32_f32_e32 v19, v80
	v_cmp_ngt_f32_e32 vcc, s65, v17
	v_ldexp_f32 v18, v18, v19
	v_cndmask_b32_e32 v18, 0, v18, vcc
	v_cmp_nlt_f32_e32 vcc, s52, v17
	v_cndmask_b32_e32 v17, v197, v18, vcc
	v_mul_f32_e32 v18, 0x3fb8aa3b, v16
	v_fma_f32 v19, v16, s45, -v18
	v_rndne_f32_e32 v80, v18
	v_fmac_f32_e32 v19, 0x32a5705f, v16
	v_sub_f32_e32 v18, v18, v80
	v_add_f32_e32 v18, v18, v19
	v_exp_f32_e32 v18, v18
	v_cvt_i32_f32_e32 v19, v80
	v_cmp_ngt_f32_e32 vcc, s65, v16
	v_ldexp_f32 v18, v18, v19
	v_cndmask_b32_e32 v18, 0, v18, vcc
	v_cmp_nlt_f32_e32 vcc, s52, v16
	v_cndmask_b32_e32 v16, v197, v18, vcc
	;; [unrolled: 13-line block ×3, first 2 shown]
	v_mul_f32_e32 v18, 0x3fb8aa3b, v14
	v_fma_f32 v19, v14, s45, -v18
	v_rndne_f32_e32 v80, v18
	v_fmac_f32_e32 v19, 0x32a5705f, v14
	v_sub_f32_e32 v18, v18, v80
	v_add_f32_e32 v18, v18, v19
	v_exp_f32_e32 v18, v18
	v_cvt_i32_f32_e32 v19, v80
	v_cmp_ngt_f32_e32 vcc, s65, v14
	v_ldexp_f32 v18, v18, v19
	v_cndmask_b32_e32 v18, 0, v18, vcc
	v_cmp_nlt_f32_e32 vcc, s52, v14
	v_add_f32_e32 v14, v215, v214
	v_add_f32_e32 v14, v217, v14
	;; [unrolled: 1-line block ×12, first 2 shown]
	v_cndmask_b32_e32 v18, v197, v18, vcc
	v_add_f32_e32 v14, v17, v14
	v_add_f32_e32 v14, v18, v14
	;; [unrolled: 1-line block ×3, first 2 shown]
	v_sub_f32_e32 v14, v213, v76
	v_mul_f32_e32 v19, 0x3fb8aa3b, v14
	v_fma_f32 v81, v14, s45, -v19
	v_rndne_f32_e32 v82, v19
	v_fmac_f32_e32 v81, 0x32a5705f, v14
	v_sub_f32_e32 v19, v19, v82
	v_add_f32_e32 v19, v19, v81
	v_exp_f32_e32 v19, v19
	v_cvt_i32_f32_e32 v81, v82
	v_cmp_ngt_f32_e32 vcc, s65, v14
	v_cvt_f16_f32_e32 v16, v16
	v_cvt_f16_f32_e32 v15, v15
	v_ldexp_f32 v19, v19, v81
	v_cndmask_b32_e32 v19, 0, v19, vcc
	v_cmp_nlt_f32_e32 vcc, s52, v14
	v_cndmask_b32_e32 v19, v197, v19, vcc
	v_cmp_le_f32_e32 vcc, s53, v14
	v_cndmask_b32_e32 v14, 0, v19, vcc
	v_fmac_f32_e32 v80, v212, v14
	v_cvt_f16_f32_e32 v14, v14
	v_cvt_f16_f32_e32 v19, v219
	v_pk_mul_f16 v102, v14, v102 op_sel_hi:[0,1]
	v_pk_mul_f16 v77, v14, v77 op_sel_hi:[0,1]
	;; [unrolled: 1-line block ×14, first 2 shown]
	v_cvt_f16_f32_e32 v14, v17
	v_cvt_f16_f32_e32 v17, v20
	;; [unrolled: 1-line block ×4, first 2 shown]
	v_pack_b32_f16 v14, v16, v14
	v_cvt_f16_f32_e32 v16, v18
	v_cvt_f16_f32_e32 v18, v223
	v_mov_b32_e32 v204, s9
	v_pack_b32_f16 v15, v16, v15
	v_cvt_f16_f32_e32 v16, v21
	v_cvt_f16_f32_e32 v21, v215
	v_pack_b32_f16 v16, v17, v16
	v_cvt_f16_f32_e32 v17, v222
	v_pack_b32_f16 v17, v18, v17
	;; [unrolled: 2-line block ×6, first 2 shown]
	v_add_co_u32_e32 v202, vcc, s56, v42
	v_addc_co_u32_e32 v205, vcc, v204, v43, vcc
	v_add_co_u32_e32 v204, vcc, v202, v211
	v_addc_co_u32_e32 v205, vcc, 0, v205, vcc
	global_load_dwordx4 v[204:207], v[204:205], off offset:128
	v_add_co_u32_e32 v202, vcc, s56, v44
	s_waitcnt vmcnt(0)
	ds_write_b128 v89, v[204:207]
	v_mov_b32_e32 v204, s9
	v_addc_co_u32_e32 v205, vcc, v204, v45, vcc
	v_add_co_u32_e32 v204, vcc, v202, v210
	v_addc_co_u32_e32 v205, vcc, 0, v205, vcc
	global_load_dwordx4 v[204:207], v[204:205], off
	v_add_co_u32_e32 v202, vcc, s56, v46
	s_waitcnt vmcnt(0)
	ds_write_b128 v91, v[204:207]
	v_mov_b32_e32 v204, s9
	v_addc_co_u32_e32 v205, vcc, v204, v47, vcc
	v_add_co_u32_e32 v204, vcc, v202, v210
	v_addc_co_u32_e32 v205, vcc, 0, v205, vcc
	global_load_dwordx4 v[204:207], v[204:205], off
	s_waitcnt vmcnt(0)
	ds_write_b128 v93, v[204:207]
	s_waitcnt lgkmcnt(0)
	s_barrier
	ds_read_u16 v202, v69 offset:480
	v_cvt_f32_f16_e32 v206, v77
	v_cvt_f32_f16_sdwa v207, v77 dst_sel:DWORD dst_unused:UNUSED_PAD src0_sel:WORD_1
	ds_read_u16 v77, v73
	ds_read_u16 v210, v73 offset:32
	v_cvt_f32_f16_e32 v204, v102
	v_cvt_f32_f16_sdwa v205, v102 dst_sel:DWORD dst_unused:UNUSED_PAD src0_sel:WORD_1
	s_waitcnt lgkmcnt(1)
	v_perm_b32 v209, v77, v202, s38
	ds_read_u16 v77, v120
	ds_read_u16 v202, v120 offset:32
	ds_read_u16 v102, v69 offset:240
	;; [unrolled: 1-line block ×3, first 2 shown]
	s_waitcnt lgkmcnt(1)
	v_perm_b32 v208, v102, v77, s38
	s_nop 1
	v_mfma_f32_16x16x16f16 v[204:207], v[208:209], v[20:21], v[204:207]
	ds_read_u16 v208, v120 offset:3840
	ds_read_u16 v212, v69 offset:4080
	ds_read_u16 v209, v121 offset:480
	ds_read_u16 v213, v73 offset:3840
	s_waitcnt lgkmcnt(2)
	v_perm_b32 v208, v212, v208, s38
	s_waitcnt lgkmcnt(0)
	v_perm_b32 v209, v213, v209, s38
	s_nop 2
	v_cvt_f16_f32_e32 v77, v204
	v_cvt_f16_f32_e32 v102, v205
	v_cvt_f16_f32_e32 v206, v206
	v_cvt_f16_f32_e32 v207, v207
	v_cvt_f32_f16_e32 v204, v77
	v_cvt_f32_f16_e32 v205, v102
	v_cvt_f32_f16_e32 v206, v206
	v_cvt_f32_f16_e32 v207, v207
	s_nop 1
	v_mfma_f32_16x16x16f16 v[204:207], v[208:209], v[18:19], v[204:207]
	ds_read_u16 v208, v120 offset:7680
	ds_read_u16 v212, v69 offset:7920
	ds_read_u16 v209, v122 offset:480
	ds_read_u16 v213, v73 offset:7680
	s_waitcnt lgkmcnt(2)
	v_perm_b32 v208, v212, v208, s38
	s_waitcnt lgkmcnt(0)
	v_perm_b32 v209, v213, v209, s38
	s_nop 2
	v_cvt_f16_f32_e32 v77, v204
	v_cvt_f16_f32_e32 v102, v205
	v_cvt_f16_f32_e32 v206, v206
	v_cvt_f16_f32_e32 v207, v207
	v_cvt_f32_f16_e32 v204, v77
	v_cvt_f32_f16_e32 v205, v102
	v_cvt_f32_f16_e32 v206, v206
	v_cvt_f32_f16_e32 v207, v207
	;; [unrolled: 19-line block ×3, first 2 shown]
	s_nop 1
	v_mfma_f32_16x16x16f16 v[204:207], v[208:209], v[14:15], v[204:207]
	ds_read_u16 v208, v124 offset:480
	s_waitcnt lgkmcnt(0)
	v_perm_b32 v209, v210, v208, s38
	v_perm_b32 v208, v211, v202, s38
	s_nop 6
	v_cvt_f16_f32_e32 v77, v204
	v_cvt_f16_f32_e32 v102, v205
	;; [unrolled: 1-line block ×4, first 2 shown]
	v_cvt_f32_f16_e32 v206, v103
	v_pack_b32_f16 v102, v77, v102
	v_cvt_f32_f16_sdwa v207, v103 dst_sel:DWORD dst_unused:UNUSED_PAD src0_sel:WORD_1
	v_pack_b32_f16 v77, v204, v205
	v_cvt_f32_f16_e32 v204, v104
	v_cvt_f32_f16_sdwa v205, v104 dst_sel:DWORD dst_unused:UNUSED_PAD src0_sel:WORD_1
	s_nop 1
	v_mfma_f32_16x16x16f16 v[204:207], v[208:209], v[20:21], v[204:207]
	ds_read_u16 v208, v120 offset:3872
	ds_read_u16 v210, v69 offset:4112
	ds_read_u16 v209, v125 offset:480
	ds_read_u16 v211, v73 offset:3872
	s_waitcnt lgkmcnt(2)
	v_perm_b32 v208, v210, v208, s38
	s_waitcnt lgkmcnt(0)
	v_perm_b32 v209, v211, v209, s38
	s_nop 2
	v_cvt_f16_f32_e32 v103, v204
	v_cvt_f16_f32_e32 v104, v205
	v_cvt_f16_f32_e32 v202, v206
	v_cvt_f16_f32_e32 v207, v207
	v_cvt_f32_f16_e32 v204, v103
	v_cvt_f32_f16_e32 v205, v104
	v_cvt_f32_f16_e32 v206, v202
	v_cvt_f32_f16_e32 v207, v207
	s_nop 1
	v_mfma_f32_16x16x16f16 v[204:207], v[208:209], v[18:19], v[204:207]
	ds_read_u16 v208, v120 offset:7712
	ds_read_u16 v210, v69 offset:7952
	ds_read_u16 v209, v126 offset:480
	ds_read_u16 v211, v73 offset:7712
	s_waitcnt lgkmcnt(2)
	v_perm_b32 v208, v210, v208, s38
	s_waitcnt lgkmcnt(0)
	v_perm_b32 v209, v211, v209, s38
	s_nop 2
	v_cvt_f16_f32_e32 v103, v204
	v_cvt_f16_f32_e32 v104, v205
	v_cvt_f16_f32_e32 v202, v206
	v_cvt_f16_f32_e32 v207, v207
	v_cvt_f32_f16_e32 v204, v103
	v_cvt_f32_f16_e32 v205, v104
	v_cvt_f32_f16_e32 v206, v202
	v_cvt_f32_f16_e32 v207, v207
	;; [unrolled: 19-line block ×3, first 2 shown]
	s_nop 1
	v_mfma_f32_16x16x16f16 v[204:207], v[208:209], v[14:15], v[204:207]
	s_nop 7
	s_nop 2
	v_cvt_f16_f32_e32 v103, v204
	v_cvt_f16_f32_e32 v104, v205
	;; [unrolled: 1-line block ×4, first 2 shown]
	v_cvt_f32_f16_sdwa v205, v199 dst_sel:DWORD dst_unused:UNUSED_PAD src0_sel:WORD_1
	v_pack_b32_f16 v104, v103, v104
	v_cvt_f32_f16_e32 v206, v107
	v_pack_b32_f16 v103, v202, v204
	ds_read_u16 v202, v120 offset:64
	ds_read_u16 v208, v69 offset:304
	;; [unrolled: 1-line block ×4, first 2 shown]
	v_cvt_f32_f16_e32 v204, v199
	v_cvt_f32_f16_sdwa v207, v107 dst_sel:DWORD dst_unused:UNUSED_PAD src0_sel:WORD_1
	s_waitcnt lgkmcnt(2)
	v_perm_b32 v208, v208, v202, s38
	s_waitcnt lgkmcnt(0)
	v_perm_b32 v209, v210, v209, s38
	s_nop 1
	v_mfma_f32_16x16x16f16 v[204:207], v[208:209], v[20:21], v[204:207]
	ds_read_u16 v208, v120 offset:3904
	ds_read_u16 v210, v69 offset:4144
	ds_read_u16 v209, v129 offset:480
	ds_read_u16 v211, v73 offset:3904
	s_waitcnt lgkmcnt(2)
	v_perm_b32 v208, v210, v208, s38
	s_waitcnt lgkmcnt(0)
	v_perm_b32 v209, v211, v209, s38
	s_nop 2
	v_cvt_f16_f32_e32 v107, v204
	v_cvt_f16_f32_e32 v199, v205
	v_cvt_f16_f32_e32 v202, v206
	v_cvt_f16_f32_e32 v207, v207
	v_cvt_f32_f16_e32 v204, v107
	v_cvt_f32_f16_e32 v205, v199
	v_cvt_f32_f16_e32 v206, v202
	v_cvt_f32_f16_e32 v207, v207
	s_nop 1
	v_mfma_f32_16x16x16f16 v[204:207], v[208:209], v[18:19], v[204:207]
	ds_read_u16 v208, v120 offset:7744
	ds_read_u16 v210, v69 offset:7984
	ds_read_u16 v209, v130 offset:480
	ds_read_u16 v211, v73 offset:7744
	s_waitcnt lgkmcnt(2)
	v_perm_b32 v208, v210, v208, s38
	s_waitcnt lgkmcnt(0)
	v_perm_b32 v209, v211, v209, s38
	s_nop 2
	v_cvt_f16_f32_e32 v107, v204
	v_cvt_f16_f32_e32 v199, v205
	v_cvt_f16_f32_e32 v202, v206
	v_cvt_f16_f32_e32 v207, v207
	v_cvt_f32_f16_e32 v204, v107
	v_cvt_f32_f16_e32 v205, v199
	v_cvt_f32_f16_e32 v206, v202
	v_cvt_f32_f16_e32 v207, v207
	;; [unrolled: 19-line block ×3, first 2 shown]
	s_nop 1
	v_mfma_f32_16x16x16f16 v[204:207], v[208:209], v[14:15], v[204:207]
	s_nop 7
	s_nop 2
	v_cvt_f16_f32_e32 v107, v204
	v_cvt_f16_f32_e32 v202, v206
	;; [unrolled: 1-line block ×3, first 2 shown]
	ds_read_u16 v206, v120 offset:96
	ds_read_u16 v208, v69 offset:336
	ds_read_u16 v207, v132 offset:480
	ds_read_u16 v209, v73 offset:96
	v_cvt_f16_f32_e32 v199, v205
	v_cvt_f32_f16_sdwa v205, v87 dst_sel:DWORD dst_unused:UNUSED_PAD src0_sel:WORD_1
	s_waitcnt lgkmcnt(2)
	v_perm_b32 v206, v208, v206, s38
	s_waitcnt lgkmcnt(0)
	v_perm_b32 v207, v209, v207, s38
	v_pack_b32_f16 v199, v107, v199
	v_pack_b32_f16 v107, v202, v204
	v_cvt_f32_f16_e32 v202, v203
	v_cvt_f32_f16_sdwa v203, v203 dst_sel:DWORD dst_unused:UNUSED_PAD src0_sel:WORD_1
	v_cvt_f32_f16_e32 v204, v87
	s_nop 1
	v_mfma_f32_16x16x16f16 v[202:205], v[206:207], v[20:21], v[202:205]
	ds_read_u16 v206, v120 offset:3936
	ds_read_u16 v208, v69 offset:4176
	ds_read_u16 v207, v133 offset:480
	ds_read_u16 v209, v73 offset:3936
	s_waitcnt lgkmcnt(2)
	v_perm_b32 v206, v208, v206, s38
	s_waitcnt lgkmcnt(0)
	v_perm_b32 v207, v209, v207, s38
	s_nop 2
	v_cvt_f16_f32_e32 v87, v202
	v_cvt_f16_f32_e32 v203, v203
	v_cvt_f16_f32_e32 v204, v204
	v_cvt_f16_f32_e32 v205, v205
	v_cvt_f32_f16_e32 v202, v87
	v_cvt_f32_f16_e32 v203, v203
	v_cvt_f32_f16_e32 v204, v204
	v_cvt_f32_f16_e32 v205, v205
	s_nop 1
	v_mfma_f32_16x16x16f16 v[202:205], v[206:207], v[18:19], v[202:205]
	ds_read_u16 v206, v120 offset:7776
	ds_read_u16 v208, v69 offset:8016
	ds_read_u16 v207, v134 offset:480
	ds_read_u16 v209, v73 offset:7776
	s_waitcnt lgkmcnt(2)
	v_perm_b32 v206, v208, v206, s38
	s_waitcnt lgkmcnt(0)
	v_perm_b32 v207, v209, v207, s38
	s_nop 2
	v_cvt_f16_f32_e32 v87, v202
	v_cvt_f16_f32_e32 v203, v203
	v_cvt_f16_f32_e32 v204, v204
	v_cvt_f16_f32_e32 v205, v205
	v_cvt_f32_f16_e32 v202, v87
	v_cvt_f32_f16_e32 v203, v203
	v_cvt_f32_f16_e32 v204, v204
	;; [unrolled: 19-line block ×3, first 2 shown]
	v_cvt_f32_f16_e32 v205, v205
	s_nop 1
	v_mfma_f32_16x16x16f16 v[202:205], v[206:207], v[14:15], v[202:205]
	v_cvt_f32_f16_e32 v206, v85
	v_cvt_f32_f16_sdwa v207, v85 dst_sel:DWORD dst_unused:UNUSED_PAD src0_sel:WORD_1
	s_nop 7
	s_nop 0
	v_cvt_f16_f32_e32 v87, v202
	v_cvt_f16_f32_e32 v202, v203
	;; [unrolled: 1-line block ×4, first 2 shown]
	v_pack_b32_f16 v203, v87, v202
	ds_read_u16 v208, v120 offset:128
	ds_read_u16 v209, v69 offset:368
	;; [unrolled: 1-line block ×4, first 2 shown]
	v_pack_b32_f16 v202, v204, v205
	v_cvt_f32_f16_e32 v204, v86
	v_cvt_f32_f16_sdwa v205, v86 dst_sel:DWORD dst_unused:UNUSED_PAD src0_sel:WORD_1
	s_waitcnt lgkmcnt(2)
	v_perm_b32 v86, v209, v208, s38
	s_waitcnt lgkmcnt(0)
	v_perm_b32 v87, v210, v87, s38
	ds_read_u16 v208, v120 offset:3968
	ds_read_u16 v209, v69 offset:4208
	ds_read_u16 v210, v137 offset:480
	ds_read_u16 v211, v73 offset:3968
	v_mfma_f32_16x16x16f16 v[204:207], v[86:87], v[20:21], v[204:207]
	s_nop 7
	s_nop 2
	v_cvt_f16_f32_e32 v86, v205
	v_cvt_f16_f32_e32 v87, v206
	v_cvt_f16_f32_e32 v85, v204
	v_cvt_f16_f32_e32 v207, v207
	v_cvt_f32_f16_e32 v205, v86
	v_cvt_f32_f16_e32 v206, v87
	s_waitcnt lgkmcnt(0)
	v_perm_b32 v87, v211, v210, s38
	v_perm_b32 v86, v209, v208, s38
	v_cvt_f32_f16_e32 v204, v85
	v_cvt_f32_f16_e32 v207, v207
	ds_read_u16 v208, v120 offset:7808
	ds_read_u16 v209, v69 offset:8048
	ds_read_u16 v210, v138 offset:480
	ds_read_u16 v211, v73 offset:7808
	v_mfma_f32_16x16x16f16 v[204:207], v[86:87], v[18:19], v[204:207]
	s_nop 7
	s_nop 2
	v_cvt_f16_f32_e32 v86, v205
	v_cvt_f16_f32_e32 v87, v206
	v_cvt_f16_f32_e32 v85, v204
	v_cvt_f16_f32_e32 v207, v207
	v_cvt_f32_f16_e32 v205, v86
	v_cvt_f32_f16_e32 v206, v87
	s_waitcnt lgkmcnt(0)
	v_perm_b32 v87, v211, v210, s38
	v_perm_b32 v86, v209, v208, s38
	v_cvt_f32_f16_e32 v204, v85
	v_cvt_f32_f16_e32 v207, v207
	;; [unrolled: 18-line block ×3, first 2 shown]
	v_cvt_f32_f16_e32 v208, v83
	v_cvt_f32_f16_sdwa v209, v83 dst_sel:DWORD dst_unused:UNUSED_PAD src0_sel:WORD_1
	v_mfma_f32_16x16x16f16 v[204:207], v[86:87], v[14:15], v[204:207]
	s_nop 7
	s_nop 2
	v_cvt_f16_f32_e32 v85, v204
	v_cvt_f16_f32_e32 v86, v205
	;; [unrolled: 1-line block ×4, first 2 shown]
	v_cvt_f32_f16_e32 v206, v84
	v_pack_b32_f16 v205, v85, v86
	v_cvt_f32_f16_sdwa v207, v84 dst_sel:DWORD dst_unused:UNUSED_PAD src0_sel:WORD_1
	v_pack_b32_f16 v204, v87, v204
	ds_read_u16 v86, v120 offset:160
	ds_read_u16 v87, v69 offset:400
	;; [unrolled: 1-line block ×4, first 2 shown]
	s_waitcnt lgkmcnt(2)
	v_perm_b32 v84, v87, v86, s38
	s_waitcnt lgkmcnt(0)
	v_perm_b32 v85, v210, v85, s38
	s_nop 1
	v_mfma_f32_16x16x16f16 v[84:87], v[84:85], v[20:21], v[206:209]
	s_nop 6
	ds_read_u16 v206, v120 offset:4000
	ds_read_u16 v208, v69 offset:4240
	;; [unrolled: 1-line block ×4, first 2 shown]
	s_waitcnt lgkmcnt(2)
	v_perm_b32 v206, v208, v206, s38
	s_waitcnt lgkmcnt(0)
	v_perm_b32 v207, v209, v207, s38
	v_cvt_f16_f32_e32 v83, v84
	v_cvt_f16_f32_e32 v85, v85
	;; [unrolled: 1-line block ×4, first 2 shown]
	v_cvt_f32_f16_e32 v84, v83
	v_cvt_f32_f16_e32 v85, v85
	;; [unrolled: 1-line block ×4, first 2 shown]
	s_nop 1
	v_mfma_f32_16x16x16f16 v[84:87], v[206:207], v[18:19], v[84:87]
	ds_read_u16 v206, v120 offset:7840
	ds_read_u16 v208, v69 offset:8080
	;; [unrolled: 1-line block ×4, first 2 shown]
	s_waitcnt lgkmcnt(2)
	v_perm_b32 v206, v208, v206, s38
	s_waitcnt lgkmcnt(0)
	v_perm_b32 v207, v209, v207, s38
	s_nop 2
	v_cvt_f16_f32_e32 v83, v84
	v_cvt_f16_f32_e32 v85, v85
	;; [unrolled: 1-line block ×4, first 2 shown]
	v_cvt_f32_f16_e32 v84, v83
	v_cvt_f32_f16_e32 v85, v85
	;; [unrolled: 1-line block ×4, first 2 shown]
	s_nop 1
	v_mfma_f32_16x16x16f16 v[84:87], v[206:207], v[16:17], v[84:87]
	ds_read_u16 v206, v120 offset:11680
	ds_read_u16 v208, v69 offset:11920
	;; [unrolled: 1-line block ×4, first 2 shown]
	s_waitcnt lgkmcnt(2)
	v_perm_b32 v206, v208, v206, s38
	s_waitcnt lgkmcnt(0)
	v_perm_b32 v207, v209, v207, s38
	s_nop 2
	v_cvt_f16_f32_e32 v83, v84
	v_cvt_f16_f32_e32 v85, v85
	;; [unrolled: 1-line block ×4, first 2 shown]
	v_cvt_f32_f16_e32 v84, v83
	v_cvt_f32_f16_e32 v85, v85
	;; [unrolled: 1-line block ×4, first 2 shown]
	s_nop 1
	v_mfma_f32_16x16x16f16 v[84:87], v[206:207], v[14:15], v[84:87]
	s_nop 7
	s_nop 2
	v_cvt_f16_f32_e32 v83, v84
	v_cvt_f16_f32_e32 v84, v85
	;; [unrolled: 1-line block ×4, first 2 shown]
	v_cvt_f32_f16_sdwa v87, v81 dst_sel:DWORD dst_unused:UNUSED_PAD src0_sel:WORD_1
	v_pack_b32_f16 v206, v83, v84
	ds_read_u16 v208, v120 offset:192
	ds_read_u16 v209, v69 offset:432
	;; [unrolled: 1-line block ×4, first 2 shown]
	v_pack_b32_f16 v207, v85, v86
	v_cvt_f32_f16_e32 v84, v82
	v_cvt_f32_f16_sdwa v85, v82 dst_sel:DWORD dst_unused:UNUSED_PAD src0_sel:WORD_1
	s_waitcnt lgkmcnt(2)
	v_perm_b32 v82, v209, v208, s38
	s_waitcnt lgkmcnt(0)
	v_perm_b32 v83, v210, v83, s38
	v_cvt_f32_f16_e32 v86, v81
	s_nop 1
	v_mfma_f32_16x16x16f16 v[82:85], v[82:83], v[20:21], v[84:87]
	s_nop 6
	ds_read_u16 v86, v120 offset:4032
	ds_read_u16 v87, v69 offset:4272
	;; [unrolled: 1-line block ×4, first 2 shown]
	v_cvt_f16_f32_e32 v20, v82
	v_cvt_f16_f32_e32 v21, v83
	;; [unrolled: 1-line block ×4, first 2 shown]
	v_cvt_f32_f16_e32 v82, v20
	v_cvt_f32_f16_e32 v83, v21
	s_waitcnt lgkmcnt(0)
	v_perm_b32 v21, v209, v208, s38
	v_perm_b32 v20, v87, v86, s38
	v_cvt_f32_f16_e32 v84, v81
	v_cvt_f32_f16_e32 v85, v85
	s_nop 1
	v_mfma_f32_16x16x16f16 v[18:21], v[20:21], v[18:19], v[82:85]
	ds_read_u16 v81, v120 offset:7872
	s_nop 5
	ds_read_u16 v82, v69 offset:8112
	ds_read_u16 v83, v146 offset:480
	;; [unrolled: 1-line block ×3, first 2 shown]
	s_waitcnt lgkmcnt(2)
	v_perm_b32 v82, v82, v81, s38
	s_waitcnt lgkmcnt(0)
	v_perm_b32 v83, v84, v83, s38
	v_cvt_f16_f32_e32 v18, v18
	v_cvt_f16_f32_e32 v19, v19
	;; [unrolled: 1-line block ×4, first 2 shown]
	v_cvt_f32_f16_e32 v18, v18
	v_cvt_f32_f16_e32 v19, v19
	;; [unrolled: 1-line block ×4, first 2 shown]
	s_nop 1
	v_mfma_f32_16x16x16f16 v[18:21], v[82:83], v[16:17], v[18:21]
	s_nop 7
	s_nop 2
	v_cvt_f16_f32_e32 v17, v18
	v_cvt_f16_f32_e32 v18, v19
	;; [unrolled: 1-line block ×4, first 2 shown]
	ds_read_u16 v16, v120 offset:11712
	ds_read_u16 v21, v69 offset:11952
	;; [unrolled: 1-line block ×4, first 2 shown]
	v_cvt_f32_f16_e32 v84, v17
	v_cvt_f32_f16_e32 v85, v18
	s_waitcnt lgkmcnt(2)
	v_perm_b32 v16, v21, v16, s38
	v_cvt_f32_f16_e32 v86, v19
	s_waitcnt lgkmcnt(0)
	v_perm_b32 v17, v82, v81, s38
	v_cvt_f32_f16_e32 v87, v20
	s_barrier
	s_nop 0
	v_mfma_f32_16x16x16f16 v[14:17], v[16:17], v[14:15], v[84:87]
	s_nop 7
	s_nop 2
	v_cvt_f16_f32_e32 v14, v14
	v_cvt_f16_f32_e32 v15, v15
	v_cvt_f16_f32_e32 v16, v16
	v_cvt_f16_f32_e32 v17, v17
	v_pack_b32_f16 v209, v14, v15
	v_pack_b32_f16 v208, v16, v17
	s_cbranch_scc0 .LBB19_85
; %bb.84:                               ;   in Loop: Header=BB19_79 Depth=2
	v_mov_b32_e32 v212, v80
	v_mov_b32_e32 v213, v76
	s_branch .LBB19_79
.LBB19_85:                              ;   in Loop: Header=BB19_13 Depth=1
	s_lshl_b32 s8, s34, 6
	s_ashr_i32 s9, s8, 31
	s_lshl_b64 s[10:11], s[8:9], 1
	v_mov_b32_e32 v14, s11
	v_add_co_u32_e32 v15, vcc, s10, v74
	v_addc_co_u32_e32 v14, vcc, v198, v14, vcc
	v_lshlrev_b32_e32 v16, 1, v56
	v_add_co_u32_e32 v18, vcc, v15, v16
	v_addc_co_u32_e32 v19, vcc, 0, v14, vcc
	v_lshlrev_b64 v[14:15], 1, v[22:23]
	v_add_co_u32_e32 v14, vcc, v18, v14
	v_addc_co_u32_e32 v15, vcc, v19, v15, vcc
	v_lshlrev_b64 v[16:17], 1, v[24:25]
	v_add_co_u32_e32 v16, vcc, v18, v16
	v_addc_co_u32_e32 v17, vcc, v19, v17, vcc
	global_load_dword v14, v[14:15], off
	s_nop 0
	global_load_dword v15, v[16:17], off
	s_mul_hi_i32 s11, s40, s8
	s_mul_i32 s10, s40, s8
	s_lshl_b64 s[10:11], s[10:11], 2
	s_add_u32 s34, s49, s10
	v_add_u32_e32 v16, v164, v190
	s_addc_u32 s9, s48, s11
	s_waitcnt vmcnt(1)
	ds_write_b32 v16, v14 offset:15360
	s_waitcnt vmcnt(0)
	ds_write_b32 v16, v15 offset:16512
	s_and_saveexec_b64 s[10:11], s[0:1]
	s_cbranch_execz .LBB19_87
; %bb.86:                               ;   in Loop: Header=BB19_13 Depth=1
	v_mov_b32_e32 v14, s9
	v_add_co_u32_e32 v15, vcc, s34, v48
	v_addc_co_u32_e32 v16, vcc, v14, v49, vcc
	v_lshlrev_b32_e32 v14, 2, v30
	v_add_co_u32_e32 v14, vcc, v15, v14
	v_addc_co_u32_e32 v15, vcc, 0, v16, vcc
	global_load_dwordx4 v[14:17], v[14:15], off offset:192
	s_waitcnt vmcnt(0)
	ds_write_b128 v99, v[14:17]
.LBB19_87:                              ;   in Loop: Header=BB19_13 Depth=1
	s_or_b64 exec, exec, s[10:11]
	v_add_co_u32_e32 v14, vcc, s34, v50
	v_mov_b32_e32 v15, s9
	v_addc_co_u32_e32 v15, vcc, v15, v51, vcc
	v_lshlrev_b32_e32 v82, 2, v32
	v_add_co_u32_e32 v14, vcc, v14, v82
	v_addc_co_u32_e32 v15, vcc, 0, v15, vcc
	global_load_dwordx4 v[14:17], v[14:15], off offset:128
	v_lshlrev_b32_e32 v81, 2, v34
	v_add_u32_e32 v83, 0x800, v65
	s_waitcnt vmcnt(0)
	ds_write_b128 v89, v[14:17]
	v_add_co_u32_e32 v14, vcc, s34, v52
	v_mov_b32_e32 v15, s9
	v_addc_co_u32_e32 v15, vcc, v15, v53, vcc
	v_add_co_u32_e32 v14, vcc, v14, v81
	v_addc_co_u32_e32 v15, vcc, 0, v15, vcc
	global_load_dwordx4 v[14:17], v[14:15], off
	s_waitcnt vmcnt(0)
	ds_write_b128 v91, v[14:17]
	v_add_co_u32_e32 v14, vcc, s34, v54
	v_mov_b32_e32 v15, s9
	v_addc_co_u32_e32 v15, vcc, v15, v55, vcc
	v_add_co_u32_e32 v14, vcc, v14, v81
	v_addc_co_u32_e32 v15, vcc, 0, v15, vcc
	global_load_dwordx4 v[14:17], v[14:15], off
	s_mul_hi_i32 s9, s8, s30
	s_mul_i32 s8, s8, s30
	s_lshl_b64 s[8:9], s[8:9], 2
	s_add_u32 s11, s46, s8
	s_addc_u32 s10, s47, s9
	s_waitcnt vmcnt(0)
	ds_write_b128 v93, v[14:17]
	s_waitcnt lgkmcnt(0)
	s_barrier
	ds_read2_b64 v[14:17], v65 offset1:4
	s_waitcnt lgkmcnt(0)
	v_mfma_f32_16x16x16f16 v[18:21], v[14:15], v[10:11], 0
	v_mfma_f32_16x16x16f16 v[14:17], v[16:17], v[12:13], v[18:21]
	s_nop 7
	s_nop 1
	ds_read2_b64 v[18:21], v65 offset0:8 offset1:12
	s_waitcnt lgkmcnt(0)
	v_mfma_f32_16x16x16f16 v[14:17], v[18:19], v[6:7], v[14:17]
	v_mfma_f32_16x16x16f16 v[14:17], v[20:21], v[8:9], v[14:17]
	ds_read2_b64 v[18:21], v65 offset0:16 offset1:20
	s_waitcnt lgkmcnt(0)
	v_mfma_f32_16x16x16f16 v[14:17], v[18:19], v[2:3], v[14:17]
	ds_read_b64 v[18:19], v65 offset:192
	v_mfma_f32_16x16x16f16 v[14:17], v[20:21], v[4:5], v[14:17]
	s_waitcnt lgkmcnt(0)
	v_mfma_f32_16x16x16f16 v[18:21], v[18:19], v[78:79], v[14:17]
	s_nop 7
	s_nop 0
	ds_read2_b64 v[14:17], v83 offset0:224 offset1:228
	s_waitcnt lgkmcnt(0)
	v_mfma_f32_16x16x16f16 v[22:25], v[14:15], v[10:11], 0
	v_mfma_f32_16x16x16f16 v[14:17], v[16:17], v[12:13], v[22:25]
	s_nop 7
	s_nop 1
	ds_read2_b64 v[22:25], v83 offset0:232 offset1:236
	s_waitcnt lgkmcnt(0)
	v_mfma_f32_16x16x16f16 v[14:17], v[22:23], v[6:7], v[14:17]
	v_mfma_f32_16x16x16f16 v[14:17], v[24:25], v[8:9], v[14:17]
	ds_read2_b64 v[22:25], v83 offset0:240 offset1:244
	v_add_u32_e32 v83, 0x1800, v65
	s_waitcnt lgkmcnt(0)
	v_mfma_f32_16x16x16f16 v[14:17], v[22:23], v[2:3], v[14:17]
	ds_read_b64 v[22:23], v65 offset:4032
	v_mfma_f32_16x16x16f16 v[14:17], v[24:25], v[4:5], v[14:17]
	s_waitcnt lgkmcnt(0)
	v_mfma_f32_16x16x16f16 v[14:17], v[22:23], v[78:79], v[14:17]
	ds_read2_b64 v[22:25], v83 offset0:192 offset1:196
	s_waitcnt lgkmcnt(0)
	v_mfma_f32_16x16x16f16 v[84:87], v[22:23], v[10:11], 0
	v_mfma_f32_16x16x16f16 v[22:25], v[24:25], v[12:13], v[84:87]
	s_nop 7
	s_nop 1
	ds_read2_b64 v[84:87], v83 offset0:200 offset1:204
	s_waitcnt lgkmcnt(0)
	v_mfma_f32_16x16x16f16 v[22:25], v[84:85], v[6:7], v[22:25]
	v_mfma_f32_16x16x16f16 v[22:25], v[86:87], v[8:9], v[22:25]
	ds_read2_b64 v[84:87], v83 offset0:208 offset1:212
	v_add_u32_e32 v83, 0x2800, v65
	s_waitcnt lgkmcnt(0)
	v_mfma_f32_16x16x16f16 v[22:25], v[84:85], v[2:3], v[22:25]
	ds_read_b64 v[84:85], v65 offset:7872
	v_mfma_f32_16x16x16f16 v[22:25], v[86:87], v[4:5], v[22:25]
	s_waitcnt lgkmcnt(0)
	v_mfma_f32_16x16x16f16 v[22:25], v[84:85], v[78:79], v[22:25]
	ds_read2_b64 v[84:87], v83 offset0:160 offset1:164
	s_waitcnt lgkmcnt(0)
	v_mfma_f32_16x16x16f16 v[210:213], v[84:85], v[10:11], 0
	v_mfma_f32_16x16x16f16 v[10:13], v[86:87], v[12:13], v[210:213]
	ds_read2_b64 v[84:87], v83 offset0:168 offset1:172
	s_waitcnt lgkmcnt(0)
	v_mfma_f32_16x16x16f16 v[10:13], v[84:85], v[6:7], v[10:13]
	v_mfma_f32_16x16x16f16 v[6:9], v[86:87], v[8:9], v[10:13]
	s_nop 7
	s_nop 1
	ds_read2_b64 v[10:13], v83 offset0:176 offset1:180
	s_waitcnt lgkmcnt(0)
	v_mfma_f32_16x16x16f16 v[6:9], v[10:11], v[2:3], v[6:9]
	v_add_u32_e32 v11, 0x3c00, v194
	v_mfma_f32_16x16x16f16 v[2:5], v[12:13], v[4:5], v[6:9]
	v_xor_b32_e32 v13, 32, v187
	s_nop 7
	ds_read_b64 v[6:7], v65 offset:11712
	s_waitcnt lgkmcnt(0)
	v_mfma_f32_16x16x16f16 v[2:5], v[6:7], v[78:79], v[2:5]
	v_add_u32_e32 v6, 0x3c00, v192
	v_add_u32_e32 v8, 0x3c00, v193
	s_barrier
	ds_read_b32 v12, v119 offset:15360
	ds_read_b32 v10, v118 offset:15360
	ds_read2_b32 v[6:7], v6 offset1:1
	ds_read2_b32 v[8:9], v8 offset1:1
	;; [unrolled: 1-line block ×3, first 2 shown]
	v_and_b32_e32 v11, 64, v187
	v_add_u32_e32 v11, 64, v11
	v_cmp_lt_i32_e32 vcc, v13, v11
	v_cndmask_b32_e32 v13, v187, v13, vcc
	v_lshlrev_b32_e32 v79, 2, v13
	v_xor_b32_e32 v13, 16, v187
	v_cmp_lt_i32_e32 vcc, v13, v11
	v_cndmask_b32_e32 v11, v187, v13, vcc
	v_lshlrev_b32_e32 v78, 2, v11
	s_waitcnt lgkmcnt(3)
	v_cvt_f32_f16_sdwa v11, v10 dst_sel:DWORD dst_unused:UNUSED_PAD src0_sel:WORD_1
	v_cvt_f32_f16_e32 v10, v10
	v_pk_add_f32 v[20:21], v[20:21], v[10:11]
	v_cvt_f32_f16_sdwa v11, v12 dst_sel:DWORD dst_unused:UNUSED_PAD src0_sel:WORD_1
	v_cvt_f32_f16_e32 v10, v12
	v_add_f32_e32 v13, 0x40051340, v20
	v_add_f32_e32 v83, 0x40051340, v21
	v_pk_add_f32 v[18:19], v[18:19], v[10:11]
	v_add_f32_e32 v10, 0x40051340, v18
	v_add_f32_e32 v11, 0x40051340, v19
	v_max3_f32 v10, v76, v10, v11
	v_max3_f32 v83, v10, v13, v83
	s_waitcnt lgkmcnt(2)
	v_cvt_f32_f16_e32 v10, v7
	v_cvt_f32_f16_sdwa v11, v7 dst_sel:DWORD dst_unused:UNUSED_PAD src0_sel:WORD_1
	v_pk_add_f32 v[12:13], v[16:17], v[10:11]
	v_cvt_f32_f16_e32 v10, v6
	v_cvt_f32_f16_sdwa v11, v6 dst_sel:DWORD dst_unused:UNUSED_PAD src0_sel:WORD_1
	v_add_f32_e32 v7, 0x40051340, v12
	v_add_f32_e32 v16, 0x40051340, v13
	v_pk_add_f32 v[14:15], v[14:15], v[10:11]
	v_add_f32_e32 v6, 0x40051340, v14
	v_add_f32_e32 v10, 0x40051340, v15
	v_max3_f32 v6, v83, v6, v10
	s_waitcnt lgkmcnt(1)
	v_cvt_f32_f16_e32 v10, v8
	v_cvt_f32_f16_sdwa v11, v8 dst_sel:DWORD dst_unused:UNUSED_PAD src0_sel:WORD_1
	v_max3_f32 v16, v6, v7, v16
	v_cvt_f32_f16_e32 v6, v9
	v_cvt_f32_f16_sdwa v7, v9 dst_sel:DWORD dst_unused:UNUSED_PAD src0_sel:WORD_1
	v_pk_add_f32 v[10:11], v[22:23], v[10:11]
	v_add_f32_e32 v8, 0x40051340, v10
	v_add_f32_e32 v22, 0x40051340, v11
	v_pk_add_f32 v[6:7], v[24:25], v[6:7]
	v_add_f32_e32 v9, 0x40051340, v6
	v_add_f32_e32 v17, 0x40051340, v7
	v_max3_f32 v8, v16, v8, v22
	v_max3_f32 v16, v8, v9, v17
	s_waitcnt lgkmcnt(0)
	v_cvt_f32_f16_e32 v8, v85
	v_cvt_f32_f16_sdwa v9, v85 dst_sel:DWORD dst_unused:UNUSED_PAD src0_sel:WORD_1
	v_pk_add_f32 v[4:5], v[4:5], v[8:9]
	v_cvt_f32_f16_e32 v8, v84
	v_cvt_f32_f16_sdwa v9, v84 dst_sel:DWORD dst_unused:UNUSED_PAD src0_sel:WORD_1
	v_add_f32_e32 v17, 0x40051340, v4
	v_add_f32_e32 v22, 0x40051340, v5
	v_pk_add_f32 v[8:9], v[2:3], v[8:9]
	v_add_f32_e32 v2, 0x40051340, v8
	v_add_f32_e32 v3, 0x40051340, v9
	v_max3_f32 v2, v16, v2, v3
	v_max3_f32 v2, v2, v17, v22
	ds_bpermute_b32 v3, v79, v2
	s_waitcnt lgkmcnt(0)
	v_max_f32_e32 v3, v3, v3
	v_max_f32_e32 v2, v2, v3
	ds_bpermute_b32 v3, v78, v2
	s_and_saveexec_b64 s[8:9], s[0:1]
	s_cbranch_execz .LBB19_89
; %bb.88:                               ;   in Loop: Header=BB19_13 Depth=1
	v_mov_b32_e32 v16, s10
	v_add_co_u32_e32 v17, vcc, s11, v40
	v_addc_co_u32_e32 v22, vcc, v16, v41, vcc
	v_lshlrev_b32_e32 v16, 2, v30
	v_add_co_u32_e32 v16, vcc, v17, v16
	v_addc_co_u32_e32 v17, vcc, 0, v22, vcc
	global_load_dwordx4 v[22:25], v[16:17], off offset:192
	s_waitcnt vmcnt(0)
	ds_write_b128 v67, v[22:25]
.LBB19_89:                              ;   in Loop: Header=BB19_13 Depth=1
	s_or_b64 exec, exec, s[8:9]
	s_waitcnt lgkmcnt(0)
	v_max_f32_e32 v3, v3, v3
	v_max_f32_e32 v2, v2, v2
	;; [unrolled: 1-line block ×3, first 2 shown]
	v_pk_add_f32 v[18:19], v[18:19], v[2:3] op_sel_hi:[1,0] neg_lo:[0,1] neg_hi:[0,1]
	v_mul_f32_e32 v3, 0x3fb8aa3b, v19
	v_fma_f32 v16, v19, s45, -v3
	v_rndne_f32_e32 v17, v3
	v_fmac_f32_e32 v16, 0x32a5705f, v19
	v_sub_f32_e32 v3, v3, v17
	v_add_f32_e32 v3, v3, v16
	v_exp_f32_e32 v3, v3
	v_cvt_i32_f32_e32 v16, v17
	v_cmp_ngt_f32_e32 vcc, s65, v19
	s_cmp_lg_u64 s[72:73], 0
	v_ldexp_f32 v3, v3, v16
	v_cndmask_b32_e32 v3, 0, v3, vcc
	v_cmp_nlt_f32_e32 vcc, s52, v19
	v_cndmask_b32_e32 v16, v197, v3, vcc
	v_mul_f32_e32 v3, 0x3fb8aa3b, v18
	v_fma_f32 v17, v18, s45, -v3
	v_rndne_f32_e32 v19, v3
	v_fmac_f32_e32 v17, 0x32a5705f, v18
	v_sub_f32_e32 v3, v3, v19
	v_add_f32_e32 v3, v3, v17
	v_exp_f32_e32 v3, v3
	v_cvt_i32_f32_e32 v17, v19
	v_cmp_ngt_f32_e32 vcc, s65, v18
	v_ldexp_f32 v3, v3, v17
	v_cndmask_b32_e32 v3, 0, v3, vcc
	v_cmp_nlt_f32_e32 vcc, s52, v18
	v_pk_add_f32 v[18:19], v[20:21], v[2:3] op_sel_hi:[1,0] neg_lo:[0,1] neg_hi:[0,1]
	v_cndmask_b32_e32 v17, v197, v3, vcc
	v_mul_f32_e32 v3, 0x3fb8aa3b, v19
	v_fma_f32 v20, v19, s45, -v3
	v_rndne_f32_e32 v21, v3
	v_fmac_f32_e32 v20, 0x32a5705f, v19
	v_sub_f32_e32 v3, v3, v21
	v_add_f32_e32 v3, v3, v20
	v_exp_f32_e32 v3, v3
	v_cvt_i32_f32_e32 v20, v21
	v_cmp_ngt_f32_e32 vcc, s65, v19
	v_ldexp_f32 v3, v3, v20
	v_cndmask_b32_e32 v3, 0, v3, vcc
	v_cmp_nlt_f32_e32 vcc, s52, v19
	v_cndmask_b32_e32 v83, v197, v3, vcc
	v_mul_f32_e32 v3, 0x3fb8aa3b, v18
	v_fma_f32 v19, v18, s45, -v3
	v_rndne_f32_e32 v20, v3
	v_fmac_f32_e32 v19, 0x32a5705f, v18
	v_sub_f32_e32 v3, v3, v20
	v_add_f32_e32 v3, v3, v19
	v_exp_f32_e32 v3, v3
	v_cvt_i32_f32_e32 v19, v20
	v_cmp_ngt_f32_e32 vcc, s65, v18
	v_ldexp_f32 v3, v3, v19
	v_cndmask_b32_e32 v3, 0, v3, vcc
	v_cmp_nlt_f32_e32 vcc, s52, v18
	v_pk_add_f32 v[14:15], v[14:15], v[2:3] op_sel_hi:[1,0] neg_lo:[0,1] neg_hi:[0,1]
	v_cndmask_b32_e32 v84, v197, v3, vcc
	v_mul_f32_e32 v3, 0x3fb8aa3b, v15
	v_fma_f32 v18, v15, s45, -v3
	v_rndne_f32_e32 v19, v3
	v_fmac_f32_e32 v18, 0x32a5705f, v15
	v_sub_f32_e32 v3, v3, v19
	v_add_f32_e32 v3, v3, v18
	v_exp_f32_e32 v3, v3
	v_cvt_i32_f32_e32 v18, v19
	v_cmp_ngt_f32_e32 vcc, s65, v15
	;; [unrolled: 27-line block ×7, first 2 shown]
	v_ldexp_f32 v3, v3, v6
	v_cndmask_b32_e32 v3, 0, v3, vcc
	v_cmp_nlt_f32_e32 vcc, s52, v5
	v_cndmask_b32_e32 v5, v197, v3, vcc
	v_mul_f32_e32 v3, 0x3fb8aa3b, v4
	v_fma_f32 v6, v4, s45, -v3
	v_rndne_f32_e32 v7, v3
	v_fmac_f32_e32 v6, 0x32a5705f, v4
	v_sub_f32_e32 v3, v3, v7
	v_add_f32_e32 v3, v3, v6
	v_exp_f32_e32 v3, v3
	v_cvt_i32_f32_e32 v6, v7
	v_cmp_ngt_f32_e32 vcc, s65, v4
	v_ldexp_f32 v3, v3, v6
	v_cndmask_b32_e32 v3, 0, v3, vcc
	v_cmp_nlt_f32_e32 vcc, s52, v4
	v_cndmask_b32_e32 v201, v197, v3, vcc
	v_add_f32_e32 v3, v17, v16
	v_add_f32_e32 v3, v84, v3
	;; [unrolled: 1-line block ×3, first 2 shown]
	v_sub_f32_e32 v4, v76, v2
	v_add_f32_e32 v3, v14, v3
	v_mul_f32_e32 v6, 0x3fb8aa3b, v4
	v_add_f32_e32 v3, v15, v3
	v_fma_f32 v7, v4, s45, -v6
	v_rndne_f32_e32 v8, v6
	v_add_f32_e32 v3, v86, v3
	v_fmac_f32_e32 v7, 0x32a5705f, v4
	v_sub_f32_e32 v6, v6, v8
	v_add_f32_e32 v3, v85, v3
	v_add_f32_e32 v6, v6, v7
	;; [unrolled: 1-line block ×3, first 2 shown]
	v_exp_f32_e32 v6, v6
	v_cvt_i32_f32_e32 v7, v8
	v_add_f32_e32 v3, v12, v3
	v_add_f32_e32 v3, v105, v3
	v_add_f32_e32 v3, v87, v3
	v_add_f32_e32 v3, v200, v3
	v_ldexp_f32 v6, v6, v7
	v_cmp_ngt_f32_e32 vcc, s65, v4
	v_add_f32_e32 v3, v106, v3
	v_cndmask_b32_e32 v6, 0, v6, vcc
	v_cmp_nlt_f32_e32 vcc, s52, v4
	v_add_f32_e32 v3, v201, v3
	v_cndmask_b32_e32 v6, v197, v6, vcc
	v_cmp_le_f32_e32 vcc, s53, v4
	v_add_f32_e32 v3, v5, v3
	v_cndmask_b32_e32 v4, 0, v6, vcc
	v_fmac_f32_e32 v3, v80, v4
	v_cvt_f16_f32_e32 v4, v4
	v_cvt_f16_f32_e32 v76, v200
	;; [unrolled: 1-line block ×4, first 2 shown]
	v_pk_mul_f16 v7, v4, v102 op_sel_hi:[0,1]
	v_pk_mul_f16 v6, v4, v77 op_sel_hi:[0,1]
	;; [unrolled: 1-line block ×14, first 2 shown]
	v_cvt_f16_f32_e32 v4, v106
	v_cvt_f16_f32_e32 v13, v13
	v_cvt_f16_f32_e32 v15, v15
	v_cvt_f16_f32_e32 v14, v14
	v_pack_b32_f16 v4, v76, v4
	v_cvt_f16_f32_e32 v76, v201
	v_pack_b32_f16 v12, v13, v12
	v_cvt_f16_f32_e32 v13, v87
	v_pack_b32_f16 v14, v14, v15
	v_pack_b32_f16 v5, v76, v5
	v_cvt_f16_f32_e32 v76, v105
	v_cvt_f16_f32_e32 v15, v85
	;; [unrolled: 1-line block ×4, first 2 shown]
	v_pack_b32_f16 v13, v76, v13
	v_cvt_f16_f32_e32 v76, v86
	v_mov_b32_e32 v77, s10
	v_pack_b32_f16 v16, v17, v16
	v_cvt_f16_f32_e32 v17, v83
	v_pack_b32_f16 v15, v76, v15
	v_cvt_f16_f32_e32 v76, v84
	v_pack_b32_f16 v17, v76, v17
	v_add_co_u32_e32 v76, vcc, s11, v42
	v_addc_co_u32_e32 v77, vcc, v77, v43, vcc
	v_add_co_u32_e32 v76, vcc, v76, v82
	v_addc_co_u32_e32 v77, vcc, 0, v77, vcc
	global_load_dwordx4 v[82:85], v[76:77], off offset:128
	v_add_co_u32_e32 v76, vcc, s11, v44
	v_mov_b32_e32 v77, s10
	v_addc_co_u32_e32 v77, vcc, v77, v45, vcc
	v_add_co_u32_e32 v76, vcc, v76, v81
	v_addc_co_u32_e32 v77, vcc, 0, v77, vcc
	s_waitcnt vmcnt(0)
	ds_write_b128 v89, v[82:85]
	global_load_dwordx4 v[82:85], v[76:77], off
	v_add_co_u32_e32 v76, vcc, s11, v46
	v_mov_b32_e32 v77, s10
	v_addc_co_u32_e32 v77, vcc, v77, v47, vcc
	v_add_co_u32_e32 v76, vcc, v76, v81
	v_addc_co_u32_e32 v77, vcc, 0, v77, vcc
	s_waitcnt vmcnt(0)
	ds_write_b128 v91, v[82:85]
	global_load_dwordx4 v[80:83], v[76:77], off
	s_waitcnt vmcnt(0)
	ds_write_b128 v93, v[80:83]
	s_waitcnt lgkmcnt(0)
	s_barrier
	ds_read_u16 v76, v69 offset:480
	v_cvt_f32_f16_e32 v82, v6
	v_cvt_f32_f16_sdwa v83, v6 dst_sel:DWORD dst_unused:UNUSED_PAD src0_sel:WORD_1
	ds_read_u16 v6, v73
	ds_read_u16 v77, v73 offset:32
	v_cvt_f32_f16_e32 v80, v7
	v_cvt_f32_f16_sdwa v81, v7 dst_sel:DWORD dst_unused:UNUSED_PAD src0_sel:WORD_1
	s_waitcnt lgkmcnt(1)
	v_perm_b32 v7, v6, v76, s38
	ds_read_u16 v6, v120
	ds_read_u16 v76, v120 offset:32
	ds_read_u16 v84, v69 offset:240
	;; [unrolled: 1-line block ×3, first 2 shown]
	s_waitcnt lgkmcnt(1)
	v_perm_b32 v6, v84, v6, s38
	s_nop 1
	v_mfma_f32_16x16x16f16 v[80:83], v[6:7], v[16:17], v[80:83]
	ds_read_u16 v84, v120 offset:3840
	ds_read_u16 v86, v69 offset:4080
	;; [unrolled: 1-line block ×4, first 2 shown]
	s_nop 6
	v_cvt_f16_f32_e32 v6, v80
	v_cvt_f16_f32_e32 v7, v81
	;; [unrolled: 1-line block ×4, first 2 shown]
	v_cvt_f32_f16_e32 v80, v6
	v_cvt_f32_f16_e32 v81, v7
	s_waitcnt lgkmcnt(0)
	v_perm_b32 v7, v102, v87, s38
	v_perm_b32 v6, v86, v84, s38
	v_cvt_f32_f16_e32 v82, v82
	v_cvt_f32_f16_e32 v83, v83
	ds_read_u16 v84, v120 offset:7680
	ds_read_u16 v86, v69 offset:7920
	;; [unrolled: 1-line block ×4, first 2 shown]
	v_mfma_f32_16x16x16f16 v[80:83], v[6:7], v[14:15], v[80:83]
	s_nop 7
	s_nop 2
	v_cvt_f16_f32_e32 v6, v80
	v_cvt_f16_f32_e32 v7, v81
	;; [unrolled: 1-line block ×4, first 2 shown]
	v_cvt_f32_f16_e32 v80, v6
	v_cvt_f32_f16_e32 v81, v7
	s_waitcnt lgkmcnt(0)
	v_perm_b32 v7, v102, v87, s38
	v_perm_b32 v6, v86, v84, s38
	v_cvt_f32_f16_e32 v82, v82
	v_cvt_f32_f16_e32 v83, v83
	ds_read_u16 v84, v120 offset:11520
	ds_read_u16 v86, v69 offset:11760
	;; [unrolled: 1-line block ×4, first 2 shown]
	v_mfma_f32_16x16x16f16 v[80:83], v[6:7], v[12:13], v[80:83]
	s_nop 7
	s_nop 2
	v_cvt_f16_f32_e32 v6, v80
	v_cvt_f16_f32_e32 v7, v81
	;; [unrolled: 1-line block ×4, first 2 shown]
	v_cvt_f32_f16_e32 v80, v6
	v_cvt_f32_f16_e32 v81, v7
	s_waitcnt lgkmcnt(0)
	v_perm_b32 v7, v102, v87, s38
	v_perm_b32 v6, v86, v84, s38
	v_cvt_f32_f16_e32 v82, v82
	v_cvt_f32_f16_e32 v83, v83
	ds_read_u16 v84, v124 offset:480
	s_nop 0
	v_mfma_f32_16x16x16f16 v[80:83], v[6:7], v[4:5], v[80:83]
	s_nop 7
	s_nop 2
	v_cvt_f16_f32_e32 v6, v80
	v_cvt_f16_f32_e32 v7, v81
	;; [unrolled: 1-line block ×4, first 2 shown]
	v_cvt_f32_f16_e32 v82, v8
	v_pack_b32_f16 v6, v6, v7
	v_cvt_f32_f16_sdwa v83, v8 dst_sel:DWORD dst_unused:UNUSED_PAD src0_sel:WORD_1
	v_pack_b32_f16 v7, v80, v81
	v_cvt_f32_f16_e32 v80, v9
	v_cvt_f32_f16_sdwa v81, v9 dst_sel:DWORD dst_unused:UNUSED_PAD src0_sel:WORD_1
	s_waitcnt lgkmcnt(0)
	v_perm_b32 v9, v77, v84, s38
	v_perm_b32 v8, v85, v76, s38
	ds_read_u16 v84, v120 offset:3872
	ds_read_u16 v85, v69 offset:4112
	ds_read_u16 v86, v125 offset:480
	ds_read_u16 v87, v73 offset:3872
	v_mfma_f32_16x16x16f16 v[80:83], v[8:9], v[16:17], v[80:83]
	s_nop 7
	s_nop 2
	v_cvt_f16_f32_e32 v8, v80
	v_cvt_f16_f32_e32 v9, v81
	v_cvt_f16_f32_e32 v76, v82
	v_cvt_f16_f32_e32 v77, v83
	v_cvt_f32_f16_e32 v80, v8
	v_cvt_f32_f16_e32 v81, v9
	s_waitcnt lgkmcnt(0)
	v_perm_b32 v9, v87, v86, s38
	v_perm_b32 v8, v85, v84, s38
	v_cvt_f32_f16_e32 v82, v76
	v_cvt_f32_f16_e32 v83, v77
	ds_read_u16 v84, v120 offset:7712
	ds_read_u16 v85, v69 offset:7952
	ds_read_u16 v86, v126 offset:480
	ds_read_u16 v87, v73 offset:7712
	v_mfma_f32_16x16x16f16 v[80:83], v[8:9], v[14:15], v[80:83]
	s_nop 7
	s_nop 2
	v_cvt_f16_f32_e32 v8, v80
	v_cvt_f16_f32_e32 v9, v81
	v_cvt_f16_f32_e32 v76, v82
	v_cvt_f16_f32_e32 v77, v83
	v_cvt_f32_f16_e32 v80, v8
	v_cvt_f32_f16_e32 v81, v9
	s_waitcnt lgkmcnt(0)
	v_perm_b32 v9, v87, v86, s38
	v_perm_b32 v8, v85, v84, s38
	v_cvt_f32_f16_e32 v82, v76
	v_cvt_f32_f16_e32 v83, v77
	;; [unrolled: 18-line block ×3, first 2 shown]
	s_nop 1
	v_mfma_f32_16x16x16f16 v[80:83], v[8:9], v[4:5], v[80:83]
	s_nop 7
	s_nop 2
	v_cvt_f16_f32_e32 v8, v80
	v_cvt_f16_f32_e32 v9, v81
	;; [unrolled: 1-line block ×4, first 2 shown]
	v_cvt_f32_f16_e32 v80, v11
	v_pack_b32_f16 v8, v8, v9
	v_cvt_f32_f16_sdwa v81, v11 dst_sel:DWORD dst_unused:UNUSED_PAD src0_sel:WORD_1
	v_pack_b32_f16 v9, v76, v77
	ds_read_u16 v76, v120 offset:64
	ds_read_u16 v77, v69 offset:304
	;; [unrolled: 1-line block ×4, first 2 shown]
	v_cvt_f32_f16_e32 v82, v10
	v_cvt_f32_f16_sdwa v83, v10 dst_sel:DWORD dst_unused:UNUSED_PAD src0_sel:WORD_1
	s_waitcnt lgkmcnt(2)
	v_perm_b32 v10, v77, v76, s38
	s_waitcnt lgkmcnt(0)
	v_perm_b32 v11, v85, v84, s38
	ds_read_u16 v84, v120 offset:3904
	ds_read_u16 v85, v69 offset:4144
	ds_read_u16 v86, v129 offset:480
	ds_read_u16 v87, v73 offset:3904
	v_mfma_f32_16x16x16f16 v[80:83], v[10:11], v[16:17], v[80:83]
	s_nop 7
	s_nop 2
	v_cvt_f16_f32_e32 v10, v80
	v_cvt_f16_f32_e32 v11, v81
	v_cvt_f16_f32_e32 v76, v82
	v_cvt_f16_f32_e32 v77, v83
	v_cvt_f32_f16_e32 v80, v10
	v_cvt_f32_f16_e32 v81, v11
	s_waitcnt lgkmcnt(0)
	v_perm_b32 v11, v87, v86, s38
	v_perm_b32 v10, v85, v84, s38
	v_cvt_f32_f16_e32 v82, v76
	v_cvt_f32_f16_e32 v83, v77
	ds_read_u16 v84, v120 offset:7744
	ds_read_u16 v85, v69 offset:7984
	ds_read_u16 v86, v130 offset:480
	ds_read_u16 v87, v73 offset:7744
	v_mfma_f32_16x16x16f16 v[80:83], v[10:11], v[14:15], v[80:83]
	s_nop 7
	s_nop 2
	v_cvt_f16_f32_e32 v10, v80
	v_cvt_f16_f32_e32 v11, v81
	v_cvt_f16_f32_e32 v76, v82
	v_cvt_f16_f32_e32 v77, v83
	v_cvt_f32_f16_e32 v80, v10
	v_cvt_f32_f16_e32 v81, v11
	s_waitcnt lgkmcnt(0)
	v_perm_b32 v11, v87, v86, s38
	v_perm_b32 v10, v85, v84, s38
	v_cvt_f32_f16_e32 v82, v76
	v_cvt_f32_f16_e32 v83, v77
	;; [unrolled: 18-line block ×3, first 2 shown]
	s_nop 1
	v_mfma_f32_16x16x16f16 v[80:83], v[10:11], v[4:5], v[80:83]
	s_nop 7
	s_nop 2
	v_cvt_f16_f32_e32 v10, v80
	v_cvt_f16_f32_e32 v11, v81
	;; [unrolled: 1-line block ×4, first 2 shown]
	v_cvt_f32_f16_e32 v80, v19
	v_pack_b32_f16 v10, v10, v11
	v_cvt_f32_f16_sdwa v81, v19 dst_sel:DWORD dst_unused:UNUSED_PAD src0_sel:WORD_1
	v_pack_b32_f16 v11, v76, v77
	ds_read_u16 v76, v120 offset:96
	ds_read_u16 v77, v69 offset:336
	;; [unrolled: 1-line block ×4, first 2 shown]
	v_cvt_f32_f16_e32 v82, v18
	v_cvt_f32_f16_sdwa v83, v18 dst_sel:DWORD dst_unused:UNUSED_PAD src0_sel:WORD_1
	s_waitcnt lgkmcnt(2)
	v_perm_b32 v18, v77, v76, s38
	s_waitcnt lgkmcnt(0)
	v_perm_b32 v19, v85, v84, s38
	ds_read_u16 v84, v120 offset:3936
	ds_read_u16 v85, v69 offset:4176
	ds_read_u16 v86, v133 offset:480
	ds_read_u16 v87, v73 offset:3936
	v_mfma_f32_16x16x16f16 v[80:83], v[18:19], v[16:17], v[80:83]
	s_nop 7
	s_nop 2
	v_cvt_f16_f32_e32 v18, v80
	v_cvt_f16_f32_e32 v19, v81
	v_cvt_f16_f32_e32 v76, v82
	v_cvt_f16_f32_e32 v77, v83
	v_cvt_f32_f16_e32 v80, v18
	v_cvt_f32_f16_e32 v81, v19
	s_waitcnt lgkmcnt(0)
	v_perm_b32 v19, v87, v86, s38
	v_perm_b32 v18, v85, v84, s38
	v_cvt_f32_f16_e32 v82, v76
	v_cvt_f32_f16_e32 v83, v77
	ds_read_u16 v84, v120 offset:7776
	ds_read_u16 v85, v69 offset:8016
	ds_read_u16 v86, v134 offset:480
	ds_read_u16 v87, v73 offset:7776
	v_mfma_f32_16x16x16f16 v[80:83], v[18:19], v[14:15], v[80:83]
	s_nop 7
	s_nop 2
	v_cvt_f16_f32_e32 v18, v80
	v_cvt_f16_f32_e32 v19, v81
	v_cvt_f16_f32_e32 v76, v82
	v_cvt_f16_f32_e32 v77, v83
	v_cvt_f32_f16_e32 v80, v18
	v_cvt_f32_f16_e32 v81, v19
	s_waitcnt lgkmcnt(0)
	v_perm_b32 v19, v87, v86, s38
	v_perm_b32 v18, v85, v84, s38
	v_cvt_f32_f16_e32 v82, v76
	v_cvt_f32_f16_e32 v83, v77
	;; [unrolled: 18-line block ×3, first 2 shown]
	s_nop 1
	v_mfma_f32_16x16x16f16 v[80:83], v[18:19], v[4:5], v[80:83]
	s_nop 7
	s_nop 2
	v_cvt_f16_f32_e32 v18, v80
	v_cvt_f16_f32_e32 v19, v81
	;; [unrolled: 1-line block ×4, first 2 shown]
	v_cvt_f32_f16_e32 v80, v21
	v_pack_b32_f16 v18, v18, v19
	v_cvt_f32_f16_sdwa v81, v21 dst_sel:DWORD dst_unused:UNUSED_PAD src0_sel:WORD_1
	v_pack_b32_f16 v19, v76, v77
	ds_read_u16 v76, v120 offset:128
	ds_read_u16 v77, v69 offset:368
	;; [unrolled: 1-line block ×4, first 2 shown]
	v_cvt_f32_f16_e32 v82, v20
	v_cvt_f32_f16_sdwa v83, v20 dst_sel:DWORD dst_unused:UNUSED_PAD src0_sel:WORD_1
	s_waitcnt lgkmcnt(2)
	v_perm_b32 v20, v77, v76, s38
	s_waitcnt lgkmcnt(0)
	v_perm_b32 v21, v85, v84, s38
	ds_read_u16 v84, v120 offset:3968
	ds_read_u16 v85, v69 offset:4208
	ds_read_u16 v86, v137 offset:480
	ds_read_u16 v87, v73 offset:3968
	v_mfma_f32_16x16x16f16 v[80:83], v[20:21], v[16:17], v[80:83]
	s_nop 7
	s_nop 2
	v_cvt_f16_f32_e32 v20, v80
	v_cvt_f16_f32_e32 v21, v81
	v_cvt_f16_f32_e32 v76, v82
	v_cvt_f16_f32_e32 v77, v83
	v_cvt_f32_f16_e32 v80, v20
	v_cvt_f32_f16_e32 v81, v21
	s_waitcnt lgkmcnt(0)
	v_perm_b32 v21, v87, v86, s38
	v_perm_b32 v20, v85, v84, s38
	v_cvt_f32_f16_e32 v82, v76
	v_cvt_f32_f16_e32 v83, v77
	ds_read_u16 v84, v120 offset:7808
	ds_read_u16 v85, v69 offset:8048
	ds_read_u16 v86, v138 offset:480
	ds_read_u16 v87, v73 offset:7808
	v_mfma_f32_16x16x16f16 v[80:83], v[20:21], v[14:15], v[80:83]
	s_nop 7
	s_nop 2
	v_cvt_f16_f32_e32 v20, v80
	v_cvt_f16_f32_e32 v21, v81
	v_cvt_f16_f32_e32 v76, v82
	v_cvt_f16_f32_e32 v77, v83
	v_cvt_f32_f16_e32 v80, v20
	v_cvt_f32_f16_e32 v81, v21
	s_waitcnt lgkmcnt(0)
	v_perm_b32 v21, v87, v86, s38
	v_perm_b32 v20, v85, v84, s38
	v_cvt_f32_f16_e32 v82, v76
	v_cvt_f32_f16_e32 v83, v77
	;; [unrolled: 18-line block ×3, first 2 shown]
	s_nop 1
	v_mfma_f32_16x16x16f16 v[80:83], v[20:21], v[4:5], v[80:83]
	s_nop 7
	s_nop 2
	v_cvt_f16_f32_e32 v20, v80
	v_cvt_f16_f32_e32 v21, v81
	;; [unrolled: 1-line block ×4, first 2 shown]
	v_cvt_f32_f16_e32 v80, v23
	v_pack_b32_f16 v20, v20, v21
	v_cvt_f32_f16_sdwa v81, v23 dst_sel:DWORD dst_unused:UNUSED_PAD src0_sel:WORD_1
	v_pack_b32_f16 v21, v76, v77
	ds_read_u16 v76, v120 offset:160
	ds_read_u16 v77, v69 offset:400
	;; [unrolled: 1-line block ×4, first 2 shown]
	v_cvt_f32_f16_e32 v82, v22
	v_cvt_f32_f16_sdwa v83, v22 dst_sel:DWORD dst_unused:UNUSED_PAD src0_sel:WORD_1
	s_waitcnt lgkmcnt(2)
	v_perm_b32 v22, v77, v76, s38
	s_waitcnt lgkmcnt(0)
	v_perm_b32 v23, v85, v84, s38
	ds_read_u16 v84, v120 offset:4000
	ds_read_u16 v85, v69 offset:4240
	ds_read_u16 v86, v141 offset:480
	ds_read_u16 v87, v73 offset:4000
	v_mfma_f32_16x16x16f16 v[80:83], v[22:23], v[16:17], v[80:83]
	s_nop 7
	s_nop 2
	v_cvt_f16_f32_e32 v22, v80
	v_cvt_f16_f32_e32 v23, v81
	v_cvt_f16_f32_e32 v76, v82
	v_cvt_f16_f32_e32 v77, v83
	v_cvt_f32_f16_e32 v80, v22
	v_cvt_f32_f16_e32 v81, v23
	s_waitcnt lgkmcnt(0)
	v_perm_b32 v23, v87, v86, s38
	v_perm_b32 v22, v85, v84, s38
	v_cvt_f32_f16_e32 v82, v76
	v_cvt_f32_f16_e32 v83, v77
	ds_read_u16 v84, v120 offset:7840
	ds_read_u16 v85, v69 offset:8080
	ds_read_u16 v86, v142 offset:480
	ds_read_u16 v87, v73 offset:7840
	v_mfma_f32_16x16x16f16 v[80:83], v[22:23], v[14:15], v[80:83]
	s_nop 7
	s_nop 2
	v_cvt_f16_f32_e32 v22, v80
	v_cvt_f16_f32_e32 v23, v81
	v_cvt_f16_f32_e32 v76, v82
	v_cvt_f16_f32_e32 v77, v83
	v_cvt_f32_f16_e32 v80, v22
	v_cvt_f32_f16_e32 v81, v23
	s_waitcnt lgkmcnt(0)
	v_perm_b32 v23, v87, v86, s38
	v_perm_b32 v22, v85, v84, s38
	v_cvt_f32_f16_e32 v82, v76
	v_cvt_f32_f16_e32 v83, v77
	;; [unrolled: 18-line block ×3, first 2 shown]
	s_nop 1
	v_mfma_f32_16x16x16f16 v[80:83], v[22:23], v[4:5], v[80:83]
	s_nop 7
	s_nop 2
	v_cvt_f16_f32_e32 v22, v80
	v_cvt_f16_f32_e32 v23, v81
	v_cvt_f16_f32_e32 v76, v82
	v_cvt_f16_f32_e32 v77, v83
	v_cvt_f32_f16_e32 v80, v25
	v_pack_b32_f16 v22, v22, v23
	v_cvt_f32_f16_sdwa v81, v25 dst_sel:DWORD dst_unused:UNUSED_PAD src0_sel:WORD_1
	v_pack_b32_f16 v23, v76, v77
	ds_read_u16 v76, v120 offset:192
	ds_read_u16 v77, v69 offset:432
	;; [unrolled: 1-line block ×4, first 2 shown]
	v_cvt_f32_f16_e32 v82, v24
	v_cvt_f32_f16_sdwa v83, v24 dst_sel:DWORD dst_unused:UNUSED_PAD src0_sel:WORD_1
	s_waitcnt lgkmcnt(2)
	v_perm_b32 v24, v77, v76, s38
	s_waitcnt lgkmcnt(0)
	v_perm_b32 v25, v85, v84, s38
	ds_read_u16 v76, v120 offset:4032
	ds_read_u16 v77, v69 offset:4272
	;; [unrolled: 1-line block ×4, first 2 shown]
	v_mfma_f32_16x16x16f16 v[80:83], v[24:25], v[16:17], v[80:83]
	s_nop 7
	s_nop 2
	v_cvt_f16_f32_e32 v16, v80
	v_cvt_f16_f32_e32 v17, v81
	;; [unrolled: 1-line block ×4, first 2 shown]
	v_cvt_f32_f16_e32 v80, v16
	v_cvt_f32_f16_e32 v81, v17
	s_waitcnt lgkmcnt(0)
	v_perm_b32 v17, v85, v84, s38
	v_perm_b32 v16, v77, v76, s38
	v_cvt_f32_f16_e32 v82, v24
	v_cvt_f32_f16_e32 v83, v25
	ds_read_u16 v24, v120 offset:7872
	ds_read_u16 v76, v69 offset:8112
	;; [unrolled: 1-line block ×4, first 2 shown]
	v_mfma_f32_16x16x16f16 v[14:17], v[16:17], v[14:15], v[80:83]
	s_waitcnt lgkmcnt(2)
	v_perm_b32 v24, v76, v24, s38
	s_waitcnt lgkmcnt(0)
	v_perm_b32 v25, v77, v25, s38
	s_nop 6
	v_cvt_f16_f32_e32 v14, v14
	v_cvt_f16_f32_e32 v15, v15
	;; [unrolled: 1-line block ×4, first 2 shown]
	v_cvt_f32_f16_e32 v14, v14
	v_cvt_f32_f16_e32 v15, v15
	;; [unrolled: 1-line block ×4, first 2 shown]
	s_nop 1
	v_mfma_f32_16x16x16f16 v[14:17], v[24:25], v[12:13], v[14:17]
	s_nop 7
	s_nop 2
	v_cvt_f16_f32_e32 v13, v14
	v_cvt_f16_f32_e32 v14, v15
	;; [unrolled: 1-line block ×4, first 2 shown]
	ds_read_u16 v12, v120 offset:11712
	ds_read_u16 v17, v69 offset:11952
	;; [unrolled: 1-line block ×4, first 2 shown]
	v_cvt_f32_f16_e32 v80, v13
	v_cvt_f32_f16_e32 v81, v14
	s_waitcnt lgkmcnt(2)
	v_perm_b32 v12, v17, v12, s38
	v_cvt_f32_f16_e32 v82, v15
	s_waitcnt lgkmcnt(0)
	v_perm_b32 v13, v25, v24, s38
	v_cvt_f32_f16_e32 v83, v16
	s_barrier
	s_nop 0
	v_mfma_f32_16x16x16f16 v[12:15], v[12:13], v[4:5], v[80:83]
	s_nop 7
	s_nop 2
	v_cvt_f16_f32_e32 v4, v12
	v_cvt_f16_f32_e32 v5, v13
	;; [unrolled: 1-line block ×4, first 2 shown]
	v_pack_b32_f16 v4, v4, v5
	v_pack_b32_f16 v5, v12, v13
	ds_bpermute_b32 v12, v79, v3
	s_waitcnt lgkmcnt(0)
	v_add_f32_e32 v3, v3, v12
	ds_bpermute_b32 v12, v78, v3
	s_waitcnt lgkmcnt(0)
	v_add_f32_e32 v3, v3, v12
	s_cbranch_scc0 .LBB19_297
; %bb.90:                               ;   in Loop: Header=BB19_13 Depth=1
	v_lshlrev_b32_e32 v12, 2, v36
	global_load_dword v13, v12, s[72:73]
	v_max_f32_e32 v12, v2, v2
	s_waitcnt vmcnt(0)
	v_max_f32_e32 v14, v13, v13
	v_max_f32_e32 v12, v12, v14
	v_sub_f32_e32 v14, v2, v12
	v_sub_f32_e32 v13, v13, v12
	v_mul_f32_e32 v15, 0x3fb8aa3b, v14
	v_mul_f32_e32 v16, 0x3fb8aa3b, v13
	v_fma_f32 v17, v14, s45, -v15
	v_rndne_f32_e32 v24, v15
	v_fma_f32 v25, v13, s45, -v16
	v_rndne_f32_e32 v76, v16
	v_fmac_f32_e32 v17, 0x32a5705f, v14
	v_sub_f32_e32 v15, v15, v24
	v_fmac_f32_e32 v25, 0x32a5705f, v13
	v_sub_f32_e32 v16, v16, v76
	v_add_f32_e32 v15, v15, v17
	v_cvt_i32_f32_e32 v24, v24
	v_add_f32_e32 v16, v16, v25
	v_exp_f32_e32 v15, v15
	v_cvt_i32_f32_e32 v76, v76
	v_exp_f32_e32 v16, v16
	v_cmp_ngt_f32_e32 vcc, s65, v14
	v_ldexp_f32 v15, v15, v24
	v_cndmask_b32_e32 v15, 0, v15, vcc
	v_ldexp_f32 v16, v16, v76
	v_cmp_ngt_f32_e32 vcc, s65, v13
	v_cndmask_b32_e32 v16, 0, v16, vcc
	v_cmp_nlt_f32_e32 vcc, s52, v14
	v_cndmask_b32_e32 v15, v197, v15, vcc
	v_cmp_le_f32_e32 vcc, s53, v14
	v_cndmask_b32_e32 v14, 0, v15, vcc
	v_cvt_f16_f32_e32 v83, v14
	v_cmp_nlt_f32_e32 vcc, s52, v13
	v_cndmask_b32_e32 v13, v197, v16, vcc
	v_fmac_f32_e32 v13, v3, v14
	v_pk_mul_f16 v14, v83, v6 op_sel_hi:[0,1]
	v_pk_mul_f16 v15, v83, v7 op_sel_hi:[0,1]
	v_pk_mul_f16 v16, v83, v8 op_sel_hi:[0,1]
	v_pk_mul_f16 v17, v83, v9 op_sel_hi:[0,1]
	v_pk_mul_f16 v24, v83, v10 op_sel_hi:[0,1]
	v_pk_mul_f16 v25, v83, v11 op_sel_hi:[0,1]
	v_pk_mul_f16 v76, v83, v18 op_sel_hi:[0,1]
	v_pk_mul_f16 v77, v83, v19 op_sel_hi:[0,1]
	v_pk_mul_f16 v78, v83, v20 op_sel_hi:[0,1]
	v_pk_mul_f16 v79, v83, v21 op_sel_hi:[0,1]
	v_pk_mul_f16 v80, v83, v22 op_sel_hi:[0,1]
	v_pk_mul_f16 v81, v83, v23 op_sel_hi:[0,1]
	v_pk_mul_f16 v82, v83, v4 op_sel_hi:[0,1]
	v_pk_mul_f16 v83, v83, v5 op_sel_hi:[0,1]
	s_cbranch_execnz .LBB19_92
.LBB19_91:                              ;   in Loop: Header=BB19_13 Depth=1
	v_pk_mov_b32 v[80:81], v[22:23], v[22:23] op_sel:[0,1]
	v_pk_mov_b32 v[78:79], v[20:21], v[20:21] op_sel:[0,1]
	;; [unrolled: 1-line block ×8, first 2 shown]
.LBB19_92:                              ;   in Loop: Header=BB19_13 Depth=1
	s_barrier
	s_mov_b64 s[8:9], exec
	v_readlane_b32 s10, v238, 29
	v_readlane_b32 s11, v238, 30
	s_and_b64 s[10:11], s[8:9], s[10:11]
	s_mov_b64 exec, s[10:11]
	s_cbranch_execz .LBB19_94
; %bb.93:                               ;   in Loop: Header=BB19_13 Depth=1
	global_store_dwordx2 v[38:39], v[12:13], off
.LBB19_94:                              ;   in Loop: Header=BB19_13 Depth=1
	s_or_b64 exec, exec, s[8:9]
	v_cmp_gt_i32_e64 s[8:9], s28, v101
	v_cmp_gt_i32_e64 s[10:11], s33, v27
	v_cmp_le_i32_e32 vcc, s33, v27
	s_and_b64 s[8:9], s[8:9], s[10:11]
	v_mov_b32_e32 v2, 50
	ds_write2_b32 v188, v14, v15 offset1:1
	ds_write2_b32 v188, v16, v17 offset0:8 offset1:9
	ds_write2_b32 v188, v24, v25 offset0:16 offset1:17
	;; [unrolled: 1-line block ×6, first 2 shown]
	s_waitcnt lgkmcnt(0)
	s_barrier
	s_and_saveexec_b64 s[10:11], s[8:9]
	s_cbranch_execz .LBB19_96
; %bb.95:                               ;   in Loop: Header=BB19_13 Depth=1
	ds_read_b32 v4, v165
	v_mad_u64_u32 v[2:3], s[8:9], v101, s29, v[68:69]
	v_mad_u64_u32 v[2:3], s[8:9], v2, 56, v[62:63]
	s_waitcnt lgkmcnt(0)
	v_cvt_f32_f16_sdwa v5, v4 dst_sel:DWORD dst_unused:UNUSED_PAD src0_sel:WORD_1
	v_cvt_f32_f16_e32 v4, v4
	v_ashrrev_i32_e32 v3, 31, v2
	v_lshlrev_b64 v[2:3], 3, v[2:3]
	v_mov_b32_e32 v6, s3
	v_add_co_u32_e64 v2, s[8:9], s2, v2
	v_addc_co_u32_e64 v3, s[8:9], v6, v3, s[8:9]
	v_pk_add_f32 v[4:5], v[4:5], 0 op_sel_hi:[1,0]
	global_store_dwordx2 v[2:3], v[4:5], off
	v_mov_b32_e32 v2, 0
.LBB19_96:                              ;   in Loop: Header=BB19_13 Depth=1
	s_or_b64 exec, exec, s[10:11]
	v_cmp_gt_i32_e64 s[8:9], 50, v2
	s_mov_b64 s[34:35], -1
	s_and_saveexec_b64 s[10:11], s[8:9]
; %bb.97:                               ;   in Loop: Header=BB19_13 Depth=1
	v_cmp_eq_u32_e64 s[8:9], 0, v2
	s_orn2_b64 s[34:35], s[8:9], exec
; %bb.98:                               ;   in Loop: Header=BB19_13 Depth=1
	s_or_b64 exec, exec, s[10:11]
	s_and_saveexec_b64 s[10:11], s[34:35]
	s_cbranch_execz .LBB19_131
; %bb.99:                               ;   in Loop: Header=BB19_13 Depth=1
	v_cmp_gt_i32_e64 s[8:9], s28, v100
	s_xor_b64 s[34:35], vcc, -1
	s_and_b64 s[56:57], s[8:9], s[34:35]
	v_mov_b32_e32 v2, 50
	s_and_saveexec_b64 s[8:9], s[56:57]
	s_cbranch_execz .LBB19_101
; %bb.100:                              ;   in Loop: Header=BB19_13 Depth=1
	ds_read_b32 v4, v165 offset:1920
	v_mad_u64_u32 v[2:3], s[56:57], v100, s29, v[68:69]
	v_mad_u64_u32 v[2:3], s[56:57], v2, 56, v[62:63]
	s_waitcnt lgkmcnt(0)
	v_cvt_f32_f16_sdwa v5, v4 dst_sel:DWORD dst_unused:UNUSED_PAD src0_sel:WORD_1
	v_cvt_f32_f16_e32 v4, v4
	v_ashrrev_i32_e32 v3, 31, v2
	v_lshlrev_b64 v[2:3], 3, v[2:3]
	v_mov_b32_e32 v6, s3
	v_add_co_u32_e32 v2, vcc, s2, v2
	v_addc_co_u32_e32 v3, vcc, v6, v3, vcc
	v_pk_add_f32 v[4:5], v[4:5], 0 op_sel_hi:[1,0]
	global_store_dwordx2 v[2:3], v[4:5], off
	v_mov_b32_e32 v2, 0
.LBB19_101:                             ;   in Loop: Header=BB19_13 Depth=1
	s_or_b64 exec, exec, s[8:9]
	v_cmp_gt_i32_e32 vcc, 50, v2
	s_mov_b64 s[8:9], -1
	s_and_saveexec_b64 s[56:57], vcc
; %bb.102:                              ;   in Loop: Header=BB19_13 Depth=1
	v_cmp_eq_u32_e32 vcc, 0, v2
	s_orn2_b64 s[8:9], vcc, exec
; %bb.103:                              ;   in Loop: Header=BB19_13 Depth=1
	s_or_b64 exec, exec, s[56:57]
	s_and_b64 exec, exec, s[8:9]
	s_cbranch_execz .LBB19_131
; %bb.104:                              ;   in Loop: Header=BB19_13 Depth=1
	v_cmp_gt_i32_e32 vcc, s28, v98
	s_and_b64 s[56:57], vcc, s[34:35]
	v_mov_b32_e32 v2, 50
	s_and_saveexec_b64 s[8:9], s[56:57]
	s_cbranch_execz .LBB19_106
; %bb.105:                              ;   in Loop: Header=BB19_13 Depth=1
	ds_read_b32 v4, v167
	v_mad_u64_u32 v[2:3], s[56:57], v98, s29, v[68:69]
	v_mad_u64_u32 v[2:3], s[56:57], v2, 56, v[62:63]
	s_waitcnt lgkmcnt(0)
	v_cvt_f32_f16_sdwa v5, v4 dst_sel:DWORD dst_unused:UNUSED_PAD src0_sel:WORD_1
	v_cvt_f32_f16_e32 v4, v4
	v_ashrrev_i32_e32 v3, 31, v2
	v_lshlrev_b64 v[2:3], 3, v[2:3]
	v_mov_b32_e32 v6, s3
	v_add_co_u32_e32 v2, vcc, s2, v2
	v_addc_co_u32_e32 v3, vcc, v6, v3, vcc
	v_pk_add_f32 v[4:5], v[4:5], 0 op_sel_hi:[1,0]
	global_store_dwordx2 v[2:3], v[4:5], off
	v_mov_b32_e32 v2, 0
.LBB19_106:                             ;   in Loop: Header=BB19_13 Depth=1
	s_or_b64 exec, exec, s[8:9]
	v_cmp_gt_i32_e32 vcc, 50, v2
	s_mov_b64 s[8:9], -1
	s_and_saveexec_b64 s[56:57], vcc
; %bb.107:                              ;   in Loop: Header=BB19_13 Depth=1
	v_cmp_eq_u32_e32 vcc, 0, v2
	s_orn2_b64 s[8:9], vcc, exec
; %bb.108:                              ;   in Loop: Header=BB19_13 Depth=1
	s_or_b64 exec, exec, s[56:57]
	s_and_b64 exec, exec, s[8:9]
	s_cbranch_execz .LBB19_131
; %bb.109:                              ;   in Loop: Header=BB19_13 Depth=1
	v_cmp_gt_i32_e32 vcc, s28, v96
	s_and_b64 s[56:57], vcc, s[34:35]
	v_mov_b32_e32 v2, 50
	s_and_saveexec_b64 s[8:9], s[56:57]
	s_cbranch_execz .LBB19_111
; %bb.110:                              ;   in Loop: Header=BB19_13 Depth=1
	ds_read_b32 v4, v165 offset:5760
	v_mad_u64_u32 v[2:3], s[56:57], v96, s29, v[68:69]
	v_mad_u64_u32 v[2:3], s[56:57], v2, 56, v[62:63]
	s_waitcnt lgkmcnt(0)
	v_cvt_f32_f16_sdwa v5, v4 dst_sel:DWORD dst_unused:UNUSED_PAD src0_sel:WORD_1
	v_cvt_f32_f16_e32 v4, v4
	v_ashrrev_i32_e32 v3, 31, v2
	v_lshlrev_b64 v[2:3], 3, v[2:3]
	v_mov_b32_e32 v6, s3
	v_add_co_u32_e32 v2, vcc, s2, v2
	v_addc_co_u32_e32 v3, vcc, v6, v3, vcc
	v_pk_add_f32 v[4:5], v[4:5], 0 op_sel_hi:[1,0]
	global_store_dwordx2 v[2:3], v[4:5], off
	v_mov_b32_e32 v2, 0
.LBB19_111:                             ;   in Loop: Header=BB19_13 Depth=1
	s_or_b64 exec, exec, s[8:9]
	v_cmp_gt_i32_e32 vcc, 50, v2
	s_mov_b64 s[8:9], -1
	s_and_saveexec_b64 s[56:57], vcc
; %bb.112:                              ;   in Loop: Header=BB19_13 Depth=1
	v_cmp_eq_u32_e32 vcc, 0, v2
	s_orn2_b64 s[8:9], vcc, exec
; %bb.113:                              ;   in Loop: Header=BB19_13 Depth=1
	s_or_b64 exec, exec, s[56:57]
	s_and_b64 exec, exec, s[8:9]
	s_cbranch_execz .LBB19_131
; %bb.114:                              ;   in Loop: Header=BB19_13 Depth=1
	v_cmp_gt_i32_e32 vcc, s28, v94
	s_and_b64 s[56:57], vcc, s[34:35]
	v_mov_b32_e32 v2, 50
	s_and_saveexec_b64 s[8:9], s[56:57]
	s_cbranch_execz .LBB19_116
; %bb.115:                              ;   in Loop: Header=BB19_13 Depth=1
	ds_read_b32 v4, v169
	v_mad_u64_u32 v[2:3], s[56:57], v94, s29, v[68:69]
	v_mad_u64_u32 v[2:3], s[56:57], v2, 56, v[62:63]
	s_waitcnt lgkmcnt(0)
	v_cvt_f32_f16_sdwa v5, v4 dst_sel:DWORD dst_unused:UNUSED_PAD src0_sel:WORD_1
	v_cvt_f32_f16_e32 v4, v4
	v_ashrrev_i32_e32 v3, 31, v2
	v_lshlrev_b64 v[2:3], 3, v[2:3]
	v_mov_b32_e32 v6, s3
	v_add_co_u32_e32 v2, vcc, s2, v2
	v_addc_co_u32_e32 v3, vcc, v6, v3, vcc
	v_pk_add_f32 v[4:5], v[4:5], 0 op_sel_hi:[1,0]
	global_store_dwordx2 v[2:3], v[4:5], off
	v_mov_b32_e32 v2, 0
.LBB19_116:                             ;   in Loop: Header=BB19_13 Depth=1
	s_or_b64 exec, exec, s[8:9]
	v_cmp_gt_i32_e32 vcc, 50, v2
	s_mov_b64 s[8:9], -1
	s_and_saveexec_b64 s[56:57], vcc
; %bb.117:                              ;   in Loop: Header=BB19_13 Depth=1
	v_cmp_eq_u32_e32 vcc, 0, v2
	s_orn2_b64 s[8:9], vcc, exec
; %bb.118:                              ;   in Loop: Header=BB19_13 Depth=1
	s_or_b64 exec, exec, s[56:57]
	s_and_b64 exec, exec, s[8:9]
	s_cbranch_execz .LBB19_131
; %bb.119:                              ;   in Loop: Header=BB19_13 Depth=1
	v_cmp_gt_i32_e32 vcc, s28, v92
	s_and_b64 s[56:57], vcc, s[34:35]
	v_mov_b32_e32 v2, 50
	s_and_saveexec_b64 s[8:9], s[56:57]
	s_cbranch_execz .LBB19_121
; %bb.120:                              ;   in Loop: Header=BB19_13 Depth=1
	ds_read_b32 v4, v165 offset:9600
	v_mad_u64_u32 v[2:3], s[56:57], v92, s29, v[68:69]
	v_mad_u64_u32 v[2:3], s[56:57], v2, 56, v[62:63]
	s_waitcnt lgkmcnt(0)
	v_cvt_f32_f16_sdwa v5, v4 dst_sel:DWORD dst_unused:UNUSED_PAD src0_sel:WORD_1
	v_cvt_f32_f16_e32 v4, v4
	v_ashrrev_i32_e32 v3, 31, v2
	v_lshlrev_b64 v[2:3], 3, v[2:3]
	v_mov_b32_e32 v6, s3
	v_add_co_u32_e32 v2, vcc, s2, v2
	v_addc_co_u32_e32 v3, vcc, v6, v3, vcc
	v_pk_add_f32 v[4:5], v[4:5], 0 op_sel_hi:[1,0]
	global_store_dwordx2 v[2:3], v[4:5], off
	v_mov_b32_e32 v2, 0
.LBB19_121:                             ;   in Loop: Header=BB19_13 Depth=1
	s_or_b64 exec, exec, s[8:9]
	v_cmp_gt_i32_e32 vcc, 50, v2
	s_mov_b64 s[8:9], -1
	s_and_saveexec_b64 s[56:57], vcc
; %bb.122:                              ;   in Loop: Header=BB19_13 Depth=1
	v_cmp_eq_u32_e32 vcc, 0, v2
	s_orn2_b64 s[8:9], vcc, exec
; %bb.123:                              ;   in Loop: Header=BB19_13 Depth=1
	s_or_b64 exec, exec, s[56:57]
	s_and_b64 exec, exec, s[8:9]
	s_cbranch_execz .LBB19_131
; %bb.124:                              ;   in Loop: Header=BB19_13 Depth=1
	v_cmp_gt_i32_e32 vcc, s28, v90
	s_and_b64 s[56:57], vcc, s[34:35]
	v_mov_b32_e32 v2, 50
	s_and_saveexec_b64 s[8:9], s[56:57]
	s_cbranch_execz .LBB19_126
; %bb.125:                              ;   in Loop: Header=BB19_13 Depth=1
	ds_read_b32 v4, v171
	v_mad_u64_u32 v[2:3], s[56:57], v90, s29, v[68:69]
	v_mad_u64_u32 v[2:3], s[56:57], v2, 56, v[62:63]
	s_waitcnt lgkmcnt(0)
	v_cvt_f32_f16_sdwa v5, v4 dst_sel:DWORD dst_unused:UNUSED_PAD src0_sel:WORD_1
	v_cvt_f32_f16_e32 v4, v4
	v_ashrrev_i32_e32 v3, 31, v2
	v_lshlrev_b64 v[2:3], 3, v[2:3]
	v_mov_b32_e32 v6, s3
	v_add_co_u32_e32 v2, vcc, s2, v2
	v_addc_co_u32_e32 v3, vcc, v6, v3, vcc
	v_pk_add_f32 v[4:5], v[4:5], 0 op_sel_hi:[1,0]
	global_store_dwordx2 v[2:3], v[4:5], off
	v_mov_b32_e32 v2, 0
.LBB19_126:                             ;   in Loop: Header=BB19_13 Depth=1
	s_or_b64 exec, exec, s[8:9]
	v_cmp_gt_i32_e32 vcc, 50, v2
	s_mov_b64 s[8:9], -1
	s_and_saveexec_b64 s[56:57], vcc
; %bb.127:                              ;   in Loop: Header=BB19_13 Depth=1
	v_cmp_eq_u32_e32 vcc, 0, v2
	s_orn2_b64 s[8:9], vcc, exec
; %bb.128:                              ;   in Loop: Header=BB19_13 Depth=1
	s_or_b64 exec, exec, s[56:57]
	s_and_b64 exec, exec, s[8:9]
	s_cbranch_execz .LBB19_131
; %bb.129:                              ;   in Loop: Header=BB19_13 Depth=1
	v_cmp_gt_i32_e32 vcc, s28, v75
	s_and_b64 s[8:9], vcc, s[34:35]
	s_and_b64 exec, exec, s[8:9]
	s_cbranch_execz .LBB19_131
; %bb.130:                              ;   in Loop: Header=BB19_13 Depth=1
	ds_read_b32 v4, v165 offset:13440
	v_mad_u64_u32 v[2:3], s[8:9], v75, s29, v[68:69]
	v_mad_u64_u32 v[2:3], s[8:9], v2, 56, v[62:63]
	s_waitcnt lgkmcnt(0)
	v_cvt_f32_f16_sdwa v5, v4 dst_sel:DWORD dst_unused:UNUSED_PAD src0_sel:WORD_1
	v_cvt_f32_f16_e32 v4, v4
	v_ashrrev_i32_e32 v3, 31, v2
	v_lshlrev_b64 v[2:3], 3, v[2:3]
	v_mov_b32_e32 v6, s3
	v_add_co_u32_e32 v2, vcc, s2, v2
	v_addc_co_u32_e32 v3, vcc, v6, v3, vcc
	v_pk_add_f32 v[4:5], v[4:5], 0 op_sel_hi:[1,0]
	global_store_dwordx2 v[2:3], v[4:5], off
.LBB19_131:                             ;   in Loop: Header=BB19_13 Depth=1
	s_or_b64 exec, exec, s[10:11]
	v_cmp_gt_i32_e64 s[8:9], s28, v57
	v_cmp_gt_i32_e64 s[10:11], s33, v88
	v_cmp_le_i32_e32 vcc, s33, v88
	s_and_b64 s[8:9], s[8:9], s[10:11]
	v_mov_b32_e32 v2, 50
	s_and_saveexec_b64 s[10:11], s[8:9]
	s_cbranch_execz .LBB19_133
; %bb.132:                              ;   in Loop: Header=BB19_13 Depth=1
	ds_read_b32 v4, v154 offset:128
	v_mad_u64_u32 v[2:3], s[8:9], v57, s29, v[64:65]
	v_mul_lo_u32 v2, v2, 56
	v_ashrrev_i32_e32 v3, 31, v2
	v_add_co_u32_e64 v2, s[8:9], v2, v26
	s_waitcnt lgkmcnt(0)
	v_cvt_f32_f16_sdwa v5, v4 dst_sel:DWORD dst_unused:UNUSED_PAD src0_sel:WORD_1
	v_cvt_f32_f16_e32 v4, v4
	v_addc_co_u32_e64 v3, s[8:9], 0, v3, s[8:9]
	v_lshlrev_b64 v[2:3], 3, v[2:3]
	v_mov_b32_e32 v6, s3
	v_add_co_u32_e64 v2, s[8:9], s2, v2
	v_addc_co_u32_e64 v3, s[8:9], v6, v3, s[8:9]
	v_pk_add_f32 v[4:5], v[4:5], 0 op_sel_hi:[1,0]
	global_store_dwordx2 v[2:3], v[4:5], off offset:256
	v_mov_b32_e32 v2, 0
.LBB19_133:                             ;   in Loop: Header=BB19_13 Depth=1
	s_or_b64 exec, exec, s[10:11]
	v_cmp_gt_i32_e64 s[8:9], 50, v2
	s_mov_b64 s[34:35], -1
	s_and_saveexec_b64 s[10:11], s[8:9]
; %bb.134:                              ;   in Loop: Header=BB19_13 Depth=1
	v_cmp_eq_u32_e64 s[8:9], 0, v2
	s_orn2_b64 s[34:35], s[8:9], exec
; %bb.135:                              ;   in Loop: Header=BB19_13 Depth=1
	s_or_b64 exec, exec, s[10:11]
	s_and_saveexec_b64 s[10:11], s[34:35]
	s_cbranch_execz .LBB19_148
; %bb.136:                              ;   in Loop: Header=BB19_13 Depth=1
	v_cmp_gt_i32_e64 s[8:9], s28, v37
	s_xor_b64 s[34:35], vcc, -1
	s_and_b64 s[56:57], s[8:9], s[34:35]
	v_mov_b32_e32 v2, 50
	s_and_saveexec_b64 s[8:9], s[56:57]
	s_cbranch_execz .LBB19_138
; %bb.137:                              ;   in Loop: Header=BB19_13 Depth=1
	ds_read_b32 v4, v161 offset:128
	v_mad_u64_u32 v[2:3], s[56:57], v37, s29, v[64:65]
	v_mul_lo_u32 v2, v2, 56
	v_ashrrev_i32_e32 v3, 31, v2
	v_add_co_u32_e32 v2, vcc, v2, v26
	s_waitcnt lgkmcnt(0)
	v_cvt_f32_f16_sdwa v5, v4 dst_sel:DWORD dst_unused:UNUSED_PAD src0_sel:WORD_1
	v_cvt_f32_f16_e32 v4, v4
	v_addc_co_u32_e32 v3, vcc, 0, v3, vcc
	v_lshlrev_b64 v[2:3], 3, v[2:3]
	v_mov_b32_e32 v6, s3
	v_add_co_u32_e32 v2, vcc, s2, v2
	v_addc_co_u32_e32 v3, vcc, v6, v3, vcc
	v_pk_add_f32 v[4:5], v[4:5], 0 op_sel_hi:[1,0]
	global_store_dwordx2 v[2:3], v[4:5], off offset:256
	v_mov_b32_e32 v2, 0
.LBB19_138:                             ;   in Loop: Header=BB19_13 Depth=1
	s_or_b64 exec, exec, s[8:9]
	v_cmp_gt_i32_e32 vcc, 50, v2
	s_mov_b64 s[8:9], -1
	s_and_saveexec_b64 s[56:57], vcc
; %bb.139:                              ;   in Loop: Header=BB19_13 Depth=1
	v_cmp_eq_u32_e32 vcc, 0, v2
	s_orn2_b64 s[8:9], vcc, exec
; %bb.140:                              ;   in Loop: Header=BB19_13 Depth=1
	s_or_b64 exec, exec, s[56:57]
	s_and_b64 exec, exec, s[8:9]
	s_cbranch_execz .LBB19_148
; %bb.141:                              ;   in Loop: Header=BB19_13 Depth=1
	v_cmp_gt_i32_e32 vcc, s28, v35
	s_and_b64 s[56:57], vcc, s[34:35]
	v_mov_b32_e32 v2, 50
	s_and_saveexec_b64 s[8:9], s[56:57]
	s_cbranch_execz .LBB19_143
; %bb.142:                              ;   in Loop: Header=BB19_13 Depth=1
	ds_read_b32 v4, v162 offset:128
	v_mad_u64_u32 v[2:3], s[56:57], v35, s29, v[64:65]
	v_mul_lo_u32 v2, v2, 56
	v_ashrrev_i32_e32 v3, 31, v2
	v_add_co_u32_e32 v2, vcc, v2, v26
	s_waitcnt lgkmcnt(0)
	v_cvt_f32_f16_sdwa v5, v4 dst_sel:DWORD dst_unused:UNUSED_PAD src0_sel:WORD_1
	v_cvt_f32_f16_e32 v4, v4
	v_addc_co_u32_e32 v3, vcc, 0, v3, vcc
	v_lshlrev_b64 v[2:3], 3, v[2:3]
	v_mov_b32_e32 v6, s3
	v_add_co_u32_e32 v2, vcc, s2, v2
	v_addc_co_u32_e32 v3, vcc, v6, v3, vcc
	v_pk_add_f32 v[4:5], v[4:5], 0 op_sel_hi:[1,0]
	global_store_dwordx2 v[2:3], v[4:5], off offset:256
	v_mov_b32_e32 v2, 0
.LBB19_143:                             ;   in Loop: Header=BB19_13 Depth=1
	s_or_b64 exec, exec, s[8:9]
	v_cmp_gt_i32_e32 vcc, 50, v2
	s_mov_b64 s[8:9], -1
	s_and_saveexec_b64 s[56:57], vcc
; %bb.144:                              ;   in Loop: Header=BB19_13 Depth=1
	v_cmp_eq_u32_e32 vcc, 0, v2
	s_orn2_b64 s[8:9], vcc, exec
; %bb.145:                              ;   in Loop: Header=BB19_13 Depth=1
	s_or_b64 exec, exec, s[56:57]
	s_and_b64 exec, exec, s[8:9]
	s_cbranch_execz .LBB19_148
; %bb.146:                              ;   in Loop: Header=BB19_13 Depth=1
	v_cmp_gt_i32_e32 vcc, s28, v29
	s_and_b64 s[8:9], vcc, s[34:35]
	s_and_b64 exec, exec, s[8:9]
	s_cbranch_execz .LBB19_148
; %bb.147:                              ;   in Loop: Header=BB19_13 Depth=1
	ds_read_b32 v4, v163 offset:128
	v_mad_u64_u32 v[2:3], s[8:9], v29, s29, v[64:65]
	v_mul_lo_u32 v2, v2, 56
	v_ashrrev_i32_e32 v3, 31, v2
	v_add_co_u32_e32 v2, vcc, v2, v26
	s_waitcnt lgkmcnt(0)
	v_cvt_f32_f16_sdwa v5, v4 dst_sel:DWORD dst_unused:UNUSED_PAD src0_sel:WORD_1
	v_cvt_f32_f16_e32 v4, v4
	v_addc_co_u32_e32 v3, vcc, 0, v3, vcc
	v_lshlrev_b64 v[2:3], 3, v[2:3]
	v_mov_b32_e32 v6, s3
	v_add_co_u32_e32 v2, vcc, s2, v2
	v_addc_co_u32_e32 v3, vcc, v6, v3, vcc
	v_pk_add_f32 v[4:5], v[4:5], 0 op_sel_hi:[1,0]
	global_store_dwordx2 v[2:3], v[4:5], off offset:256
.LBB19_148:                             ;   in Loop: Header=BB19_13 Depth=1
	s_or_b64 exec, exec, s[10:11]
	v_cmp_gt_i32_e64 s[8:9], s33, v33
	v_cmp_gt_i32_e64 s[10:11], s28, v31
	v_cmp_le_i32_e32 vcc, s33, v33
	s_and_b64 s[8:9], s[10:11], s[8:9]
	v_mov_b32_e32 v2, 50
	s_and_saveexec_b64 s[10:11], s[8:9]
	s_cbranch_execz .LBB19_150
; %bb.149:                              ;   in Loop: Header=BB19_13 Depth=1
	ds_read_b32 v4, v95 offset:192
	v_mad_u64_u32 v[2:3], s[8:9], v31, s29, v[58:59]
	v_mul_lo_u32 v2, v2, 56
	v_ashrrev_i32_e32 v3, 31, v2
	s_waitcnt lgkmcnt(0)
	v_cvt_f32_f16_sdwa v5, v4 dst_sel:DWORD dst_unused:UNUSED_PAD src0_sel:WORD_1
	v_cvt_f32_f16_e32 v4, v4
	v_or_b32_e32 v3, 0, v3
	v_or_b32_e32 v2, v2, v28
	v_lshlrev_b64 v[2:3], 3, v[2:3]
	v_mov_b32_e32 v6, s3
	v_add_co_u32_e64 v2, s[8:9], s2, v2
	v_addc_co_u32_e64 v3, s[8:9], v6, v3, s[8:9]
	v_pk_add_f32 v[4:5], v[4:5], 0 op_sel_hi:[1,0]
	global_store_dwordx2 v[2:3], v[4:5], off offset:384
	v_mov_b32_e32 v2, 0
.LBB19_150:                             ;   in Loop: Header=BB19_13 Depth=1
	s_or_b64 exec, exec, s[10:11]
	v_cmp_gt_i32_e64 s[8:9], 50, v2
	s_mov_b64 s[66:67], -1
	s_and_saveexec_b64 s[10:11], s[8:9]
; %bb.151:                              ;   in Loop: Header=BB19_13 Depth=1
	v_cmp_eq_u32_e64 s[8:9], 0, v2
	s_orn2_b64 s[66:67], s[8:9], exec
; %bb.152:                              ;   in Loop: Header=BB19_13 Depth=1
	s_or_b64 exec, exec, s[10:11]
	s_mov_b64 s[34:35], 0
	s_mov_b64 s[10:11], 0
                                        ; implicit-def: $vgpr2_vgpr3
	s_and_saveexec_b64 s[56:57], s[66:67]
	s_cbranch_execz .LBB19_156
; %bb.153:                              ;   in Loop: Header=BB19_13 Depth=1
	v_cmp_gt_i32_e64 s[8:9], s28, v71
	s_xor_b64 s[10:11], vcc, -1
	s_and_b64 s[10:11], s[8:9], s[10:11]
	s_mov_b64 s[8:9], 0
                                        ; implicit-def: $vgpr2_vgpr3
	s_and_saveexec_b64 s[66:67], s[10:11]
	s_xor_b64 s[10:11], exec, s[66:67]
	s_cbranch_execz .LBB19_155
; %bb.154:                              ;   in Loop: Header=BB19_13 Depth=1
	ds_read_b32 v2, v97 offset:192
	s_mov_b64 s[8:9], exec
	s_waitcnt lgkmcnt(0)
	v_cvt_f32_f16_sdwa v3, v2 dst_sel:DWORD dst_unused:UNUSED_PAD src0_sel:WORD_1
	v_cvt_f32_f16_e32 v2, v2
	v_pk_add_f32 v[2:3], v[2:3], 0 op_sel_hi:[1,0]
.LBB19_155:                             ;   in Loop: Header=BB19_13 Depth=1
	s_or_b64 exec, exec, s[10:11]
	s_and_b64 s[10:11], s[8:9], exec
.LBB19_156:                             ;   in Loop: Header=BB19_13 Depth=1
	s_or_b64 exec, exec, s[56:57]
	s_and_b64 vcc, exec, s[34:35]
	s_cbranch_vccz .LBB19_75
.LBB19_157:                             ;   in Loop: Header=BB19_13 Depth=1
	s_mov_b32 s44, s89
	s_lshl_b32 s89, s74, 4
	v_add_u32_e32 v209, s89, v195
	v_cmp_gt_i32_e64 s[8:9], s28, v209
	v_cmp_gt_i32_e32 vcc, s33, v27
	s_and_b64 s[34:35], s[8:9], vcc
	s_xor_b64 s[8:9], s[34:35], -1
	s_and_saveexec_b64 s[56:57], s[8:9]
	s_xor_b64 s[8:9], exec, s[56:57]
	s_cbranch_execz .LBB19_159
; %bb.158:                              ;   in Loop: Header=BB19_13 Depth=1
	ds_write_b32 v165, v189
.LBB19_159:                             ;   in Loop: Header=BB19_13 Depth=1
	s_andn2_saveexec_b64 s[56:57], s[8:9]
	s_cbranch_execz .LBB19_161
; %bb.160:                              ;   in Loop: Header=BB19_13 Depth=1
	v_mad_u64_u32 v[2:3], s[8:9], v209, s55, v[70:71]
	v_ashrrev_i32_e32 v3, 31, v2
	v_lshlrev_b64 v[2:3], 3, v[2:3]
	v_mov_b32_e32 v4, s58
	v_add_co_u32_e64 v2, s[8:9], s77, v2
	v_addc_co_u32_e64 v3, s[8:9], v4, v3, s[8:9]
	global_load_dwordx2 v[2:3], v[2:3], off
	s_waitcnt vmcnt(0)
	v_cvt_f16_f32_e32 v2, v2
	v_cvt_f16_f32_e32 v3, v3
	v_pack_b32_f16 v2, v2, v3
	v_pk_mul_f16 v2, v61, v2
	ds_write_b32 v165, v2
.LBB19_161:                             ;   in Loop: Header=BB19_13 Depth=1
	s_or_b64 exec, exec, s[56:57]
	v_add_u32_e32 v208, s89, v196
	v_cmp_gt_i32_e64 s[8:9], s28, v208
	s_and_b64 s[56:57], s[8:9], vcc
	s_xor_b64 s[8:9], s[56:57], -1
	s_and_saveexec_b64 s[66:67], s[8:9]
	s_xor_b64 s[8:9], exec, s[66:67]
	s_cbranch_execz .LBB19_163
; %bb.162:                              ;   in Loop: Header=BB19_13 Depth=1
	ds_write_b32 v165, v189 offset:1920
.LBB19_163:                             ;   in Loop: Header=BB19_13 Depth=1
	s_andn2_saveexec_b64 s[74:75], s[8:9]
	s_cbranch_execz .LBB19_165
; %bb.164:                              ;   in Loop: Header=BB19_13 Depth=1
	v_mad_u64_u32 v[2:3], s[8:9], v208, s55, v[70:71]
	v_ashrrev_i32_e32 v3, 31, v2
	v_lshlrev_b64 v[2:3], 3, v[2:3]
	v_mov_b32_e32 v4, s58
	v_add_co_u32_e64 v2, s[8:9], s77, v2
	v_addc_co_u32_e64 v3, s[8:9], v4, v3, s[8:9]
	global_load_dwordx2 v[2:3], v[2:3], off
	s_waitcnt vmcnt(0)
	v_cvt_f16_f32_e32 v2, v2
	v_cvt_f16_f32_e32 v3, v3
	v_pack_b32_f16 v2, v2, v3
	v_pk_mul_f16 v2, v61, v2
	ds_write_b32 v165, v2 offset:1920
.LBB19_165:                             ;   in Loop: Header=BB19_13 Depth=1
	s_or_b64 exec, exec, s[74:75]
	v_add_u32_e32 v207, s89, v150
	v_cmp_gt_i32_e64 s[8:9], s28, v207
	s_and_b64 s[94:95], s[8:9], vcc
	s_xor_b64 s[8:9], s[94:95], -1
	s_and_saveexec_b64 s[66:67], s[8:9]
	s_xor_b64 s[8:9], exec, s[66:67]
	s_cbranch_execz .LBB19_167
; %bb.166:                              ;   in Loop: Header=BB19_13 Depth=1
	ds_write_b32 v165, v189 offset:3840
.LBB19_167:                             ;   in Loop: Header=BB19_13 Depth=1
	s_andn2_saveexec_b64 s[74:75], s[8:9]
	s_cbranch_execz .LBB19_169
; %bb.168:                              ;   in Loop: Header=BB19_13 Depth=1
	v_mad_u64_u32 v[2:3], s[8:9], v207, s55, v[70:71]
	v_ashrrev_i32_e32 v3, 31, v2
	v_lshlrev_b64 v[2:3], 3, v[2:3]
	v_mov_b32_e32 v4, s58
	v_add_co_u32_e64 v2, s[8:9], s77, v2
	v_addc_co_u32_e64 v3, s[8:9], v4, v3, s[8:9]
	global_load_dwordx2 v[2:3], v[2:3], off
	s_waitcnt vmcnt(0)
	v_cvt_f16_f32_e32 v2, v2
	v_cvt_f16_f32_e32 v3, v3
	v_pack_b32_f16 v2, v2, v3
	v_pk_mul_f16 v2, v61, v2
	ds_write_b32 v165, v2 offset:3840
.LBB19_169:                             ;   in Loop: Header=BB19_13 Depth=1
	;; [unrolled: 28-line block ×3, first 2 shown]
	s_or_b64 exec, exec, s[74:75]
	v_add_u32_e32 v205, s89, v151
	v_cmp_gt_i32_e64 s[8:9], s28, v205
	s_and_b64 s[8:9], s[8:9], vcc
	v_writelane_b32 v238, s8, 40
	v_writelane_b32 v238, s9, 41
	s_xor_b64 s[8:9], s[8:9], -1
	s_and_saveexec_b64 s[66:67], s[8:9]
	s_xor_b64 s[8:9], exec, s[66:67]
	s_cbranch_execz .LBB19_175
; %bb.174:                              ;   in Loop: Header=BB19_13 Depth=1
	ds_write_b32 v165, v189 offset:7680
.LBB19_175:                             ;   in Loop: Header=BB19_13 Depth=1
	s_andn2_saveexec_b64 s[74:75], s[8:9]
	s_cbranch_execz .LBB19_177
; %bb.176:                              ;   in Loop: Header=BB19_13 Depth=1
	v_mad_u64_u32 v[2:3], s[8:9], v205, s55, v[70:71]
	v_ashrrev_i32_e32 v3, 31, v2
	v_lshlrev_b64 v[2:3], 3, v[2:3]
	v_mov_b32_e32 v4, s58
	v_add_co_u32_e64 v2, s[8:9], s77, v2
	v_addc_co_u32_e64 v3, s[8:9], v4, v3, s[8:9]
	global_load_dwordx2 v[2:3], v[2:3], off
	s_waitcnt vmcnt(0)
	v_cvt_f16_f32_e32 v2, v2
	v_cvt_f16_f32_e32 v3, v3
	v_pack_b32_f16 v2, v2, v3
	v_pk_mul_f16 v2, v61, v2
	ds_write_b32 v165, v2 offset:7680
.LBB19_177:                             ;   in Loop: Header=BB19_13 Depth=1
	s_or_b64 exec, exec, s[74:75]
	v_add_u32_e32 v204, s89, v149
	v_cmp_gt_i32_e64 s[8:9], s28, v204
	s_and_b64 s[8:9], s[8:9], vcc
	v_writelane_b32 v238, s8, 42
	v_writelane_b32 v238, s9, 43
	s_xor_b64 s[8:9], s[8:9], -1
	s_and_saveexec_b64 s[66:67], s[8:9]
	s_xor_b64 s[8:9], exec, s[66:67]
	s_cbranch_execz .LBB19_179
; %bb.178:                              ;   in Loop: Header=BB19_13 Depth=1
	ds_write_b32 v165, v189 offset:9600
.LBB19_179:                             ;   in Loop: Header=BB19_13 Depth=1
	s_andn2_saveexec_b64 s[74:75], s[8:9]
	s_cbranch_execz .LBB19_181
; %bb.180:                              ;   in Loop: Header=BB19_13 Depth=1
	v_mad_u64_u32 v[2:3], s[8:9], v204, s55, v[70:71]
	v_ashrrev_i32_e32 v3, 31, v2
	v_lshlrev_b64 v[2:3], 3, v[2:3]
	v_mov_b32_e32 v4, s58
	v_add_co_u32_e64 v2, s[8:9], s77, v2
	v_addc_co_u32_e64 v3, s[8:9], v4, v3, s[8:9]
	global_load_dwordx2 v[2:3], v[2:3], off
	s_waitcnt vmcnt(0)
	v_cvt_f16_f32_e32 v2, v2
	v_cvt_f16_f32_e32 v3, v3
	v_pack_b32_f16 v2, v2, v3
	v_pk_mul_f16 v2, v61, v2
	ds_write_b32 v165, v2 offset:9600
.LBB19_181:                             ;   in Loop: Header=BB19_13 Depth=1
	s_or_b64 exec, exec, s[74:75]
	v_add_u32_e32 v203, s89, v152
	v_cmp_gt_i32_e64 s[8:9], s28, v203
	s_and_b64 s[8:9], s[8:9], vcc
	v_writelane_b32 v238, s8, 44
	v_writelane_b32 v238, s9, 45
	s_xor_b64 s[8:9], s[8:9], -1
	s_and_saveexec_b64 s[66:67], s[8:9]
	s_xor_b64 s[8:9], exec, s[66:67]
	s_cbranch_execz .LBB19_183
; %bb.182:                              ;   in Loop: Header=BB19_13 Depth=1
	ds_write_b32 v165, v189 offset:11520
.LBB19_183:                             ;   in Loop: Header=BB19_13 Depth=1
	s_andn2_saveexec_b64 s[74:75], s[8:9]
	s_cbranch_execz .LBB19_185
; %bb.184:                              ;   in Loop: Header=BB19_13 Depth=1
	v_mad_u64_u32 v[2:3], s[8:9], v203, s55, v[70:71]
	v_ashrrev_i32_e32 v3, 31, v2
	v_lshlrev_b64 v[2:3], 3, v[2:3]
	v_mov_b32_e32 v4, s58
	v_add_co_u32_e64 v2, s[8:9], s77, v2
	v_addc_co_u32_e64 v3, s[8:9], v4, v3, s[8:9]
	global_load_dwordx2 v[2:3], v[2:3], off
	s_waitcnt vmcnt(0)
	v_cvt_f16_f32_e32 v2, v2
	v_cvt_f16_f32_e32 v3, v3
	v_pack_b32_f16 v2, v2, v3
	v_pk_mul_f16 v2, v61, v2
	ds_write_b32 v165, v2 offset:11520
.LBB19_185:                             ;   in Loop: Header=BB19_13 Depth=1
	s_or_b64 exec, exec, s[74:75]
	v_add_u32_e32 v202, s89, v153
	v_cmp_gt_i32_e64 s[8:9], s28, v202
	s_and_b64 s[8:9], s[8:9], vcc
	v_writelane_b32 v238, s8, 46
	v_writelane_b32 v238, s9, 47
	s_xor_b64 s[8:9], s[8:9], -1
	s_and_saveexec_b64 s[66:67], s[8:9]
	s_xor_b64 s[8:9], exec, s[66:67]
	s_cbranch_execz .LBB19_187
; %bb.186:                              ;   in Loop: Header=BB19_13 Depth=1
	ds_write_b32 v165, v189 offset:13440
.LBB19_187:                             ;   in Loop: Header=BB19_13 Depth=1
	s_andn2_saveexec_b64 s[8:9], s[8:9]
	s_cbranch_execz .LBB19_189
; %bb.188:                              ;   in Loop: Header=BB19_13 Depth=1
	v_mad_u64_u32 v[2:3], s[66:67], v202, s55, v[70:71]
	v_ashrrev_i32_e32 v3, 31, v2
	v_lshlrev_b64 v[2:3], 3, v[2:3]
	v_mov_b32_e32 v4, s58
	v_add_co_u32_e32 v2, vcc, s77, v2
	v_addc_co_u32_e32 v3, vcc, v4, v3, vcc
	global_load_dwordx2 v[2:3], v[2:3], off
	s_waitcnt vmcnt(0)
	v_cvt_f16_f32_e32 v2, v2
	v_cvt_f16_f32_e32 v3, v3
	v_pack_b32_f16 v2, v2, v3
	v_pk_mul_f16 v2, v61, v2
	ds_write_b32 v165, v2 offset:13440
.LBB19_189:                             ;   in Loop: Header=BB19_13 Depth=1
	s_or_b64 exec, exec, s[8:9]
	v_add_u32_e32 v201, s89, v155
	v_or_b32_e32 v2, s88, v64
	v_cmp_gt_i32_e64 s[8:9], s28, v201
	v_cmp_gt_i32_e32 vcc, s33, v2
	s_and_b64 s[82:83], s[8:9], vcc
	s_xor_b64 s[8:9], s[82:83], -1
	s_and_saveexec_b64 s[66:67], s[8:9]
	s_xor_b64 s[8:9], exec, s[66:67]
	s_cbranch_execz .LBB19_191
; %bb.190:                              ;   in Loop: Header=BB19_13 Depth=1
	ds_write_b32 v154, v189 offset:128
.LBB19_191:                             ;   in Loop: Header=BB19_13 Depth=1
	s_andn2_saveexec_b64 s[74:75], s[8:9]
	s_cbranch_execz .LBB19_193
; %bb.192:                              ;   in Loop: Header=BB19_13 Depth=1
	v_mad_u64_u32 v[2:3], s[8:9], v201, s55, v[66:67]
	v_ashrrev_i32_e32 v3, 31, v2
	v_lshlrev_b64 v[2:3], 3, v[2:3]
	v_mov_b32_e32 v4, s58
	v_add_co_u32_e64 v2, s[8:9], s77, v2
	v_addc_co_u32_e64 v3, s[8:9], v4, v3, s[8:9]
	global_load_dwordx2 v[2:3], v[2:3], off
	s_waitcnt vmcnt(0)
	v_cvt_f16_f32_e32 v2, v2
	v_cvt_f16_f32_e32 v3, v3
	v_pack_b32_f16 v2, v2, v3
	v_pk_mul_f16 v2, v61, v2
	ds_write_b32 v154, v2 offset:128
.LBB19_193:                             ;   in Loop: Header=BB19_13 Depth=1
	s_or_b64 exec, exec, s[74:75]
	v_add_u32_e32 v200, s89, v156
	v_cmp_gt_i32_e64 s[8:9], s28, v200
	s_and_b64 s[80:81], s[8:9], vcc
	s_xor_b64 s[8:9], s[80:81], -1
	s_and_saveexec_b64 s[66:67], s[8:9]
	s_xor_b64 s[8:9], exec, s[66:67]
	s_cbranch_execz .LBB19_195
; %bb.194:                              ;   in Loop: Header=BB19_13 Depth=1
	ds_write_b32 v154, v189 offset:3968
.LBB19_195:                             ;   in Loop: Header=BB19_13 Depth=1
	s_andn2_saveexec_b64 s[74:75], s[8:9]
	s_cbranch_execz .LBB19_197
; %bb.196:                              ;   in Loop: Header=BB19_13 Depth=1
	v_mad_u64_u32 v[2:3], s[8:9], v200, s55, v[66:67]
	v_ashrrev_i32_e32 v3, 31, v2
	v_lshlrev_b64 v[2:3], 3, v[2:3]
	v_mov_b32_e32 v4, s58
	v_add_co_u32_e64 v2, s[8:9], s77, v2
	v_addc_co_u32_e64 v3, s[8:9], v4, v3, s[8:9]
	global_load_dwordx2 v[2:3], v[2:3], off
	s_waitcnt vmcnt(0)
	v_cvt_f16_f32_e32 v2, v2
	v_cvt_f16_f32_e32 v3, v3
	v_pack_b32_f16 v2, v2, v3
	v_pk_mul_f16 v2, v61, v2
	ds_write_b32 v154, v2 offset:3968
.LBB19_197:                             ;   in Loop: Header=BB19_13 Depth=1
	s_or_b64 exec, exec, s[74:75]
	v_add_u32_e32 v199, s89, v157
	v_cmp_gt_i32_e64 s[8:9], s28, v199
	;; [unrolled: 28-line block ×3, first 2 shown]
	s_and_b64 s[8:9], s[8:9], vcc
	v_writelane_b32 v238, s8, 48
	v_writelane_b32 v238, s9, 49
	s_xor_b64 s[8:9], s[8:9], -1
	s_and_saveexec_b64 s[66:67], s[8:9]
	s_xor_b64 s[8:9], exec, s[66:67]
	s_cbranch_execz .LBB19_203
; %bb.202:                              ;   in Loop: Header=BB19_13 Depth=1
	ds_write_b32 v154, v189 offset:11648
.LBB19_203:                             ;   in Loop: Header=BB19_13 Depth=1
	s_andn2_saveexec_b64 s[8:9], s[8:9]
	s_cbranch_execz .LBB19_205
; %bb.204:                              ;   in Loop: Header=BB19_13 Depth=1
	v_mad_u64_u32 v[2:3], s[66:67], v87, s55, v[66:67]
	v_ashrrev_i32_e32 v3, 31, v2
	v_lshlrev_b64 v[2:3], 3, v[2:3]
	v_mov_b32_e32 v4, s58
	v_add_co_u32_e32 v2, vcc, s77, v2
	v_addc_co_u32_e32 v3, vcc, v4, v3, vcc
	global_load_dwordx2 v[2:3], v[2:3], off
	s_waitcnt vmcnt(0)
	v_cvt_f16_f32_e32 v2, v2
	v_cvt_f16_f32_e32 v3, v3
	v_pack_b32_f16 v2, v2, v3
	v_pk_mul_f16 v2, v61, v2
	ds_write_b32 v154, v2 offset:11648
.LBB19_205:                             ;   in Loop: Header=BB19_13 Depth=1
	s_or_b64 exec, exec, s[8:9]
	v_or_b32_e32 v2, s88, v58
	v_add_u32_e32 v85, s89, v159
	v_cmp_gt_i32_e32 vcc, s33, v2
	v_cmp_gt_i32_e64 s[8:9], s28, v85
	s_and_b64 s[74:75], s[8:9], vcc
	s_xor_b64 s[8:9], s[74:75], -1
	s_and_saveexec_b64 s[66:67], s[8:9]
	s_xor_b64 s[8:9], exec, s[66:67]
	s_cbranch_execz .LBB19_207
; %bb.206:                              ;   in Loop: Header=BB19_13 Depth=1
	ds_write_b32 v95, v189 offset:192
.LBB19_207:                             ;   in Loop: Header=BB19_13 Depth=1
	s_andn2_saveexec_b64 s[66:67], s[8:9]
	s_cbranch_execz .LBB19_209
; %bb.208:                              ;   in Loop: Header=BB19_13 Depth=1
	v_mad_u64_u32 v[2:3], s[8:9], v85, s55, v[60:61]
	v_ashrrev_i32_e32 v3, 31, v2
	v_lshlrev_b64 v[2:3], 3, v[2:3]
	v_mov_b32_e32 v4, s58
	v_add_co_u32_e64 v2, s[8:9], s77, v2
	v_addc_co_u32_e64 v3, s[8:9], v4, v3, s[8:9]
	global_load_dwordx2 v[2:3], v[2:3], off
	s_waitcnt vmcnt(0)
	v_cvt_f16_f32_e32 v2, v2
	v_cvt_f16_f32_e32 v3, v3
	v_pack_b32_f16 v2, v2, v3
	v_pk_mul_f16 v2, v61, v2
	ds_write_b32 v95, v2 offset:192
.LBB19_209:                             ;   in Loop: Header=BB19_13 Depth=1
	s_or_b64 exec, exec, s[66:67]
	v_add_u32_e32 v71, s89, v160
	v_cmp_gt_i32_e64 s[8:9], s28, v71
	s_and_b64 s[8:9], s[8:9], vcc
	s_xor_b64 s[66:67], s[8:9], -1
	s_and_saveexec_b64 s[90:91], s[66:67]
	s_xor_b64 s[66:67], exec, s[90:91]
	s_cbranch_execz .LBB19_211
; %bb.210:                              ;   in Loop: Header=BB19_13 Depth=1
	ds_write_b32 v97, v189 offset:192
.LBB19_211:                             ;   in Loop: Header=BB19_13 Depth=1
	s_andn2_saveexec_b64 s[66:67], s[66:67]
	s_cbranch_execz .LBB19_213
; %bb.212:                              ;   in Loop: Header=BB19_13 Depth=1
	v_mad_u64_u32 v[2:3], s[90:91], v71, s55, v[60:61]
	v_ashrrev_i32_e32 v3, 31, v2
	v_lshlrev_b64 v[2:3], 3, v[2:3]
	v_mov_b32_e32 v4, s58
	v_add_co_u32_e32 v2, vcc, s77, v2
	v_addc_co_u32_e32 v3, vcc, v4, v3, vcc
	global_load_dwordx2 v[2:3], v[2:3], off
	s_waitcnt vmcnt(0)
	v_cvt_f16_f32_e32 v2, v2
	v_cvt_f16_f32_e32 v3, v3
	v_pack_b32_f16 v2, v2, v3
	v_pk_mul_f16 v2, v61, v2
	ds_write_b32 v97, v2 offset:192
.LBB19_213:                             ;   in Loop: Header=BB19_13 Depth=1
	s_or_b64 exec, exec, s[66:67]
	s_waitcnt lgkmcnt(0)
	s_barrier
	ds_read2_b64 v[10:13], v188 offset1:4
	ds_read2_b64 v[6:9], v188 offset0:8 offset1:12
	ds_read2_b64 v[2:5], v188 offset0:16 offset1:20
	ds_read_b64 v[78:79], v188 offset:192
	s_cmp_gt_i32 s86, 1
	s_waitcnt lgkmcnt(0)
	s_barrier
	s_cbranch_scc1 .LBB19_215
; %bb.214:                              ;   in Loop: Header=BB19_13 Depth=1
	v_add_u32_e32 v14, s89, v117
	v_readlane_b32 s90, v238, 21
	v_mul_hi_u32 v15, s90, v14
	v_readlane_b32 s91, v238, 22
	v_add_u32_e32 v15, v14, v15
	v_lshrrev_b32_e32 v15, s91, v15
	v_mul_lo_u32 v15, v15, s28
	v_readlane_b32 s66, v238, 19
	v_sub_u32_e32 v14, v14, v15
	v_readlane_b32 s67, v238, 20
	s_mov_b32 s58, s66
	v_mad_i64_i32 v[22:23], s[66:67], v14, s58, 0
	v_add_u32_e32 v14, s89, v191
	v_mul_hi_u32 v15, s90, v14
	v_add_u32_e32 v15, v14, v15
	v_lshrrev_b32_e32 v15, s91, v15
	v_mul_lo_u32 v15, v15, s28
	v_sub_u32_e32 v14, v14, v15
	v_mad_i64_i32 v[24:25], s[66:67], v14, s58, 0
	s_mov_b64 vcc, 0
	s_mov_b32 s66, 0xfeffffff
	s_mov_b32 s67, 0
	;; [unrolled: 1-line block ×3, first 2 shown]
	s_branch .LBB19_216
.LBB19_215:                             ;   in Loop: Header=BB19_13 Depth=1
	s_mov_b64 vcc, -1
                                        ; implicit-def: $sgpr58
                                        ; implicit-def: $sgpr67
                                        ; implicit-def: $sgpr66
                                        ; implicit-def: $vgpr22_vgpr23
                                        ; implicit-def: $vgpr24_vgpr25
.LBB19_216:                             ;   in Loop: Header=BB19_13 Depth=1
	s_andn2_b64 vcc, exec, vcc
	v_mov_b32_e32 v222, s58
	v_mov_b32_e32 v102, s67
	;; [unrolled: 1-line block ×16, first 2 shown]
	s_cbranch_vccnz .LBB19_224
; %bb.217:                              ;   in Loop: Header=BB19_13 Depth=1
	v_add_u32_e32 v14, s89, v117
	v_readlane_b32 s90, v238, 21
	v_mul_hi_u32 v15, s90, v14
	v_readlane_b32 s91, v238, 22
	v_add_u32_e32 v15, v14, v15
	v_lshrrev_b32_e32 v15, s91, v15
	v_mul_lo_u32 v15, v15, s28
	v_sub_u32_e32 v14, v14, v15
	v_add_u32_e32 v15, s89, v191
	v_mul_hi_u32 v16, s90, v15
	v_add_u32_e32 v16, v15, v16
	v_lshrrev_b32_e32 v16, s91, v16
	v_mul_lo_u32 v16, v16, s28
	v_sub_u32_e32 v15, v15, v16
	v_and_b32_e32 v16, 64, v187
	v_add_u32_e32 v16, 64, v16
	v_xor_b32_e32 v17, 32, v187
	v_cmp_lt_i32_e32 vcc, v17, v16
	v_cndmask_b32_e32 v17, v187, v17, vcc
	v_lshlrev_b32_e32 v212, 2, v17
	v_xor_b32_e32 v17, 16, v187
	v_cmp_lt_i32_e32 vcc, v17, v16
	v_readlane_b32 s66, v238, 19
	v_cndmask_b32_e32 v16, v187, v17, vcc
	s_add_i32 s58, s86, -1
	v_readlane_b32 s67, v238, 20
	s_mov_b32 s86, s66
	v_lshlrev_b32_e32 v215, 2, v16
	v_mov_b32_e32 v16, s19
	v_mad_i64_i32 v[22:23], s[66:67], v14, s86, 0
	v_mad_i64_i32 v[24:25], s[66:67], v15, s86, 0
	v_addc_co_u32_e64 v75, vcc, v16, v1, s[4:5]
	v_readlane_b32 s4, v238, 37
	v_readlane_b32 s5, v238, 38
	s_mov_b32 s66, s4
	v_mad_i64_i32 v[80:81], s[4:5], s66, v14, v[74:75]
	v_mov_b32_e32 v14, s76
	v_add_co_u32_e32 v84, vcc, s43, v178
	v_addc_co_u32_e32 v1, vcc, v179, v14, vcc
	v_add_co_u32_e32 v86, vcc, s43, v180
	v_addc_co_u32_e32 v27, vcc, v181, v14, vcc
	;; [unrolled: 2-line block ×4, first 2 shown]
	v_mov_b32_e32 v14, s42
	v_add_co_u32_e32 v92, vcc, s87, v182
	v_addc_co_u32_e32 v33, vcc, v183, v14, vcc
	v_add_co_u32_e32 v94, vcc, s87, v184
	v_addc_co_u32_e32 v35, vcc, v185, v14, vcc
	;; [unrolled: 2-line block ×3, first 2 shown]
	v_add_co_u32_e32 v98, vcc, s87, v115
	v_mov_b32_e32 v220, 0
	v_mad_i64_i32 v[82:83], s[4:5], s66, v15, v[74:75]
	v_addc_co_u32_e32 v57, vcc, v116, v14, vcc
	v_mov_b32_e32 v224, 0
	v_mov_b32_e32 v225, 0xfeffffff
	s_mov_b32 s42, s58
	v_mov_b32_e32 v221, 0
	v_mov_b32_e32 v219, 0
	;; [unrolled: 1-line block ×13, first 2 shown]
.LBB19_218:                             ;   Parent Loop BB19_13 Depth=1
                                        ; =>  This Inner Loop Header: Depth=2
	v_add_co_u32_e32 v14, vcc, v80, v72
	v_addc_co_u32_e32 v15, vcc, 0, v81, vcc
	global_load_dword v16, v[14:15], off
	v_add_co_u32_e32 v14, vcc, v82, v72
	v_addc_co_u32_e32 v15, vcc, 0, v83, vcc
	global_load_dword v14, v[14:15], off
	v_add_u32_e32 v15, v164, v190
	s_waitcnt vmcnt(1)
	ds_write_b32 v15, v16 offset:15360
	s_waitcnt vmcnt(0)
	ds_write_b32 v15, v14 offset:16512
	s_and_saveexec_b64 s[4:5], s[0:1]
	s_cbranch_execz .LBB19_220
; %bb.219:                              ;   in Loop: Header=BB19_218 Depth=2
	v_mov_b32_e32 v15, s84
	v_add_co_u32_e32 v14, vcc, s50, v92
	v_addc_co_u32_e32 v15, vcc, v33, v15, vcc
	global_load_dwordx4 v[14:17], v[14:15], off
	s_waitcnt vmcnt(0)
	ds_write_b128 v67, v[14:17]
.LBB19_220:                             ;   in Loop: Header=BB19_218 Depth=2
	s_or_b64 exec, exec, s[4:5]
	v_add_co_u32_e32 v14, vcc, s50, v94
	v_mov_b32_e32 v18, s84
	v_addc_co_u32_e32 v15, vcc, v35, v18, vcc
	global_load_dwordx4 v[14:17], v[14:15], off
	v_add_u32_e32 v76, 0x800, v65
	s_waitcnt vmcnt(0)
	ds_write_b128 v89, v[14:17]
	v_add_co_u32_e32 v14, vcc, s50, v96
	v_addc_co_u32_e32 v15, vcc, v37, v18, vcc
	global_load_dwordx4 v[14:17], v[14:15], off
	s_waitcnt vmcnt(0)
	ds_write_b128 v91, v[14:17]
	v_add_co_u32_e32 v14, vcc, s50, v98
	v_addc_co_u32_e32 v15, vcc, v57, v18, vcc
	global_load_dwordx4 v[14:17], v[14:15], off
	s_waitcnt vmcnt(0)
	ds_write_b128 v93, v[14:17]
	s_waitcnt lgkmcnt(0)
	s_barrier
	ds_read2_b64 v[14:17], v65 offset1:4
	s_waitcnt lgkmcnt(0)
	v_mfma_f32_16x16x16f16 v[18:21], v[14:15], v[10:11], 0
	v_mfma_f32_16x16x16f16 v[14:17], v[16:17], v[12:13], v[18:21]
	s_nop 7
	s_nop 1
	ds_read2_b64 v[18:21], v65 offset0:8 offset1:12
	s_waitcnt lgkmcnt(0)
	v_mfma_f32_16x16x16f16 v[14:17], v[18:19], v[6:7], v[14:17]
	v_mfma_f32_16x16x16f16 v[14:17], v[20:21], v[8:9], v[14:17]
	ds_read2_b64 v[18:21], v65 offset0:16 offset1:20
	s_waitcnt lgkmcnt(0)
	v_mfma_f32_16x16x16f16 v[14:17], v[18:19], v[2:3], v[14:17]
	ds_read_b64 v[18:19], v65 offset:192
	v_mfma_f32_16x16x16f16 v[14:17], v[20:21], v[4:5], v[14:17]
	s_waitcnt lgkmcnt(0)
	v_mfma_f32_16x16x16f16 v[18:21], v[18:19], v[78:79], v[14:17]
	s_nop 7
	s_nop 0
	ds_read2_b64 v[14:17], v76 offset0:224 offset1:228
	s_waitcnt lgkmcnt(0)
	v_mfma_f32_16x16x16f16 v[100:103], v[14:15], v[10:11], 0
	v_mfma_f32_16x16x16f16 v[14:17], v[16:17], v[12:13], v[100:103]
	s_nop 7
	s_nop 1
	ds_read2_b64 v[100:103], v76 offset0:232 offset1:236
	s_waitcnt lgkmcnt(0)
	v_mfma_f32_16x16x16f16 v[14:17], v[100:101], v[6:7], v[14:17]
	v_mfma_f32_16x16x16f16 v[14:17], v[102:103], v[8:9], v[14:17]
	ds_read2_b64 v[100:103], v76 offset0:240 offset1:244
	v_add_u32_e32 v76, 0x1800, v65
	s_waitcnt lgkmcnt(0)
	v_mfma_f32_16x16x16f16 v[14:17], v[100:101], v[2:3], v[14:17]
	ds_read_b64 v[100:101], v65 offset:4032
	v_mfma_f32_16x16x16f16 v[14:17], v[102:103], v[4:5], v[14:17]
	s_waitcnt lgkmcnt(0)
	v_mfma_f32_16x16x16f16 v[14:17], v[100:101], v[78:79], v[14:17]
	ds_read2_b64 v[100:103], v76 offset0:192 offset1:196
	s_waitcnt lgkmcnt(0)
	v_mfma_f32_16x16x16f16 v[104:107], v[100:101], v[10:11], 0
	v_mfma_f32_16x16x16f16 v[100:103], v[102:103], v[12:13], v[104:107]
	s_nop 7
	s_nop 1
	ds_read2_b64 v[104:107], v76 offset0:200 offset1:204
	s_waitcnt lgkmcnt(0)
	v_mfma_f32_16x16x16f16 v[100:103], v[104:105], v[6:7], v[100:103]
	v_mfma_f32_16x16x16f16 v[100:103], v[106:107], v[8:9], v[100:103]
	ds_read2_b64 v[104:107], v76 offset0:208 offset1:212
	v_add_u32_e32 v76, 0x2800, v65
	s_waitcnt lgkmcnt(0)
	v_mfma_f32_16x16x16f16 v[100:103], v[104:105], v[2:3], v[100:103]
	ds_read_b64 v[104:105], v65 offset:7872
	v_mfma_f32_16x16x16f16 v[100:103], v[106:107], v[4:5], v[100:103]
	s_waitcnt lgkmcnt(0)
	v_mfma_f32_16x16x16f16 v[226:229], v[104:105], v[78:79], v[100:103]
	s_nop 7
	s_nop 0
	ds_read2_b64 v[100:103], v76 offset0:160 offset1:164
	s_waitcnt lgkmcnt(0)
	v_mfma_f32_16x16x16f16 v[104:107], v[100:101], v[10:11], 0
	v_mfma_f32_16x16x16f16 v[100:103], v[102:103], v[12:13], v[104:107]
	s_nop 7
	s_nop 1
	ds_read2_b64 v[104:107], v76 offset0:168 offset1:172
	s_waitcnt lgkmcnt(0)
	v_mfma_f32_16x16x16f16 v[100:103], v[104:105], v[6:7], v[100:103]
	v_mfma_f32_16x16x16f16 v[100:103], v[106:107], v[8:9], v[100:103]
	ds_read2_b64 v[104:107], v76 offset0:176 offset1:180
	s_waitcnt lgkmcnt(0)
	v_mfma_f32_16x16x16f16 v[100:103], v[104:105], v[2:3], v[100:103]
	ds_read_b64 v[104:105], v65 offset:11712
	s_waitcnt lgkmcnt(0)
	s_barrier
	v_mfma_f32_16x16x16f16 v[100:103], v[106:107], v[4:5], v[100:103]
	v_mfma_f32_16x16x16f16 v[230:233], v[104:105], v[78:79], v[100:103]
	ds_read_b32 v76, v119 offset:15360
	s_nop 7
	s_nop 0
	ds_read_b32 v100, v118 offset:15360
	v_add_u32_e32 v101, 0x3c00, v192
	ds_read2_b32 v[102:103], v101 offset1:1
	v_add_u32_e32 v101, 0x3c00, v193
	ds_read2_b32 v[234:235], v101 offset1:1
	;; [unrolled: 2-line block ×3, first 2 shown]
	s_waitcnt lgkmcnt(3)
	v_cvt_f32_f16_sdwa v101, v100 dst_sel:DWORD dst_unused:UNUSED_PAD src0_sel:WORD_1
	v_cvt_f32_f16_e32 v100, v100
	v_pk_add_f32 v[104:105], v[20:21], v[100:101]
	v_cvt_f32_f16_sdwa v21, v76 dst_sel:DWORD dst_unused:UNUSED_PAD src0_sel:WORD_1
	v_cvt_f32_f16_e32 v20, v76
	v_add_f32_e32 v100, 0x40051340, v104
	v_add_f32_e32 v101, 0x40051340, v105
	v_pk_add_f32 v[106:107], v[18:19], v[20:21]
	v_add_f32_e32 v18, 0x40051340, v106
	v_add_f32_e32 v19, 0x40051340, v107
	v_max3_f32 v18, v225, v18, v19
	v_max3_f32 v20, v18, v100, v101
	s_waitcnt lgkmcnt(2)
	v_cvt_f32_f16_e32 v18, v103
	v_cvt_f32_f16_sdwa v19, v103 dst_sel:DWORD dst_unused:UNUSED_PAD src0_sel:WORD_1
	v_pk_add_f32 v[100:101], v[16:17], v[18:19]
	v_cvt_f32_f16_e32 v16, v102
	v_cvt_f32_f16_sdwa v17, v102 dst_sel:DWORD dst_unused:UNUSED_PAD src0_sel:WORD_1
	v_add_f32_e32 v18, 0x40051340, v100
	v_add_f32_e32 v19, 0x40051340, v101
	v_pk_add_f32 v[102:103], v[14:15], v[16:17]
	v_add_f32_e32 v14, 0x40051340, v102
	v_add_f32_e32 v15, 0x40051340, v103
	v_max3_f32 v14, v20, v14, v15
	v_max3_f32 v18, v14, v18, v19
	s_waitcnt lgkmcnt(1)
	v_cvt_f32_f16_e32 v14, v235
	v_cvt_f32_f16_sdwa v15, v235 dst_sel:DWORD dst_unused:UNUSED_PAD src0_sel:WORD_1
	v_pk_add_f32 v[16:17], v[228:229], v[14:15]
	v_cvt_f32_f16_e32 v14, v234
	v_cvt_f32_f16_sdwa v15, v234 dst_sel:DWORD dst_unused:UNUSED_PAD src0_sel:WORD_1
	v_add_f32_e32 v19, 0x40051340, v16
	v_add_f32_e32 v76, 0x40051340, v17
	v_pk_add_f32 v[20:21], v[226:227], v[14:15]
	v_add_f32_e32 v14, 0x40051340, v20
	v_add_f32_e32 v15, 0x40051340, v21
	v_max3_f32 v14, v18, v14, v15
	v_max3_f32 v76, v14, v19, v76
	s_waitcnt lgkmcnt(0)
	v_cvt_f32_f16_e32 v18, v236
	v_cvt_f32_f16_sdwa v19, v236 dst_sel:DWORD dst_unused:UNUSED_PAD src0_sel:WORD_1
	v_cvt_f32_f16_e32 v14, v237
	v_cvt_f32_f16_sdwa v15, v237 dst_sel:DWORD dst_unused:UNUSED_PAD src0_sel:WORD_1
	v_pk_add_f32 v[18:19], v[230:231], v[18:19]
	v_add_f32_e32 v228, 0x40051340, v18
	v_pk_add_f32 v[14:15], v[232:233], v[14:15]
	v_add_f32_e32 v229, 0x40051340, v19
	v_add_f32_e32 v226, 0x40051340, v14
	v_add_f32_e32 v227, 0x40051340, v15
	v_max3_f32 v76, v76, v228, v229
	v_max3_f32 v76, v76, v226, v227
	ds_bpermute_b32 v226, v212, v76
	s_waitcnt lgkmcnt(0)
	v_max_f32_e32 v226, v226, v226
	v_max_f32_e32 v76, v76, v226
	ds_bpermute_b32 v226, v215, v76
	s_and_saveexec_b64 s[4:5], s[0:1]
	s_cbranch_execz .LBB19_222
; %bb.221:                              ;   in Loop: Header=BB19_218 Depth=2
	v_mov_b32_e32 v227, s85
	v_add_co_u32_e32 v228, vcc, s60, v84
	v_addc_co_u32_e32 v229, vcc, v1, v227, vcc
	global_load_dwordx4 v[228:231], v[228:229], off
	s_waitcnt vmcnt(0)
	ds_write_b128 v67, v[228:231]
.LBB19_222:                             ;   in Loop: Header=BB19_218 Depth=2
	s_or_b64 exec, exec, s[4:5]
	s_waitcnt lgkmcnt(0)
	v_max_f32_e32 v226, v226, v226
	v_max_f32_e32 v76, v76, v76
	v_max_f32_e32 v76, v76, v226
	v_pk_add_f32 v[106:107], v[106:107], v[76:77] op_sel_hi:[1,0] neg_lo:[0,1] neg_hi:[0,1]
	v_mul_f32_e32 v226, 0x3fb8aa3b, v107
	v_fma_f32 v227, v107, s45, -v226
	v_rndne_f32_e32 v228, v226
	v_fmac_f32_e32 v227, 0x32a5705f, v107
	v_sub_f32_e32 v226, v226, v228
	v_add_f32_e32 v226, v226, v227
	v_exp_f32_e32 v226, v226
	v_cvt_i32_f32_e32 v227, v228
	v_cmp_ngt_f32_e32 vcc, s65, v107
	v_pk_add_f32 v[104:105], v[104:105], v[76:77] op_sel_hi:[1,0] neg_lo:[0,1] neg_hi:[0,1]
	v_pk_add_f32 v[102:103], v[102:103], v[76:77] op_sel_hi:[1,0] neg_lo:[0,1] neg_hi:[0,1]
	v_ldexp_f32 v226, v226, v227
	v_cndmask_b32_e32 v226, 0, v226, vcc
	v_cmp_nlt_f32_e32 vcc, s52, v107
	v_mul_f32_e32 v107, 0x3fb8aa3b, v106
	v_fma_f32 v227, v106, s45, -v107
	v_rndne_f32_e32 v228, v107
	v_fmac_f32_e32 v227, 0x32a5705f, v106
	v_sub_f32_e32 v107, v107, v228
	v_add_f32_e32 v107, v107, v227
	v_exp_f32_e32 v107, v107
	v_cvt_i32_f32_e32 v227, v228
	v_cndmask_b32_e32 v226, v197, v226, vcc
	v_cmp_ngt_f32_e32 vcc, s65, v106
	v_pk_add_f32 v[100:101], v[100:101], v[76:77] op_sel_hi:[1,0] neg_lo:[0,1] neg_hi:[0,1]
	v_ldexp_f32 v107, v107, v227
	v_cndmask_b32_e32 v107, 0, v107, vcc
	v_cmp_nlt_f32_e32 vcc, s52, v106
	v_mul_f32_e32 v106, 0x3fb8aa3b, v105
	v_cndmask_b32_e32 v227, v197, v107, vcc
	v_fma_f32 v107, v105, s45, -v106
	v_rndne_f32_e32 v228, v106
	v_fmac_f32_e32 v107, 0x32a5705f, v105
	v_sub_f32_e32 v106, v106, v228
	v_add_f32_e32 v106, v106, v107
	v_exp_f32_e32 v106, v106
	v_cvt_i32_f32_e32 v107, v228
	v_cmp_ngt_f32_e32 vcc, s65, v105
	v_pk_add_f32 v[20:21], v[20:21], v[76:77] op_sel_hi:[1,0] neg_lo:[0,1] neg_hi:[0,1]
	v_pk_add_f32 v[16:17], v[16:17], v[76:77] op_sel_hi:[1,0] neg_lo:[0,1] neg_hi:[0,1]
	v_ldexp_f32 v106, v106, v107
	v_cndmask_b32_e32 v106, 0, v106, vcc
	v_cmp_nlt_f32_e32 vcc, s52, v105
	v_mul_f32_e32 v105, 0x3fb8aa3b, v104
	v_cndmask_b32_e32 v228, v197, v106, vcc
	v_fma_f32 v106, v104, s45, -v105
	v_rndne_f32_e32 v107, v105
	v_fmac_f32_e32 v106, 0x32a5705f, v104
	v_sub_f32_e32 v105, v105, v107
	v_add_f32_e32 v105, v105, v106
	v_exp_f32_e32 v105, v105
	v_cvt_i32_f32_e32 v106, v107
	v_cmp_ngt_f32_e32 vcc, s65, v104
	v_pk_add_f32 v[14:15], v[14:15], v[76:77] op_sel_hi:[1,0] neg_lo:[0,1] neg_hi:[0,1]
	s_add_i32 s42, s42, -1
	v_ldexp_f32 v105, v105, v106
	v_cndmask_b32_e32 v105, 0, v105, vcc
	v_cmp_nlt_f32_e32 vcc, s52, v104
	v_mul_f32_e32 v104, 0x3fb8aa3b, v103
	v_cndmask_b32_e32 v229, v197, v105, vcc
	v_fma_f32 v105, v103, s45, -v104
	v_rndne_f32_e32 v106, v104
	v_fmac_f32_e32 v105, 0x32a5705f, v103
	v_sub_f32_e32 v104, v104, v106
	v_add_f32_e32 v104, v104, v105
	v_exp_f32_e32 v104, v104
	v_cvt_i32_f32_e32 v105, v106
	v_cmp_ngt_f32_e32 vcc, s65, v103
	s_cmp_lg_u32 s42, 0
	v_ldexp_f32 v104, v104, v105
	v_cndmask_b32_e32 v104, 0, v104, vcc
	v_cmp_nlt_f32_e32 vcc, s52, v103
	v_mul_f32_e32 v103, 0x3fb8aa3b, v102
	v_cndmask_b32_e32 v230, v197, v104, vcc
	v_fma_f32 v104, v102, s45, -v103
	v_rndne_f32_e32 v105, v103
	v_fmac_f32_e32 v104, 0x32a5705f, v102
	v_sub_f32_e32 v103, v103, v105
	v_add_f32_e32 v103, v103, v104
	v_exp_f32_e32 v103, v103
	v_cvt_i32_f32_e32 v104, v105
	v_cmp_ngt_f32_e32 vcc, s65, v102
	v_ldexp_f32 v103, v103, v104
	v_cndmask_b32_e32 v103, 0, v103, vcc
	v_cmp_nlt_f32_e32 vcc, s52, v102
	v_mul_f32_e32 v102, 0x3fb8aa3b, v101
	v_cndmask_b32_e32 v231, v197, v103, vcc
	v_fma_f32 v103, v101, s45, -v102
	v_rndne_f32_e32 v104, v102
	v_fmac_f32_e32 v103, 0x32a5705f, v101
	v_sub_f32_e32 v102, v102, v104
	v_add_f32_e32 v102, v102, v103
	v_exp_f32_e32 v102, v102
	v_cvt_i32_f32_e32 v103, v104
	v_cmp_ngt_f32_e32 vcc, s65, v101
	v_ldexp_f32 v102, v102, v103
	v_cndmask_b32_e32 v102, 0, v102, vcc
	v_cmp_nlt_f32_e32 vcc, s52, v101
	v_cndmask_b32_e32 v101, v197, v102, vcc
	v_mul_f32_e32 v102, 0x3fb8aa3b, v100
	v_fma_f32 v103, v100, s45, -v102
	v_rndne_f32_e32 v104, v102
	v_fmac_f32_e32 v103, 0x32a5705f, v100
	v_sub_f32_e32 v102, v102, v104
	v_add_f32_e32 v102, v102, v103
	v_exp_f32_e32 v102, v102
	v_cvt_i32_f32_e32 v103, v104
	v_cmp_ngt_f32_e32 vcc, s65, v100
	v_ldexp_f32 v102, v102, v103
	v_cndmask_b32_e32 v102, 0, v102, vcc
	v_cmp_nlt_f32_e32 vcc, s52, v100
	v_cndmask_b32_e32 v100, v197, v102, vcc
	v_mul_f32_e32 v102, 0x3fb8aa3b, v21
	v_fma_f32 v103, v21, s45, -v102
	v_rndne_f32_e32 v104, v102
	v_fmac_f32_e32 v103, 0x32a5705f, v21
	v_sub_f32_e32 v102, v102, v104
	v_add_f32_e32 v102, v102, v103
	v_exp_f32_e32 v102, v102
	v_cvt_i32_f32_e32 v103, v104
	v_cmp_ngt_f32_e32 vcc, s65, v21
	v_ldexp_f32 v102, v102, v103
	v_cndmask_b32_e32 v102, 0, v102, vcc
	v_cmp_nlt_f32_e32 vcc, s52, v21
	v_cndmask_b32_e32 v21, v197, v102, vcc
	v_mul_f32_e32 v102, 0x3fb8aa3b, v20
	v_fma_f32 v103, v20, s45, -v102
	v_rndne_f32_e32 v104, v102
	v_fmac_f32_e32 v103, 0x32a5705f, v20
	v_sub_f32_e32 v102, v102, v104
	v_add_f32_e32 v102, v102, v103
	v_exp_f32_e32 v102, v102
	v_cvt_i32_f32_e32 v103, v104
	v_cmp_ngt_f32_e32 vcc, s65, v20
	v_ldexp_f32 v102, v102, v103
	v_cndmask_b32_e32 v102, 0, v102, vcc
	v_cmp_nlt_f32_e32 vcc, s52, v20
	v_cndmask_b32_e32 v20, v197, v102, vcc
	v_mul_f32_e32 v102, 0x3fb8aa3b, v17
	v_fma_f32 v103, v17, s45, -v102
	v_rndne_f32_e32 v104, v102
	v_fmac_f32_e32 v103, 0x32a5705f, v17
	v_sub_f32_e32 v102, v102, v104
	v_add_f32_e32 v102, v102, v103
	v_exp_f32_e32 v102, v102
	v_cvt_i32_f32_e32 v103, v104
	v_cmp_ngt_f32_e32 vcc, s65, v17
	v_ldexp_f32 v102, v102, v103
	v_cndmask_b32_e32 v102, 0, v102, vcc
	v_cmp_nlt_f32_e32 vcc, s52, v17
	v_mul_f32_e32 v17, 0x3fb8aa3b, v16
	v_cndmask_b32_e32 v232, v197, v102, vcc
	v_fma_f32 v102, v16, s45, -v17
	v_rndne_f32_e32 v103, v17
	v_fmac_f32_e32 v102, 0x32a5705f, v16
	v_sub_f32_e32 v17, v17, v103
	v_add_f32_e32 v17, v17, v102
	v_exp_f32_e32 v17, v17
	v_cvt_i32_f32_e32 v102, v103
	v_cmp_ngt_f32_e32 vcc, s65, v16
	v_ldexp_f32 v17, v17, v102
	v_cndmask_b32_e32 v17, 0, v17, vcc
	v_cmp_nlt_f32_e32 vcc, s52, v16
	v_cndmask_b32_e32 v233, v197, v17, vcc
	v_pk_add_f32 v[16:17], v[18:19], v[76:77] op_sel_hi:[1,0] neg_lo:[0,1] neg_hi:[0,1]
	v_mul_f32_e32 v18, 0x3fb8aa3b, v17
	v_fma_f32 v19, v17, s45, -v18
	v_rndne_f32_e32 v102, v18
	v_fmac_f32_e32 v19, 0x32a5705f, v17
	v_sub_f32_e32 v18, v18, v102
	v_add_f32_e32 v18, v18, v19
	v_exp_f32_e32 v18, v18
	v_cvt_i32_f32_e32 v19, v102
	v_cmp_ngt_f32_e32 vcc, s65, v17
	v_ldexp_f32 v18, v18, v19
	v_cndmask_b32_e32 v18, 0, v18, vcc
	v_cmp_nlt_f32_e32 vcc, s52, v17
	v_cndmask_b32_e32 v17, v197, v18, vcc
	v_mul_f32_e32 v18, 0x3fb8aa3b, v16
	v_fma_f32 v19, v16, s45, -v18
	v_rndne_f32_e32 v102, v18
	v_fmac_f32_e32 v19, 0x32a5705f, v16
	v_sub_f32_e32 v18, v18, v102
	v_add_f32_e32 v18, v18, v19
	v_exp_f32_e32 v18, v18
	v_cvt_i32_f32_e32 v19, v102
	v_cmp_ngt_f32_e32 vcc, s65, v16
	v_ldexp_f32 v18, v18, v19
	v_cndmask_b32_e32 v18, 0, v18, vcc
	v_cmp_nlt_f32_e32 vcc, s52, v16
	v_cndmask_b32_e32 v16, v197, v18, vcc
	;; [unrolled: 13-line block ×3, first 2 shown]
	v_mul_f32_e32 v18, 0x3fb8aa3b, v14
	v_fma_f32 v19, v14, s45, -v18
	v_rndne_f32_e32 v102, v18
	v_fmac_f32_e32 v19, 0x32a5705f, v14
	v_sub_f32_e32 v18, v18, v102
	v_add_f32_e32 v18, v18, v19
	v_exp_f32_e32 v18, v18
	v_cvt_i32_f32_e32 v19, v102
	v_cmp_ngt_f32_e32 vcc, s65, v14
	v_ldexp_f32 v18, v18, v19
	v_cndmask_b32_e32 v18, 0, v18, vcc
	v_cmp_nlt_f32_e32 vcc, s52, v14
	v_add_f32_e32 v14, v227, v226
	v_add_f32_e32 v14, v229, v14
	;; [unrolled: 1-line block ×12, first 2 shown]
	v_cndmask_b32_e32 v18, v197, v18, vcc
	v_add_f32_e32 v14, v17, v14
	v_add_f32_e32 v14, v18, v14
	;; [unrolled: 1-line block ×3, first 2 shown]
	v_sub_f32_e32 v14, v225, v76
	v_mul_f32_e32 v19, 0x3fb8aa3b, v14
	v_fma_f32 v103, v14, s45, -v19
	v_rndne_f32_e32 v104, v19
	v_fmac_f32_e32 v103, 0x32a5705f, v14
	v_sub_f32_e32 v19, v19, v104
	v_add_f32_e32 v19, v19, v103
	v_exp_f32_e32 v19, v19
	v_cvt_i32_f32_e32 v103, v104
	v_cmp_ngt_f32_e32 vcc, s65, v14
	v_cvt_f16_f32_e32 v16, v16
	v_cvt_f16_f32_e32 v15, v15
	v_ldexp_f32 v19, v19, v103
	v_cndmask_b32_e32 v19, 0, v19, vcc
	v_cmp_nlt_f32_e32 vcc, s52, v14
	v_cndmask_b32_e32 v19, v197, v19, vcc
	v_cmp_le_f32_e32 vcc, s53, v14
	v_cndmask_b32_e32 v14, 0, v19, vcc
	v_fmac_f32_e32 v102, v224, v14
	v_cvt_f16_f32_e32 v14, v14
	v_cvt_f16_f32_e32 v19, v231
	v_pk_mul_f16 v77, v14, v77 op_sel_hi:[0,1]
	v_pk_mul_f16 v75, v14, v75 op_sel_hi:[0,1]
	;; [unrolled: 1-line block ×14, first 2 shown]
	v_cvt_f16_f32_e32 v14, v17
	v_cvt_f16_f32_e32 v17, v20
	;; [unrolled: 1-line block ×4, first 2 shown]
	v_pack_b32_f16 v14, v16, v14
	v_cvt_f16_f32_e32 v16, v18
	v_cvt_f16_f32_e32 v18, v233
	v_mov_b32_e32 v218, s85
	v_pack_b32_f16 v15, v16, v15
	v_cvt_f16_f32_e32 v16, v21
	v_cvt_f16_f32_e32 v21, v227
	v_pack_b32_f16 v16, v17, v16
	v_cvt_f16_f32_e32 v17, v232
	v_pack_b32_f16 v17, v18, v17
	;; [unrolled: 2-line block ×6, first 2 shown]
	v_add_co_u32_e32 v100, vcc, s60, v86
	v_addc_co_u32_e32 v101, vcc, v27, v218, vcc
	global_load_dwordx4 v[220:223], v[100:101], off
	v_add_co_u32_e32 v100, vcc, s60, v88
	v_addc_co_u32_e32 v101, vcc, v29, v218, vcc
	s_waitcnt vmcnt(0)
	ds_write_b128 v89, v[220:223]
	global_load_dwordx4 v[220:223], v[100:101], off
	v_add_co_u32_e32 v100, vcc, s60, v90
	v_addc_co_u32_e32 v101, vcc, v31, v218, vcc
	v_add_co_u32_e32 v80, vcc, s51, v80
	v_addc_co_u32_e32 v81, vcc, 0, v81, vcc
	;; [unrolled: 2-line block ×3, first 2 shown]
	v_add_co_u32_e32 v84, vcc, s68, v84
	s_waitcnt vmcnt(0)
	ds_write_b128 v91, v[220:223]
	global_load_dwordx4 v[220:223], v[100:101], off
	s_waitcnt vmcnt(0)
	ds_write_b128 v93, v[220:223]
	s_waitcnt lgkmcnt(0)
	s_barrier
	ds_read_u16 v100, v69 offset:480
	v_cvt_f32_f16_e32 v222, v75
	v_cvt_f32_f16_sdwa v223, v75 dst_sel:DWORD dst_unused:UNUSED_PAD src0_sel:WORD_1
	ds_read_u16 v75, v73
	ds_read_u16 v218, v73 offset:32
	v_cvt_f32_f16_e32 v220, v77
	v_cvt_f32_f16_sdwa v221, v77 dst_sel:DWORD dst_unused:UNUSED_PAD src0_sel:WORD_1
	s_waitcnt lgkmcnt(1)
	v_perm_b32 v101, v75, v100, s38
	ds_read_u16 v75, v120
	ds_read_u16 v224, v120 offset:32
	ds_read_u16 v77, v69 offset:240
	;; [unrolled: 1-line block ×7, first 2 shown]
	s_waitcnt lgkmcnt(5)
	v_perm_b32 v100, v77, v75, s38
	s_nop 1
	v_mfma_f32_16x16x16f16 v[220:223], v[100:101], v[20:21], v[220:223]
	s_nop 7
	s_nop 2
	v_cvt_f16_f32_e32 v100, v222
	v_cvt_f16_f32_e32 v101, v223
	;; [unrolled: 1-line block ×4, first 2 shown]
	v_cvt_f32_f16_e32 v222, v100
	v_cvt_f32_f16_e32 v223, v101
	s_waitcnt lgkmcnt(0)
	v_perm_b32 v101, v229, v228, s38
	v_perm_b32 v100, v227, v226, s38
	v_cvt_f32_f16_e32 v220, v75
	v_cvt_f32_f16_e32 v221, v77
	ds_read_u16 v226, v120 offset:7680
	ds_read_u16 v227, v69 offset:7920
	ds_read_u16 v228, v122 offset:480
	ds_read_u16 v229, v73 offset:7680
	v_mfma_f32_16x16x16f16 v[220:223], v[100:101], v[18:19], v[220:223]
	s_nop 7
	s_nop 2
	v_cvt_f16_f32_e32 v100, v222
	v_cvt_f16_f32_e32 v101, v223
	;; [unrolled: 1-line block ×4, first 2 shown]
	v_cvt_f32_f16_e32 v222, v100
	v_cvt_f32_f16_e32 v223, v101
	s_waitcnt lgkmcnt(0)
	v_perm_b32 v101, v229, v228, s38
	v_perm_b32 v100, v227, v226, s38
	v_cvt_f32_f16_e32 v220, v75
	v_cvt_f32_f16_e32 v221, v77
	ds_read_u16 v226, v120 offset:11520
	ds_read_u16 v227, v69 offset:11760
	;; [unrolled: 1-line block ×4, first 2 shown]
	v_mfma_f32_16x16x16f16 v[220:223], v[100:101], v[16:17], v[220:223]
	s_nop 7
	s_nop 2
	v_cvt_f16_f32_e32 v100, v222
	v_cvt_f16_f32_e32 v101, v223
	;; [unrolled: 1-line block ×4, first 2 shown]
	v_cvt_f32_f16_e32 v222, v100
	v_cvt_f32_f16_e32 v223, v101
	s_waitcnt lgkmcnt(0)
	v_perm_b32 v101, v229, v228, s38
	v_perm_b32 v100, v227, v226, s38
	v_cvt_f32_f16_e32 v220, v75
	v_cvt_f32_f16_e32 v221, v77
	s_nop 1
	v_mfma_f32_16x16x16f16 v[220:223], v[100:101], v[14:15], v[220:223]
	s_nop 7
	s_nop 2
	v_cvt_f16_f32_e32 v75, v220
	v_cvt_f16_f32_e32 v77, v221
	;; [unrolled: 1-line block ×4, first 2 shown]
	v_cvt_f32_f16_e32 v220, v211
	v_pack_b32_f16 v77, v75, v77
	v_cvt_f32_f16_sdwa v221, v211 dst_sel:DWORD dst_unused:UNUSED_PAD src0_sel:WORD_1
	v_pack_b32_f16 v75, v100, v101
	ds_read_u16 v100, v124 offset:480
	v_cvt_f32_f16_e32 v222, v210
	v_cvt_f32_f16_sdwa v223, v210 dst_sel:DWORD dst_unused:UNUSED_PAD src0_sel:WORD_1
	s_waitcnt lgkmcnt(0)
	v_perm_b32 v101, v218, v100, s38
	v_perm_b32 v100, v225, v224, s38
	ds_read_u16 v218, v120 offset:3872
	ds_read_u16 v224, v69 offset:4112
	ds_read_u16 v225, v125 offset:480
	ds_read_u16 v226, v73 offset:3872
	v_mfma_f32_16x16x16f16 v[220:223], v[100:101], v[20:21], v[220:223]
	s_nop 7
	s_nop 2
	v_cvt_f16_f32_e32 v100, v220
	v_cvt_f16_f32_e32 v101, v221
	v_cvt_f16_f32_e32 v210, v222
	v_cvt_f16_f32_e32 v211, v223
	v_cvt_f32_f16_e32 v220, v100
	v_cvt_f32_f16_e32 v221, v101
	s_waitcnt lgkmcnt(0)
	v_perm_b32 v101, v226, v225, s38
	v_perm_b32 v100, v224, v218, s38
	v_cvt_f32_f16_e32 v222, v210
	v_cvt_f32_f16_e32 v223, v211
	ds_read_u16 v218, v120 offset:7712
	ds_read_u16 v224, v69 offset:7952
	ds_read_u16 v225, v126 offset:480
	ds_read_u16 v226, v73 offset:7712
	v_mfma_f32_16x16x16f16 v[220:223], v[100:101], v[18:19], v[220:223]
	s_nop 7
	s_nop 2
	v_cvt_f16_f32_e32 v100, v220
	v_cvt_f16_f32_e32 v101, v221
	v_cvt_f16_f32_e32 v210, v222
	v_cvt_f16_f32_e32 v211, v223
	v_cvt_f32_f16_e32 v220, v100
	v_cvt_f32_f16_e32 v221, v101
	s_waitcnt lgkmcnt(0)
	v_perm_b32 v101, v226, v225, s38
	v_perm_b32 v100, v224, v218, s38
	v_cvt_f32_f16_e32 v222, v210
	v_cvt_f32_f16_e32 v223, v211
	;; [unrolled: 18-line block ×3, first 2 shown]
	s_nop 1
	v_mfma_f32_16x16x16f16 v[220:223], v[100:101], v[14:15], v[220:223]
	s_nop 7
	s_nop 2
	v_cvt_f16_f32_e32 v100, v220
	v_cvt_f16_f32_e32 v101, v221
	;; [unrolled: 1-line block ×4, first 2 shown]
	v_cvt_f32_f16_e32 v220, v214
	v_pack_b32_f16 v211, v100, v101
	v_cvt_f32_f16_sdwa v221, v214 dst_sel:DWORD dst_unused:UNUSED_PAD src0_sel:WORD_1
	v_pack_b32_f16 v210, v210, v218
	ds_read_u16 v100, v120 offset:64
	ds_read_u16 v218, v69 offset:304
	;; [unrolled: 1-line block ×4, first 2 shown]
	v_cvt_f32_f16_e32 v222, v213
	v_cvt_f32_f16_sdwa v223, v213 dst_sel:DWORD dst_unused:UNUSED_PAD src0_sel:WORD_1
	s_waitcnt lgkmcnt(2)
	v_perm_b32 v100, v218, v100, s38
	s_waitcnt lgkmcnt(0)
	v_perm_b32 v101, v224, v101, s38
	ds_read_u16 v218, v120 offset:3904
	ds_read_u16 v224, v69 offset:4144
	ds_read_u16 v225, v129 offset:480
	ds_read_u16 v226, v73 offset:3904
	v_mfma_f32_16x16x16f16 v[220:223], v[100:101], v[20:21], v[220:223]
	s_nop 7
	s_nop 2
	v_cvt_f16_f32_e32 v100, v220
	v_cvt_f16_f32_e32 v101, v221
	v_cvt_f16_f32_e32 v213, v222
	v_cvt_f16_f32_e32 v214, v223
	v_cvt_f32_f16_e32 v220, v100
	v_cvt_f32_f16_e32 v221, v101
	s_waitcnt lgkmcnt(0)
	v_perm_b32 v101, v226, v225, s38
	v_perm_b32 v100, v224, v218, s38
	v_cvt_f32_f16_e32 v222, v213
	v_cvt_f32_f16_e32 v223, v214
	ds_read_u16 v218, v120 offset:7744
	ds_read_u16 v224, v69 offset:7984
	ds_read_u16 v225, v130 offset:480
	ds_read_u16 v226, v73 offset:7744
	v_mfma_f32_16x16x16f16 v[220:223], v[100:101], v[18:19], v[220:223]
	s_nop 7
	s_nop 2
	v_cvt_f16_f32_e32 v100, v220
	v_cvt_f16_f32_e32 v101, v221
	v_cvt_f16_f32_e32 v213, v222
	v_cvt_f16_f32_e32 v214, v223
	v_cvt_f32_f16_e32 v220, v100
	v_cvt_f32_f16_e32 v221, v101
	s_waitcnt lgkmcnt(0)
	v_perm_b32 v101, v226, v225, s38
	v_perm_b32 v100, v224, v218, s38
	v_cvt_f32_f16_e32 v222, v213
	v_cvt_f32_f16_e32 v223, v214
	;; [unrolled: 18-line block ×3, first 2 shown]
	s_nop 1
	v_mfma_f32_16x16x16f16 v[220:223], v[100:101], v[14:15], v[220:223]
	s_nop 7
	s_nop 2
	v_cvt_f16_f32_e32 v100, v220
	v_cvt_f16_f32_e32 v101, v221
	;; [unrolled: 1-line block ×4, first 2 shown]
	v_cvt_f32_f16_e32 v220, v217
	v_pack_b32_f16 v214, v100, v101
	v_cvt_f32_f16_sdwa v221, v217 dst_sel:DWORD dst_unused:UNUSED_PAD src0_sel:WORD_1
	v_pack_b32_f16 v213, v213, v218
	ds_read_u16 v100, v120 offset:96
	ds_read_u16 v218, v69 offset:336
	;; [unrolled: 1-line block ×4, first 2 shown]
	v_cvt_f32_f16_e32 v222, v216
	v_cvt_f32_f16_sdwa v223, v216 dst_sel:DWORD dst_unused:UNUSED_PAD src0_sel:WORD_1
	s_waitcnt lgkmcnt(2)
	v_perm_b32 v100, v218, v100, s38
	s_waitcnt lgkmcnt(0)
	v_perm_b32 v101, v224, v101, s38
	ds_read_u16 v218, v120 offset:3936
	ds_read_u16 v224, v69 offset:4176
	ds_read_u16 v225, v133 offset:480
	ds_read_u16 v226, v73 offset:3936
	v_mfma_f32_16x16x16f16 v[220:223], v[100:101], v[20:21], v[220:223]
	s_nop 7
	s_nop 2
	v_cvt_f16_f32_e32 v100, v220
	v_cvt_f16_f32_e32 v101, v221
	v_cvt_f16_f32_e32 v216, v222
	v_cvt_f16_f32_e32 v217, v223
	v_cvt_f32_f16_e32 v220, v100
	v_cvt_f32_f16_e32 v221, v101
	s_waitcnt lgkmcnt(0)
	v_perm_b32 v101, v226, v225, s38
	v_perm_b32 v100, v224, v218, s38
	v_cvt_f32_f16_e32 v222, v216
	v_cvt_f32_f16_e32 v223, v217
	ds_read_u16 v218, v120 offset:7776
	ds_read_u16 v224, v69 offset:8016
	ds_read_u16 v225, v134 offset:480
	ds_read_u16 v226, v73 offset:7776
	v_mfma_f32_16x16x16f16 v[220:223], v[100:101], v[18:19], v[220:223]
	s_nop 7
	s_nop 2
	v_cvt_f16_f32_e32 v100, v220
	v_cvt_f16_f32_e32 v101, v221
	v_cvt_f16_f32_e32 v216, v222
	v_cvt_f16_f32_e32 v217, v223
	v_cvt_f32_f16_e32 v220, v100
	v_cvt_f32_f16_e32 v221, v101
	s_waitcnt lgkmcnt(0)
	v_perm_b32 v101, v226, v225, s38
	v_perm_b32 v100, v224, v218, s38
	v_cvt_f32_f16_e32 v222, v216
	v_cvt_f32_f16_e32 v223, v217
	;; [unrolled: 18-line block ×3, first 2 shown]
	s_nop 1
	v_mfma_f32_16x16x16f16 v[220:223], v[100:101], v[14:15], v[220:223]
	s_nop 7
	s_nop 2
	v_cvt_f16_f32_e32 v100, v220
	v_cvt_f16_f32_e32 v101, v221
	;; [unrolled: 1-line block ×4, first 2 shown]
	v_cvt_f32_f16_e32 v220, v107
	v_pack_b32_f16 v217, v100, v101
	ds_read_u16 v100, v120 offset:128
	ds_read_u16 v222, v69 offset:368
	;; [unrolled: 1-line block ×4, first 2 shown]
	v_pack_b32_f16 v216, v216, v218
	v_cvt_f32_f16_e32 v218, v219
	s_waitcnt lgkmcnt(2)
	v_perm_b32 v100, v222, v100, s38
	v_cvt_f32_f16_sdwa v219, v219 dst_sel:DWORD dst_unused:UNUSED_PAD src0_sel:WORD_1
	s_waitcnt lgkmcnt(0)
	v_perm_b32 v101, v223, v101, s38
	v_cvt_f32_f16_sdwa v221, v107 dst_sel:DWORD dst_unused:UNUSED_PAD src0_sel:WORD_1
	ds_read_u16 v222, v120 offset:3968
	ds_read_u16 v223, v69 offset:4208
	ds_read_u16 v224, v137 offset:480
	ds_read_u16 v225, v73 offset:3968
	v_mfma_f32_16x16x16f16 v[218:221], v[100:101], v[20:21], v[218:221]
	s_nop 7
	s_nop 2
	v_cvt_f16_f32_e32 v100, v218
	v_cvt_f16_f32_e32 v101, v219
	v_cvt_f16_f32_e32 v107, v220
	v_cvt_f16_f32_e32 v221, v221
	v_cvt_f32_f16_e32 v218, v100
	v_cvt_f32_f16_e32 v219, v101
	s_waitcnt lgkmcnt(0)
	v_perm_b32 v101, v225, v224, s38
	v_perm_b32 v100, v223, v222, s38
	v_cvt_f32_f16_e32 v220, v107
	v_cvt_f32_f16_e32 v221, v221
	ds_read_u16 v222, v120 offset:7808
	ds_read_u16 v223, v69 offset:8048
	ds_read_u16 v224, v138 offset:480
	ds_read_u16 v225, v73 offset:7808
	v_mfma_f32_16x16x16f16 v[218:221], v[100:101], v[18:19], v[218:221]
	s_nop 7
	s_nop 2
	v_cvt_f16_f32_e32 v100, v218
	v_cvt_f16_f32_e32 v101, v219
	v_cvt_f16_f32_e32 v107, v220
	v_cvt_f16_f32_e32 v221, v221
	v_cvt_f32_f16_e32 v218, v100
	v_cvt_f32_f16_e32 v219, v101
	s_waitcnt lgkmcnt(0)
	v_perm_b32 v101, v225, v224, s38
	v_perm_b32 v100, v223, v222, s38
	v_cvt_f32_f16_e32 v220, v107
	v_cvt_f32_f16_e32 v221, v221
	;; [unrolled: 18-line block ×3, first 2 shown]
	v_cvt_f32_f16_e32 v222, v105
	v_cvt_f32_f16_sdwa v223, v105 dst_sel:DWORD dst_unused:UNUSED_PAD src0_sel:WORD_1
	v_mfma_f32_16x16x16f16 v[218:221], v[100:101], v[14:15], v[218:221]
	s_nop 7
	s_nop 2
	v_cvt_f16_f32_e32 v100, v218
	v_cvt_f16_f32_e32 v101, v219
	;; [unrolled: 1-line block ×4, first 2 shown]
	v_cvt_f32_f16_e32 v220, v106
	v_pack_b32_f16 v219, v100, v101
	v_cvt_f32_f16_sdwa v221, v106 dst_sel:DWORD dst_unused:UNUSED_PAD src0_sel:WORD_1
	v_pack_b32_f16 v218, v107, v218
	ds_read_u16 v100, v120 offset:160
	ds_read_u16 v107, v69 offset:400
	;; [unrolled: 1-line block ×4, first 2 shown]
	s_waitcnt lgkmcnt(2)
	v_perm_b32 v100, v107, v100, s38
	s_waitcnt lgkmcnt(0)
	v_perm_b32 v101, v224, v101, s38
	ds_read_u16 v107, v120 offset:4000
	ds_read_u16 v224, v69 offset:4240
	ds_read_u16 v225, v141 offset:480
	ds_read_u16 v226, v73 offset:4000
	v_mfma_f32_16x16x16f16 v[220:223], v[100:101], v[20:21], v[220:223]
	s_nop 7
	s_nop 2
	v_cvt_f16_f32_e32 v100, v220
	v_cvt_f16_f32_e32 v101, v221
	v_cvt_f16_f32_e32 v105, v222
	v_cvt_f16_f32_e32 v106, v223
	v_cvt_f32_f16_e32 v220, v100
	v_cvt_f32_f16_e32 v221, v101
	s_waitcnt lgkmcnt(0)
	v_perm_b32 v101, v226, v225, s38
	v_perm_b32 v100, v224, v107, s38
	v_cvt_f32_f16_e32 v222, v105
	v_cvt_f32_f16_e32 v223, v106
	ds_read_u16 v107, v120 offset:7840
	ds_read_u16 v224, v69 offset:8080
	ds_read_u16 v225, v142 offset:480
	ds_read_u16 v226, v73 offset:7840
	v_mfma_f32_16x16x16f16 v[220:223], v[100:101], v[18:19], v[220:223]
	s_nop 7
	s_nop 2
	v_cvt_f16_f32_e32 v100, v220
	v_cvt_f16_f32_e32 v101, v221
	v_cvt_f16_f32_e32 v105, v222
	v_cvt_f16_f32_e32 v106, v223
	v_cvt_f32_f16_e32 v220, v100
	v_cvt_f32_f16_e32 v221, v101
	s_waitcnt lgkmcnt(0)
	v_perm_b32 v101, v226, v225, s38
	v_perm_b32 v100, v224, v107, s38
	v_cvt_f32_f16_e32 v222, v105
	v_cvt_f32_f16_e32 v223, v106
	ds_read_u16 v107, v120 offset:11680
	ds_read_u16 v224, v69 offset:11920
	ds_read_u16 v225, v143 offset:480
	ds_read_u16 v226, v73 offset:11680
	v_mfma_f32_16x16x16f16 v[220:223], v[100:101], v[16:17], v[220:223]
	s_nop 7
	s_nop 2
	v_cvt_f16_f32_e32 v100, v220
	v_cvt_f16_f32_e32 v101, v221
	v_cvt_f16_f32_e32 v105, v222
	v_cvt_f16_f32_e32 v106, v223
	v_cvt_f32_f16_e32 v220, v100
	v_cvt_f32_f16_e32 v221, v101
	s_waitcnt lgkmcnt(0)
	v_perm_b32 v101, v226, v225, s38
	v_perm_b32 v100, v224, v107, s38
	v_cvt_f32_f16_e32 v222, v105
	v_cvt_f32_f16_e32 v223, v106
	v_cvt_f32_f16_e32 v224, v103
	v_cvt_f32_f16_sdwa v225, v103 dst_sel:DWORD dst_unused:UNUSED_PAD src0_sel:WORD_1
	v_mfma_f32_16x16x16f16 v[220:223], v[100:101], v[14:15], v[220:223]
	s_nop 7
	s_nop 2
	v_cvt_f16_f32_e32 v100, v220
	v_cvt_f16_f32_e32 v101, v221
	;; [unrolled: 1-line block ×4, first 2 shown]
	v_cvt_f32_f16_e32 v222, v104
	v_pack_b32_f16 v220, v100, v101
	v_cvt_f32_f16_sdwa v223, v104 dst_sel:DWORD dst_unused:UNUSED_PAD src0_sel:WORD_1
	v_pack_b32_f16 v221, v105, v106
	ds_read_u16 v100, v120 offset:192
	ds_read_u16 v105, v69 offset:432
	;; [unrolled: 1-line block ×4, first 2 shown]
	s_waitcnt lgkmcnt(2)
	v_perm_b32 v100, v105, v100, s38
	s_waitcnt lgkmcnt(0)
	v_perm_b32 v101, v106, v101, s38
	s_nop 1
	v_mfma_f32_16x16x16f16 v[104:107], v[100:101], v[20:21], v[222:225]
	ds_read_u16 v103, v120 offset:4032
	s_nop 5
	ds_read_u16 v222, v69 offset:4272
	ds_read_u16 v223, v145 offset:480
	;; [unrolled: 1-line block ×3, first 2 shown]
	s_nop 0
	v_cvt_f16_f32_e32 v20, v104
	v_cvt_f16_f32_e32 v21, v105
	;; [unrolled: 1-line block ×4, first 2 shown]
	v_cvt_f32_f16_e32 v104, v20
	v_cvt_f32_f16_e32 v105, v21
	s_waitcnt lgkmcnt(0)
	v_perm_b32 v21, v224, v223, s38
	v_perm_b32 v20, v222, v103, s38
	v_cvt_f32_f16_e32 v106, v100
	v_cvt_f32_f16_e32 v107, v101
	s_nop 1
	v_mfma_f32_16x16x16f16 v[18:21], v[20:21], v[18:19], v[104:107]
	ds_read_u16 v100, v120 offset:7872
	ds_read_u16 v103, v69 offset:8112
	;; [unrolled: 1-line block ×3, first 2 shown]
	s_nop 3
	ds_read_u16 v104, v73 offset:7872
	s_waitcnt lgkmcnt(2)
	v_perm_b32 v100, v103, v100, s38
	s_waitcnt lgkmcnt(0)
	v_perm_b32 v101, v104, v101, s38
	v_cvt_f16_f32_e32 v18, v18
	v_cvt_f16_f32_e32 v19, v19
	;; [unrolled: 1-line block ×4, first 2 shown]
	v_cvt_f32_f16_e32 v18, v18
	v_cvt_f32_f16_e32 v19, v19
	;; [unrolled: 1-line block ×4, first 2 shown]
	s_nop 1
	v_mfma_f32_16x16x16f16 v[18:21], v[100:101], v[16:17], v[18:21]
	s_nop 7
	s_nop 2
	v_cvt_f16_f32_e32 v17, v18
	v_cvt_f16_f32_e32 v18, v19
	;; [unrolled: 1-line block ×4, first 2 shown]
	ds_read_u16 v16, v120 offset:11712
	ds_read_u16 v21, v69 offset:11952
	;; [unrolled: 1-line block ×4, first 2 shown]
	v_cvt_f32_f16_e32 v104, v17
	v_cvt_f32_f16_e32 v105, v18
	s_waitcnt lgkmcnt(2)
	v_perm_b32 v16, v21, v16, s38
	v_cvt_f32_f16_e32 v106, v19
	s_waitcnt lgkmcnt(0)
	v_perm_b32 v17, v101, v100, s38
	v_cvt_f32_f16_e32 v107, v20
	s_barrier
	s_nop 0
	v_mfma_f32_16x16x16f16 v[14:17], v[16:17], v[14:15], v[104:107]
	s_nop 7
	s_nop 2
	v_cvt_f16_f32_e32 v14, v14
	v_cvt_f16_f32_e32 v15, v15
	;; [unrolled: 1-line block ×4, first 2 shown]
	v_pack_b32_f16 v223, v14, v15
	v_mov_b32_e32 v14, s69
	v_addc_co_u32_e32 v1, vcc, v1, v14, vcc
	v_add_co_u32_e32 v86, vcc, s68, v86
	v_addc_co_u32_e32 v27, vcc, v27, v14, vcc
	v_add_co_u32_e32 v88, vcc, s68, v88
	;; [unrolled: 2-line block ×4, first 2 shown]
	v_mov_b32_e32 v14, s71
	v_addc_co_u32_e32 v33, vcc, v33, v14, vcc
	v_add_co_u32_e32 v94, vcc, s70, v94
	v_addc_co_u32_e32 v35, vcc, v35, v14, vcc
	v_add_co_u32_e32 v96, vcc, s70, v96
	;; [unrolled: 2-line block ×3, first 2 shown]
	v_pack_b32_f16 v222, v16, v17
	v_addc_co_u32_e32 v57, vcc, v57, v14, vcc
	s_cbranch_scc0 .LBB19_224
; %bb.223:                              ;   in Loop: Header=BB19_218 Depth=2
	v_mov_b32_e32 v224, v102
	v_mov_b32_e32 v225, v76
	s_branch .LBB19_218
.LBB19_224:                             ;   in Loop: Header=BB19_13 Depth=1
	s_lshl_b32 s60, s58, 6
	s_lshl_b64 s[4:5], s[60:61], 1
	v_mov_b32_e32 v1, s5
	v_add_co_u32_e32 v14, vcc, s4, v74
	v_addc_co_u32_e32 v1, vcc, v198, v1, vcc
	v_lshlrev_b32_e32 v15, 1, v56
	v_add_co_u32_e32 v18, vcc, v14, v15
	v_addc_co_u32_e32 v1, vcc, 0, v1, vcc
	v_lshlrev_b64 v[14:15], 1, v[22:23]
	v_add_co_u32_e32 v14, vcc, v18, v14
	v_addc_co_u32_e32 v15, vcc, v1, v15, vcc
	v_lshlrev_b64 v[16:17], 1, v[24:25]
	v_add_co_u32_e32 v16, vcc, v18, v16
	v_addc_co_u32_e32 v17, vcc, v1, v17, vcc
	global_load_dword v1, v[14:15], off
	s_nop 0
	global_load_dword v14, v[16:17], off
	s_mul_i32 s5, s41, s60
	s_mul_hi_u32 s42, s40, s60
	s_mul_i32 s4, s40, s60
	s_add_i32 s5, s42, s5
	s_lshl_b64 s[4:5], s[4:5], 2
	s_add_u32 s43, s49, s4
	v_add_u32_e32 v15, v164, v190
	s_addc_u32 s42, s48, s5
	s_waitcnt vmcnt(1)
	ds_write_b32 v15, v1 offset:15360
	s_waitcnt vmcnt(0)
	ds_write_b32 v15, v14 offset:16512
	s_and_saveexec_b64 s[4:5], s[0:1]
	s_mov_b32 s89, s44
	v_readlane_b32 s76, v238, 39
	s_cbranch_execz .LBB19_226
; %bb.225:                              ;   in Loop: Header=BB19_13 Depth=1
	v_mov_b32_e32 v1, s42
	v_add_co_u32_e32 v14, vcc, s43, v48
	v_addc_co_u32_e32 v1, vcc, v1, v49, vcc
	v_lshlrev_b32_e32 v15, 2, v30
	v_add_co_u32_e32 v14, vcc, v14, v15
	v_addc_co_u32_e32 v15, vcc, 0, v1, vcc
	global_load_dwordx4 v[14:17], v[14:15], off offset:192
	s_waitcnt vmcnt(0)
	ds_write_b128 v99, v[14:17]
.LBB19_226:                             ;   in Loop: Header=BB19_13 Depth=1
	s_or_b64 exec, exec, s[4:5]
	v_add_co_u32_e32 v1, vcc, s43, v50
	v_mov_b32_e32 v14, s42
	v_addc_co_u32_e32 v15, vcc, v14, v51, vcc
	v_lshlrev_b32_e32 v31, 2, v32
	v_add_co_u32_e32 v14, vcc, v1, v31
	v_addc_co_u32_e32 v15, vcc, 0, v15, vcc
	global_load_dwordx4 v[14:17], v[14:15], off offset:128
	v_add_co_u32_e32 v1, vcc, s43, v52
	v_lshlrev_b32_e32 v29, 2, v34
	s_mul_i32 s4, s60, s31
	s_mul_hi_u32 s5, s60, s30
	s_add_i32 s5, s5, s4
	s_mul_i32 s4, s60, s30
	s_lshl_b64 s[4:5], s[4:5], 2
	s_waitcnt vmcnt(0)
	ds_write_b128 v89, v[14:17]
	v_mov_b32_e32 v14, s42
	v_addc_co_u32_e32 v15, vcc, v14, v53, vcc
	v_add_co_u32_e32 v14, vcc, v1, v29
	v_addc_co_u32_e32 v15, vcc, 0, v15, vcc
	global_load_dwordx4 v[14:17], v[14:15], off
	v_add_co_u32_e32 v1, vcc, s43, v54
	s_add_u32 s43, s46, s4
	s_waitcnt vmcnt(0)
	ds_write_b128 v91, v[14:17]
	v_mov_b32_e32 v14, s42
	v_addc_co_u32_e32 v15, vcc, v14, v55, vcc
	v_add_co_u32_e32 v14, vcc, v1, v29
	v_addc_co_u32_e32 v15, vcc, 0, v15, vcc
	global_load_dwordx4 v[14:17], v[14:15], off
	v_add_u32_e32 v1, 0x800, v65
	s_addc_u32 s42, s47, s5
	s_waitcnt vmcnt(0)
	ds_write_b128 v93, v[14:17]
	s_waitcnt lgkmcnt(0)
	s_barrier
	ds_read2_b64 v[14:17], v65 offset1:4
	s_waitcnt lgkmcnt(0)
	v_mfma_f32_16x16x16f16 v[18:21], v[14:15], v[10:11], 0
	v_mfma_f32_16x16x16f16 v[14:17], v[16:17], v[12:13], v[18:21]
	s_nop 7
	s_nop 1
	ds_read2_b64 v[18:21], v65 offset0:8 offset1:12
	s_waitcnt lgkmcnt(0)
	v_mfma_f32_16x16x16f16 v[14:17], v[18:19], v[6:7], v[14:17]
	v_mfma_f32_16x16x16f16 v[14:17], v[20:21], v[8:9], v[14:17]
	ds_read2_b64 v[18:21], v65 offset0:16 offset1:20
	s_waitcnt lgkmcnt(0)
	v_mfma_f32_16x16x16f16 v[14:17], v[18:19], v[2:3], v[14:17]
	ds_read_b64 v[18:19], v65 offset:192
	v_mfma_f32_16x16x16f16 v[14:17], v[20:21], v[4:5], v[14:17]
	s_waitcnt lgkmcnt(0)
	v_mfma_f32_16x16x16f16 v[18:21], v[18:19], v[78:79], v[14:17]
	s_nop 7
	s_nop 0
	ds_read2_b64 v[14:17], v1 offset0:224 offset1:228
	s_waitcnt lgkmcnt(0)
	v_mfma_f32_16x16x16f16 v[22:25], v[14:15], v[10:11], 0
	v_mfma_f32_16x16x16f16 v[14:17], v[16:17], v[12:13], v[22:25]
	s_nop 7
	s_nop 1
	ds_read2_b64 v[22:25], v1 offset0:232 offset1:236
	s_waitcnt lgkmcnt(0)
	v_mfma_f32_16x16x16f16 v[14:17], v[22:23], v[6:7], v[14:17]
	v_mfma_f32_16x16x16f16 v[14:17], v[24:25], v[8:9], v[14:17]
	ds_read2_b64 v[22:25], v1 offset0:240 offset1:244
	v_add_u32_e32 v1, 0x1800, v65
	s_waitcnt lgkmcnt(0)
	v_mfma_f32_16x16x16f16 v[14:17], v[22:23], v[2:3], v[14:17]
	ds_read_b64 v[22:23], v65 offset:4032
	v_mfma_f32_16x16x16f16 v[14:17], v[24:25], v[4:5], v[14:17]
	s_waitcnt lgkmcnt(0)
	v_mfma_f32_16x16x16f16 v[14:17], v[22:23], v[78:79], v[14:17]
	ds_read2_b64 v[22:25], v1 offset0:192 offset1:196
	s_waitcnt lgkmcnt(0)
	v_mfma_f32_16x16x16f16 v[80:83], v[22:23], v[10:11], 0
	v_mfma_f32_16x16x16f16 v[22:25], v[24:25], v[12:13], v[80:83]
	s_nop 7
	s_nop 1
	ds_read2_b64 v[80:83], v1 offset0:200 offset1:204
	s_waitcnt lgkmcnt(0)
	v_mfma_f32_16x16x16f16 v[22:25], v[80:81], v[6:7], v[22:25]
	v_mfma_f32_16x16x16f16 v[22:25], v[82:83], v[8:9], v[22:25]
	ds_read2_b64 v[80:83], v1 offset0:208 offset1:212
	v_add_u32_e32 v1, 0x2800, v65
	s_waitcnt lgkmcnt(0)
	v_mfma_f32_16x16x16f16 v[22:25], v[80:81], v[2:3], v[22:25]
	ds_read_b64 v[80:81], v65 offset:7872
	v_mfma_f32_16x16x16f16 v[22:25], v[82:83], v[4:5], v[22:25]
	s_waitcnt lgkmcnt(0)
	v_mfma_f32_16x16x16f16 v[22:25], v[80:81], v[78:79], v[22:25]
	ds_read2_b64 v[80:83], v1 offset0:160 offset1:164
	s_waitcnt lgkmcnt(0)
	v_mfma_f32_16x16x16f16 v[104:107], v[80:81], v[10:11], 0
	v_mfma_f32_16x16x16f16 v[10:13], v[82:83], v[12:13], v[104:107]
	ds_read2_b64 v[80:83], v1 offset0:168 offset1:172
	s_waitcnt lgkmcnt(0)
	v_mfma_f32_16x16x16f16 v[10:13], v[80:81], v[6:7], v[10:13]
	v_mfma_f32_16x16x16f16 v[6:9], v[82:83], v[8:9], v[10:13]
	s_nop 7
	s_nop 1
	ds_read2_b64 v[10:13], v1 offset0:176 offset1:180
	s_waitcnt lgkmcnt(0)
	v_mfma_f32_16x16x16f16 v[6:9], v[10:11], v[2:3], v[6:9]
	v_add_u32_e32 v1, 0x3c00, v192
	v_xor_b32_e32 v11, 32, v187
	v_mfma_f32_16x16x16f16 v[2:5], v[12:13], v[4:5], v[6:9]
	s_nop 7
	ds_read_b64 v[6:7], v65 offset:11712
	s_waitcnt lgkmcnt(0)
	v_mfma_f32_16x16x16f16 v[2:5], v[6:7], v[78:79], v[2:5]
	s_barrier
	ds_read_b32 v12, v119 offset:15360
	ds_read_b32 v10, v118 offset:15360
	ds_read2_b32 v[6:7], v1 offset1:1
	v_add_u32_e32 v1, 0x3c00, v193
	ds_read2_b32 v[8:9], v1 offset1:1
	v_add_u32_e32 v1, 0x3c00, v194
	ds_read2_b32 v[78:79], v1 offset1:1
	v_and_b32_e32 v1, 64, v187
	v_add_u32_e32 v1, 64, v1
	v_cmp_lt_i32_e32 vcc, v11, v1
	v_cndmask_b32_e32 v11, v187, v11, vcc
	v_lshlrev_b32_e32 v27, 2, v11
	v_xor_b32_e32 v11, 16, v187
	v_cmp_lt_i32_e32 vcc, v11, v1
	v_cndmask_b32_e32 v1, v187, v11, vcc
	s_waitcnt lgkmcnt(3)
	v_cvt_f32_f16_sdwa v11, v10 dst_sel:DWORD dst_unused:UNUSED_PAD src0_sel:WORD_1
	v_cvt_f32_f16_e32 v10, v10
	v_lshlrev_b32_e32 v1, 2, v1
	v_pk_add_f32 v[20:21], v[20:21], v[10:11]
	v_cvt_f32_f16_sdwa v11, v12 dst_sel:DWORD dst_unused:UNUSED_PAD src0_sel:WORD_1
	v_cvt_f32_f16_e32 v10, v12
	v_add_f32_e32 v13, 0x40051340, v20
	v_add_f32_e32 v33, 0x40051340, v21
	v_pk_add_f32 v[18:19], v[18:19], v[10:11]
	v_add_f32_e32 v10, 0x40051340, v18
	v_add_f32_e32 v11, 0x40051340, v19
	v_max3_f32 v10, v76, v10, v11
	v_max3_f32 v33, v10, v13, v33
	s_waitcnt lgkmcnt(2)
	v_cvt_f32_f16_e32 v10, v7
	v_cvt_f32_f16_sdwa v11, v7 dst_sel:DWORD dst_unused:UNUSED_PAD src0_sel:WORD_1
	v_pk_add_f32 v[12:13], v[16:17], v[10:11]
	v_cvt_f32_f16_e32 v10, v6
	v_cvt_f32_f16_sdwa v11, v6 dst_sel:DWORD dst_unused:UNUSED_PAD src0_sel:WORD_1
	v_add_f32_e32 v7, 0x40051340, v12
	v_add_f32_e32 v16, 0x40051340, v13
	v_pk_add_f32 v[14:15], v[14:15], v[10:11]
	v_add_f32_e32 v6, 0x40051340, v14
	v_add_f32_e32 v10, 0x40051340, v15
	v_max3_f32 v6, v33, v6, v10
	s_waitcnt lgkmcnt(1)
	v_cvt_f32_f16_e32 v10, v8
	v_cvt_f32_f16_sdwa v11, v8 dst_sel:DWORD dst_unused:UNUSED_PAD src0_sel:WORD_1
	v_max3_f32 v16, v6, v7, v16
	v_cvt_f32_f16_e32 v6, v9
	v_cvt_f32_f16_sdwa v7, v9 dst_sel:DWORD dst_unused:UNUSED_PAD src0_sel:WORD_1
	v_pk_add_f32 v[10:11], v[22:23], v[10:11]
	v_add_f32_e32 v8, 0x40051340, v10
	v_add_f32_e32 v22, 0x40051340, v11
	v_pk_add_f32 v[6:7], v[24:25], v[6:7]
	v_add_f32_e32 v9, 0x40051340, v6
	v_add_f32_e32 v17, 0x40051340, v7
	v_max3_f32 v8, v16, v8, v22
	v_max3_f32 v16, v8, v9, v17
	s_waitcnt lgkmcnt(0)
	v_cvt_f32_f16_e32 v8, v79
	v_cvt_f32_f16_sdwa v9, v79 dst_sel:DWORD dst_unused:UNUSED_PAD src0_sel:WORD_1
	v_pk_add_f32 v[4:5], v[4:5], v[8:9]
	v_cvt_f32_f16_e32 v8, v78
	v_cvt_f32_f16_sdwa v9, v78 dst_sel:DWORD dst_unused:UNUSED_PAD src0_sel:WORD_1
	v_add_f32_e32 v17, 0x40051340, v4
	v_add_f32_e32 v22, 0x40051340, v5
	v_pk_add_f32 v[8:9], v[2:3], v[8:9]
	v_add_f32_e32 v2, 0x40051340, v8
	v_add_f32_e32 v3, 0x40051340, v9
	v_max3_f32 v2, v16, v2, v3
	v_max3_f32 v2, v2, v17, v22
	ds_bpermute_b32 v3, v27, v2
	s_waitcnt lgkmcnt(0)
	v_max_f32_e32 v3, v3, v3
	v_max_f32_e32 v2, v2, v3
	ds_bpermute_b32 v3, v1, v2
	s_and_saveexec_b64 s[4:5], s[0:1]
	s_cbranch_execz .LBB19_228
; %bb.227:                              ;   in Loop: Header=BB19_13 Depth=1
	v_mov_b32_e32 v16, s42
	v_add_co_u32_e32 v17, vcc, s43, v40
	v_addc_co_u32_e32 v22, vcc, v16, v41, vcc
	v_lshlrev_b32_e32 v16, 2, v30
	v_add_co_u32_e32 v16, vcc, v17, v16
	v_addc_co_u32_e32 v17, vcc, 0, v22, vcc
	global_load_dwordx4 v[22:25], v[16:17], off offset:192
	s_waitcnt vmcnt(0)
	ds_write_b128 v67, v[22:25]
.LBB19_228:                             ;   in Loop: Header=BB19_13 Depth=1
	s_or_b64 exec, exec, s[4:5]
	s_waitcnt lgkmcnt(0)
	v_max_f32_e32 v3, v3, v3
	v_max_f32_e32 v2, v2, v2
	;; [unrolled: 1-line block ×3, first 2 shown]
	v_pk_add_f32 v[18:19], v[18:19], v[2:3] op_sel_hi:[1,0] neg_lo:[0,1] neg_hi:[0,1]
	v_mul_f32_e32 v3, 0x3fb8aa3b, v19
	v_fma_f32 v16, v19, s45, -v3
	v_rndne_f32_e32 v17, v3
	v_fmac_f32_e32 v16, 0x32a5705f, v19
	v_sub_f32_e32 v3, v3, v17
	v_add_f32_e32 v3, v3, v16
	v_exp_f32_e32 v3, v3
	v_cvt_i32_f32_e32 v16, v17
	v_cmp_ngt_f32_e32 vcc, s65, v19
	s_cmp_lg_u64 s[72:73], 0
	v_ldexp_f32 v3, v3, v16
	v_cndmask_b32_e32 v3, 0, v3, vcc
	v_cmp_nlt_f32_e32 vcc, s52, v19
	v_cndmask_b32_e32 v16, v197, v3, vcc
	v_mul_f32_e32 v3, 0x3fb8aa3b, v18
	v_fma_f32 v17, v18, s45, -v3
	v_rndne_f32_e32 v19, v3
	v_fmac_f32_e32 v17, 0x32a5705f, v18
	v_sub_f32_e32 v3, v3, v19
	v_add_f32_e32 v3, v3, v17
	v_exp_f32_e32 v3, v3
	v_cvt_i32_f32_e32 v17, v19
	v_cmp_ngt_f32_e32 vcc, s65, v18
	v_ldexp_f32 v3, v3, v17
	v_cndmask_b32_e32 v3, 0, v3, vcc
	v_cmp_nlt_f32_e32 vcc, s52, v18
	v_pk_add_f32 v[18:19], v[20:21], v[2:3] op_sel_hi:[1,0] neg_lo:[0,1] neg_hi:[0,1]
	v_cndmask_b32_e32 v17, v197, v3, vcc
	v_mul_f32_e32 v3, 0x3fb8aa3b, v19
	v_fma_f32 v20, v19, s45, -v3
	v_rndne_f32_e32 v21, v3
	v_fmac_f32_e32 v20, 0x32a5705f, v19
	v_sub_f32_e32 v3, v3, v21
	v_add_f32_e32 v3, v3, v20
	v_exp_f32_e32 v3, v3
	v_cvt_i32_f32_e32 v20, v21
	v_cmp_ngt_f32_e32 vcc, s65, v19
	v_ldexp_f32 v3, v3, v20
	v_cndmask_b32_e32 v3, 0, v3, vcc
	v_cmp_nlt_f32_e32 vcc, s52, v19
	v_cndmask_b32_e32 v33, v197, v3, vcc
	v_mul_f32_e32 v3, 0x3fb8aa3b, v18
	v_fma_f32 v19, v18, s45, -v3
	v_rndne_f32_e32 v20, v3
	v_fmac_f32_e32 v19, 0x32a5705f, v18
	v_sub_f32_e32 v3, v3, v20
	v_add_f32_e32 v3, v3, v19
	v_exp_f32_e32 v3, v3
	v_cvt_i32_f32_e32 v19, v20
	v_cmp_ngt_f32_e32 vcc, s65, v18
	v_ldexp_f32 v3, v3, v19
	v_cndmask_b32_e32 v3, 0, v3, vcc
	v_cmp_nlt_f32_e32 vcc, s52, v18
	v_pk_add_f32 v[14:15], v[14:15], v[2:3] op_sel_hi:[1,0] neg_lo:[0,1] neg_hi:[0,1]
	v_cndmask_b32_e32 v35, v197, v3, vcc
	v_mul_f32_e32 v3, 0x3fb8aa3b, v15
	v_fma_f32 v18, v15, s45, -v3
	v_rndne_f32_e32 v19, v3
	v_fmac_f32_e32 v18, 0x32a5705f, v15
	v_sub_f32_e32 v3, v3, v19
	v_add_f32_e32 v3, v3, v18
	v_exp_f32_e32 v3, v3
	v_cvt_i32_f32_e32 v18, v19
	v_cmp_ngt_f32_e32 vcc, s65, v15
	;; [unrolled: 27-line block ×7, first 2 shown]
	v_ldexp_f32 v3, v3, v6
	v_cndmask_b32_e32 v3, 0, v3, vcc
	v_cmp_nlt_f32_e32 vcc, s52, v5
	v_cndmask_b32_e32 v5, v197, v3, vcc
	v_mul_f32_e32 v3, 0x3fb8aa3b, v4
	v_fma_f32 v6, v4, s45, -v3
	v_rndne_f32_e32 v7, v3
	v_fmac_f32_e32 v6, 0x32a5705f, v4
	v_sub_f32_e32 v3, v3, v7
	v_add_f32_e32 v3, v3, v6
	v_exp_f32_e32 v3, v3
	v_cvt_i32_f32_e32 v6, v7
	v_cmp_ngt_f32_e32 vcc, s65, v4
	v_ldexp_f32 v3, v3, v6
	v_cndmask_b32_e32 v3, 0, v3, vcc
	v_cmp_nlt_f32_e32 vcc, s52, v4
	v_cndmask_b32_e32 v81, v197, v3, vcc
	v_add_f32_e32 v3, v17, v16
	v_add_f32_e32 v3, v35, v3
	;; [unrolled: 1-line block ×3, first 2 shown]
	v_sub_f32_e32 v4, v76, v2
	v_add_f32_e32 v3, v14, v3
	v_mul_f32_e32 v6, 0x3fb8aa3b, v4
	v_add_f32_e32 v3, v15, v3
	v_fma_f32 v7, v4, s45, -v6
	v_rndne_f32_e32 v8, v6
	v_add_f32_e32 v3, v57, v3
	v_fmac_f32_e32 v7, 0x32a5705f, v4
	v_sub_f32_e32 v6, v6, v8
	v_add_f32_e32 v3, v37, v3
	v_add_f32_e32 v6, v6, v7
	;; [unrolled: 1-line block ×3, first 2 shown]
	v_exp_f32_e32 v6, v6
	v_cvt_i32_f32_e32 v7, v8
	v_add_f32_e32 v3, v12, v3
	v_add_f32_e32 v3, v78, v3
	v_add_f32_e32 v3, v74, v3
	v_add_f32_e32 v3, v80, v3
	v_ldexp_f32 v6, v6, v7
	v_cmp_ngt_f32_e32 vcc, s65, v4
	v_add_f32_e32 v3, v79, v3
	v_cndmask_b32_e32 v6, 0, v6, vcc
	v_cmp_nlt_f32_e32 vcc, s52, v4
	v_add_f32_e32 v3, v81, v3
	v_cndmask_b32_e32 v6, v197, v6, vcc
	v_cmp_le_f32_e32 vcc, s53, v4
	v_add_f32_e32 v3, v5, v3
	v_cndmask_b32_e32 v4, 0, v6, vcc
	v_fmac_f32_e32 v3, v102, v4
	v_cvt_f16_f32_e32 v4, v4
	v_cvt_f16_f32_e32 v16, v16
	;; [unrolled: 1-line block ×5, first 2 shown]
	v_pk_mul_f16 v7, v4, v77 op_sel_hi:[0,1]
	v_pk_mul_f16 v6, v4, v75 op_sel_hi:[0,1]
	;; [unrolled: 1-line block ×14, first 2 shown]
	v_cvt_f16_f32_e32 v4, v79
	v_cvt_f16_f32_e32 v75, v80
	v_pack_b32_f16 v16, v17, v16
	v_cvt_f16_f32_e32 v17, v33
	v_cvt_f16_f32_e32 v33, v35
	v_pack_b32_f16 v12, v13, v12
	;; [unrolled: 3-line block ×4, first 2 shown]
	v_add_co_u32_e32 v33, vcc, s43, v42
	v_mov_b32_e32 v35, s42
	v_addc_co_u32_e32 v35, vcc, v35, v43, vcc
	v_pack_b32_f16 v13, v74, v13
	v_add_co_u32_e32 v74, vcc, v33, v31
	v_pack_b32_f16 v5, v75, v5
	v_addc_co_u32_e32 v75, vcc, 0, v35, vcc
	global_load_dwordx4 v[74:77], v[74:75], off offset:128
	v_add_co_u32_e32 v31, vcc, s43, v44
	v_mov_b32_e32 v33, s42
	v_addc_co_u32_e32 v33, vcc, v33, v45, vcc
	v_cvt_f16_f32_e32 v15, v15
	v_cvt_f16_f32_e32 v14, v14
	v_pack_b32_f16 v14, v14, v15
	v_cvt_f16_f32_e32 v15, v37
	v_cvt_f16_f32_e32 v37, v57
	v_pack_b32_f16 v15, v37, v15
	s_waitcnt vmcnt(0)
	ds_write_b128 v89, v[74:77]
	v_add_co_u32_e32 v74, vcc, v31, v29
	v_addc_co_u32_e32 v75, vcc, 0, v33, vcc
	global_load_dwordx4 v[74:77], v[74:75], off
	v_add_co_u32_e32 v31, vcc, s43, v46
	v_mov_b32_e32 v33, s42
	v_addc_co_u32_e32 v33, vcc, v33, v47, vcc
	s_waitcnt vmcnt(0)
	ds_write_b128 v91, v[74:77]
	v_add_co_u32_e32 v74, vcc, v31, v29
	v_addc_co_u32_e32 v75, vcc, 0, v33, vcc
	global_load_dwordx4 v[74:77], v[74:75], off
	s_waitcnt vmcnt(0)
	ds_write_b128 v93, v[74:77]
	s_waitcnt lgkmcnt(0)
	s_barrier
	ds_read_u16 v29, v69 offset:480
	v_cvt_f32_f16_e32 v76, v6
	v_cvt_f32_f16_sdwa v77, v6 dst_sel:DWORD dst_unused:UNUSED_PAD src0_sel:WORD_1
	ds_read_u16 v6, v73
	ds_read_u16 v31, v73 offset:32
	v_cvt_f32_f16_e32 v74, v7
	v_cvt_f32_f16_sdwa v75, v7 dst_sel:DWORD dst_unused:UNUSED_PAD src0_sel:WORD_1
	s_waitcnt lgkmcnt(1)
	v_perm_b32 v7, v6, v29, s38
	ds_read_u16 v6, v120
	ds_read_u16 v29, v120 offset:32
	ds_read_u16 v33, v69 offset:240
	;; [unrolled: 1-line block ×7, first 2 shown]
	s_waitcnt lgkmcnt(5)
	v_perm_b32 v6, v33, v6, s38
	s_nop 1
	v_mfma_f32_16x16x16f16 v[74:77], v[6:7], v[16:17], v[74:77]
	s_nop 7
	s_nop 2
	v_cvt_f16_f32_e32 v6, v74
	v_cvt_f16_f32_e32 v7, v75
	;; [unrolled: 1-line block ×4, first 2 shown]
	v_cvt_f32_f16_e32 v74, v6
	v_cvt_f32_f16_e32 v75, v7
	s_waitcnt lgkmcnt(0)
	v_perm_b32 v7, v80, v79, s38
	v_perm_b32 v6, v78, v57, s38
	v_cvt_f32_f16_e32 v76, v33
	v_cvt_f32_f16_e32 v77, v37
	ds_read_u16 v57, v120 offset:7680
	ds_read_u16 v78, v69 offset:7920
	ds_read_u16 v79, v122 offset:480
	ds_read_u16 v80, v73 offset:7680
	v_mfma_f32_16x16x16f16 v[74:77], v[6:7], v[14:15], v[74:77]
	s_nop 7
	s_nop 2
	v_cvt_f16_f32_e32 v6, v74
	v_cvt_f16_f32_e32 v7, v75
	;; [unrolled: 1-line block ×4, first 2 shown]
	v_cvt_f32_f16_e32 v74, v6
	v_cvt_f32_f16_e32 v75, v7
	s_waitcnt lgkmcnt(0)
	v_perm_b32 v7, v80, v79, s38
	v_perm_b32 v6, v78, v57, s38
	v_cvt_f32_f16_e32 v76, v33
	v_cvt_f32_f16_e32 v77, v37
	ds_read_u16 v57, v120 offset:11520
	ds_read_u16 v78, v69 offset:11760
	;; [unrolled: 1-line block ×4, first 2 shown]
	v_mfma_f32_16x16x16f16 v[74:77], v[6:7], v[12:13], v[74:77]
	s_nop 7
	s_nop 2
	v_cvt_f16_f32_e32 v6, v74
	v_cvt_f16_f32_e32 v7, v75
	;; [unrolled: 1-line block ×4, first 2 shown]
	v_cvt_f32_f16_e32 v74, v6
	v_cvt_f32_f16_e32 v75, v7
	s_waitcnt lgkmcnt(0)
	v_perm_b32 v7, v80, v79, s38
	v_perm_b32 v6, v78, v57, s38
	v_cvt_f32_f16_e32 v76, v33
	v_cvt_f32_f16_e32 v77, v37
	s_nop 1
	v_mfma_f32_16x16x16f16 v[74:77], v[6:7], v[4:5], v[74:77]
	s_nop 7
	s_nop 2
	v_cvt_f16_f32_e32 v6, v74
	v_cvt_f16_f32_e32 v7, v75
	;; [unrolled: 1-line block ×4, first 2 shown]
	v_cvt_f32_f16_e32 v74, v9
	v_pack_b32_f16 v6, v6, v7
	v_cvt_f32_f16_sdwa v75, v9 dst_sel:DWORD dst_unused:UNUSED_PAD src0_sel:WORD_1
	v_pack_b32_f16 v7, v33, v37
	ds_read_u16 v33, v124 offset:480
	v_cvt_f32_f16_e32 v76, v8
	v_cvt_f32_f16_sdwa v77, v8 dst_sel:DWORD dst_unused:UNUSED_PAD src0_sel:WORD_1
	v_perm_b32 v8, v35, v29, s38
	s_waitcnt lgkmcnt(0)
	v_perm_b32 v9, v31, v33, s38
	ds_read_u16 v33, v120 offset:3872
	ds_read_u16 v35, v69 offset:4112
	ds_read_u16 v37, v125 offset:480
	ds_read_u16 v57, v73 offset:3872
	v_mfma_f32_16x16x16f16 v[74:77], v[8:9], v[16:17], v[74:77]
	s_nop 7
	s_nop 2
	v_cvt_f16_f32_e32 v8, v74
	v_cvt_f16_f32_e32 v9, v75
	v_cvt_f16_f32_e32 v29, v76
	v_cvt_f16_f32_e32 v31, v77
	v_cvt_f32_f16_e32 v74, v8
	v_cvt_f32_f16_e32 v75, v9
	s_waitcnt lgkmcnt(0)
	v_perm_b32 v9, v57, v37, s38
	v_perm_b32 v8, v35, v33, s38
	v_cvt_f32_f16_e32 v76, v29
	v_cvt_f32_f16_e32 v77, v31
	ds_read_u16 v33, v120 offset:7712
	ds_read_u16 v35, v69 offset:7952
	ds_read_u16 v37, v126 offset:480
	ds_read_u16 v57, v73 offset:7712
	v_mfma_f32_16x16x16f16 v[74:77], v[8:9], v[14:15], v[74:77]
	s_nop 7
	s_nop 2
	v_cvt_f16_f32_e32 v8, v74
	v_cvt_f16_f32_e32 v9, v75
	v_cvt_f16_f32_e32 v29, v76
	v_cvt_f16_f32_e32 v31, v77
	v_cvt_f32_f16_e32 v74, v8
	v_cvt_f32_f16_e32 v75, v9
	s_waitcnt lgkmcnt(0)
	v_perm_b32 v9, v57, v37, s38
	v_perm_b32 v8, v35, v33, s38
	v_cvt_f32_f16_e32 v76, v29
	v_cvt_f32_f16_e32 v77, v31
	ds_read_u16 v33, v120 offset:11552
	ds_read_u16 v35, v69 offset:11792
	ds_read_u16 v37, v127 offset:480
	ds_read_u16 v57, v73 offset:11552
	v_mfma_f32_16x16x16f16 v[74:77], v[8:9], v[12:13], v[74:77]
	s_nop 7
	s_nop 2
	v_cvt_f16_f32_e32 v8, v74
	v_cvt_f16_f32_e32 v9, v75
	v_cvt_f16_f32_e32 v29, v76
	v_cvt_f16_f32_e32 v31, v77
	v_cvt_f32_f16_e32 v74, v8
	v_cvt_f32_f16_e32 v75, v9
	s_waitcnt lgkmcnt(0)
	v_perm_b32 v9, v57, v37, s38
	v_perm_b32 v8, v35, v33, s38
	v_cvt_f32_f16_e32 v76, v29
	v_cvt_f32_f16_e32 v77, v31
	s_nop 1
	v_mfma_f32_16x16x16f16 v[74:77], v[8:9], v[4:5], v[74:77]
	s_nop 7
	s_nop 2
	v_cvt_f16_f32_e32 v8, v74
	v_cvt_f16_f32_e32 v9, v75
	;; [unrolled: 1-line block ×4, first 2 shown]
	v_cvt_f32_f16_e32 v74, v11
	v_pack_b32_f16 v8, v8, v9
	v_cvt_f32_f16_sdwa v75, v11 dst_sel:DWORD dst_unused:UNUSED_PAD src0_sel:WORD_1
	v_pack_b32_f16 v9, v29, v31
	ds_read_u16 v29, v120 offset:64
	ds_read_u16 v31, v69 offset:304
	;; [unrolled: 1-line block ×4, first 2 shown]
	v_cvt_f32_f16_e32 v76, v10
	v_cvt_f32_f16_sdwa v77, v10 dst_sel:DWORD dst_unused:UNUSED_PAD src0_sel:WORD_1
	s_waitcnt lgkmcnt(2)
	v_perm_b32 v10, v31, v29, s38
	s_waitcnt lgkmcnt(0)
	v_perm_b32 v11, v35, v33, s38
	ds_read_u16 v33, v120 offset:3904
	ds_read_u16 v35, v69 offset:4144
	ds_read_u16 v37, v129 offset:480
	ds_read_u16 v57, v73 offset:3904
	v_mfma_f32_16x16x16f16 v[74:77], v[10:11], v[16:17], v[74:77]
	s_nop 7
	s_nop 2
	v_cvt_f16_f32_e32 v10, v74
	v_cvt_f16_f32_e32 v11, v75
	v_cvt_f16_f32_e32 v29, v76
	v_cvt_f16_f32_e32 v31, v77
	v_cvt_f32_f16_e32 v74, v10
	v_cvt_f32_f16_e32 v75, v11
	s_waitcnt lgkmcnt(0)
	v_perm_b32 v11, v57, v37, s38
	v_perm_b32 v10, v35, v33, s38
	v_cvt_f32_f16_e32 v76, v29
	v_cvt_f32_f16_e32 v77, v31
	ds_read_u16 v33, v120 offset:7744
	ds_read_u16 v35, v69 offset:7984
	ds_read_u16 v37, v130 offset:480
	ds_read_u16 v57, v73 offset:7744
	v_mfma_f32_16x16x16f16 v[74:77], v[10:11], v[14:15], v[74:77]
	s_nop 7
	s_nop 2
	v_cvt_f16_f32_e32 v10, v74
	v_cvt_f16_f32_e32 v11, v75
	v_cvt_f16_f32_e32 v29, v76
	v_cvt_f16_f32_e32 v31, v77
	v_cvt_f32_f16_e32 v74, v10
	v_cvt_f32_f16_e32 v75, v11
	s_waitcnt lgkmcnt(0)
	v_perm_b32 v11, v57, v37, s38
	v_perm_b32 v10, v35, v33, s38
	v_cvt_f32_f16_e32 v76, v29
	v_cvt_f32_f16_e32 v77, v31
	;; [unrolled: 18-line block ×3, first 2 shown]
	s_nop 1
	v_mfma_f32_16x16x16f16 v[74:77], v[10:11], v[4:5], v[74:77]
	s_nop 7
	s_nop 2
	v_cvt_f16_f32_e32 v10, v74
	v_cvt_f16_f32_e32 v11, v75
	;; [unrolled: 1-line block ×4, first 2 shown]
	v_cvt_f32_f16_e32 v74, v19
	v_pack_b32_f16 v10, v10, v11
	v_cvt_f32_f16_sdwa v75, v19 dst_sel:DWORD dst_unused:UNUSED_PAD src0_sel:WORD_1
	v_pack_b32_f16 v11, v29, v31
	ds_read_u16 v29, v120 offset:96
	ds_read_u16 v31, v69 offset:336
	;; [unrolled: 1-line block ×4, first 2 shown]
	v_cvt_f32_f16_e32 v76, v18
	v_cvt_f32_f16_sdwa v77, v18 dst_sel:DWORD dst_unused:UNUSED_PAD src0_sel:WORD_1
	s_waitcnt lgkmcnt(2)
	v_perm_b32 v18, v31, v29, s38
	s_waitcnt lgkmcnt(0)
	v_perm_b32 v19, v35, v33, s38
	ds_read_u16 v33, v120 offset:3936
	ds_read_u16 v35, v69 offset:4176
	ds_read_u16 v37, v133 offset:480
	ds_read_u16 v57, v73 offset:3936
	v_mfma_f32_16x16x16f16 v[74:77], v[18:19], v[16:17], v[74:77]
	s_nop 7
	s_nop 2
	v_cvt_f16_f32_e32 v18, v74
	v_cvt_f16_f32_e32 v19, v75
	v_cvt_f16_f32_e32 v29, v76
	v_cvt_f16_f32_e32 v31, v77
	v_cvt_f32_f16_e32 v74, v18
	v_cvt_f32_f16_e32 v75, v19
	s_waitcnt lgkmcnt(0)
	v_perm_b32 v19, v57, v37, s38
	v_perm_b32 v18, v35, v33, s38
	v_cvt_f32_f16_e32 v76, v29
	v_cvt_f32_f16_e32 v77, v31
	ds_read_u16 v33, v120 offset:7776
	ds_read_u16 v35, v69 offset:8016
	ds_read_u16 v37, v134 offset:480
	ds_read_u16 v57, v73 offset:7776
	v_mfma_f32_16x16x16f16 v[74:77], v[18:19], v[14:15], v[74:77]
	s_nop 7
	s_nop 2
	v_cvt_f16_f32_e32 v18, v74
	v_cvt_f16_f32_e32 v19, v75
	v_cvt_f16_f32_e32 v29, v76
	v_cvt_f16_f32_e32 v31, v77
	v_cvt_f32_f16_e32 v74, v18
	v_cvt_f32_f16_e32 v75, v19
	s_waitcnt lgkmcnt(0)
	v_perm_b32 v19, v57, v37, s38
	v_perm_b32 v18, v35, v33, s38
	v_cvt_f32_f16_e32 v76, v29
	v_cvt_f32_f16_e32 v77, v31
	;; [unrolled: 18-line block ×3, first 2 shown]
	s_nop 1
	v_mfma_f32_16x16x16f16 v[74:77], v[18:19], v[4:5], v[74:77]
	s_nop 7
	s_nop 2
	v_cvt_f16_f32_e32 v18, v74
	v_cvt_f16_f32_e32 v19, v75
	;; [unrolled: 1-line block ×4, first 2 shown]
	v_cvt_f32_f16_e32 v74, v21
	v_pack_b32_f16 v18, v18, v19
	v_cvt_f32_f16_sdwa v75, v21 dst_sel:DWORD dst_unused:UNUSED_PAD src0_sel:WORD_1
	v_pack_b32_f16 v19, v29, v31
	ds_read_u16 v29, v120 offset:128
	ds_read_u16 v31, v69 offset:368
	;; [unrolled: 1-line block ×4, first 2 shown]
	v_cvt_f32_f16_e32 v76, v20
	v_cvt_f32_f16_sdwa v77, v20 dst_sel:DWORD dst_unused:UNUSED_PAD src0_sel:WORD_1
	s_waitcnt lgkmcnt(2)
	v_perm_b32 v20, v31, v29, s38
	s_waitcnt lgkmcnt(0)
	v_perm_b32 v21, v35, v33, s38
	ds_read_u16 v33, v120 offset:3968
	ds_read_u16 v35, v69 offset:4208
	ds_read_u16 v37, v137 offset:480
	ds_read_u16 v57, v73 offset:3968
	v_mfma_f32_16x16x16f16 v[74:77], v[20:21], v[16:17], v[74:77]
	s_nop 7
	s_nop 2
	v_cvt_f16_f32_e32 v20, v74
	v_cvt_f16_f32_e32 v21, v75
	v_cvt_f16_f32_e32 v29, v76
	v_cvt_f16_f32_e32 v31, v77
	v_cvt_f32_f16_e32 v74, v20
	v_cvt_f32_f16_e32 v75, v21
	s_waitcnt lgkmcnt(0)
	v_perm_b32 v21, v57, v37, s38
	v_perm_b32 v20, v35, v33, s38
	v_cvt_f32_f16_e32 v76, v29
	v_cvt_f32_f16_e32 v77, v31
	ds_read_u16 v33, v120 offset:7808
	ds_read_u16 v35, v69 offset:8048
	ds_read_u16 v37, v138 offset:480
	ds_read_u16 v57, v73 offset:7808
	v_mfma_f32_16x16x16f16 v[74:77], v[20:21], v[14:15], v[74:77]
	s_nop 7
	s_nop 2
	v_cvt_f16_f32_e32 v20, v74
	v_cvt_f16_f32_e32 v21, v75
	v_cvt_f16_f32_e32 v29, v76
	v_cvt_f16_f32_e32 v31, v77
	v_cvt_f32_f16_e32 v74, v20
	v_cvt_f32_f16_e32 v75, v21
	s_waitcnt lgkmcnt(0)
	v_perm_b32 v21, v57, v37, s38
	v_perm_b32 v20, v35, v33, s38
	v_cvt_f32_f16_e32 v76, v29
	v_cvt_f32_f16_e32 v77, v31
	;; [unrolled: 18-line block ×3, first 2 shown]
	s_nop 1
	v_mfma_f32_16x16x16f16 v[74:77], v[20:21], v[4:5], v[74:77]
	s_nop 7
	s_nop 2
	v_cvt_f16_f32_e32 v20, v74
	v_cvt_f16_f32_e32 v21, v75
	;; [unrolled: 1-line block ×4, first 2 shown]
	v_cvt_f32_f16_e32 v74, v23
	v_pack_b32_f16 v20, v20, v21
	v_cvt_f32_f16_sdwa v75, v23 dst_sel:DWORD dst_unused:UNUSED_PAD src0_sel:WORD_1
	v_pack_b32_f16 v21, v29, v31
	ds_read_u16 v29, v120 offset:160
	ds_read_u16 v31, v69 offset:400
	;; [unrolled: 1-line block ×4, first 2 shown]
	v_cvt_f32_f16_e32 v76, v22
	v_cvt_f32_f16_sdwa v77, v22 dst_sel:DWORD dst_unused:UNUSED_PAD src0_sel:WORD_1
	s_waitcnt lgkmcnt(2)
	v_perm_b32 v22, v31, v29, s38
	s_waitcnt lgkmcnt(0)
	v_perm_b32 v23, v35, v33, s38
	ds_read_u16 v33, v120 offset:4000
	ds_read_u16 v35, v69 offset:4240
	ds_read_u16 v37, v141 offset:480
	ds_read_u16 v57, v73 offset:4000
	v_mfma_f32_16x16x16f16 v[74:77], v[22:23], v[16:17], v[74:77]
	s_nop 7
	s_nop 2
	v_cvt_f16_f32_e32 v22, v74
	v_cvt_f16_f32_e32 v23, v75
	v_cvt_f16_f32_e32 v29, v76
	v_cvt_f16_f32_e32 v31, v77
	v_cvt_f32_f16_e32 v74, v22
	v_cvt_f32_f16_e32 v75, v23
	s_waitcnt lgkmcnt(0)
	v_perm_b32 v23, v57, v37, s38
	v_perm_b32 v22, v35, v33, s38
	v_cvt_f32_f16_e32 v76, v29
	v_cvt_f32_f16_e32 v77, v31
	ds_read_u16 v33, v120 offset:7840
	ds_read_u16 v35, v69 offset:8080
	ds_read_u16 v37, v142 offset:480
	ds_read_u16 v57, v73 offset:7840
	v_mfma_f32_16x16x16f16 v[74:77], v[22:23], v[14:15], v[74:77]
	s_nop 7
	s_nop 2
	v_cvt_f16_f32_e32 v22, v74
	v_cvt_f16_f32_e32 v23, v75
	v_cvt_f16_f32_e32 v29, v76
	v_cvt_f16_f32_e32 v31, v77
	v_cvt_f32_f16_e32 v74, v22
	v_cvt_f32_f16_e32 v75, v23
	s_waitcnt lgkmcnt(0)
	v_perm_b32 v23, v57, v37, s38
	v_perm_b32 v22, v35, v33, s38
	v_cvt_f32_f16_e32 v76, v29
	v_cvt_f32_f16_e32 v77, v31
	;; [unrolled: 18-line block ×3, first 2 shown]
	s_nop 1
	v_mfma_f32_16x16x16f16 v[74:77], v[22:23], v[4:5], v[74:77]
	s_nop 7
	s_nop 2
	v_cvt_f16_f32_e32 v22, v74
	v_cvt_f16_f32_e32 v23, v75
	;; [unrolled: 1-line block ×4, first 2 shown]
	v_cvt_f32_f16_e32 v74, v25
	v_pack_b32_f16 v22, v22, v23
	v_cvt_f32_f16_sdwa v75, v25 dst_sel:DWORD dst_unused:UNUSED_PAD src0_sel:WORD_1
	v_pack_b32_f16 v23, v29, v31
	ds_read_u16 v29, v120 offset:192
	ds_read_u16 v31, v69 offset:432
	;; [unrolled: 1-line block ×4, first 2 shown]
	v_cvt_f32_f16_e32 v76, v24
	v_cvt_f32_f16_sdwa v77, v24 dst_sel:DWORD dst_unused:UNUSED_PAD src0_sel:WORD_1
	s_waitcnt lgkmcnt(2)
	v_perm_b32 v24, v31, v29, s38
	s_waitcnt lgkmcnt(0)
	v_perm_b32 v25, v35, v33, s38
	ds_read_u16 v29, v120 offset:4032
	ds_read_u16 v31, v69 offset:4272
	;; [unrolled: 1-line block ×4, first 2 shown]
	v_mfma_f32_16x16x16f16 v[74:77], v[24:25], v[16:17], v[74:77]
	s_nop 7
	s_nop 2
	v_cvt_f16_f32_e32 v16, v74
	v_cvt_f16_f32_e32 v17, v75
	;; [unrolled: 1-line block ×4, first 2 shown]
	v_cvt_f32_f16_e32 v74, v16
	v_cvt_f32_f16_e32 v75, v17
	s_waitcnt lgkmcnt(0)
	v_perm_b32 v17, v35, v33, s38
	v_perm_b32 v16, v31, v29, s38
	v_cvt_f32_f16_e32 v76, v24
	v_cvt_f32_f16_e32 v77, v25
	ds_read_u16 v24, v120 offset:7872
	ds_read_u16 v29, v69 offset:8112
	;; [unrolled: 1-line block ×4, first 2 shown]
	v_mfma_f32_16x16x16f16 v[14:17], v[16:17], v[14:15], v[74:77]
	s_waitcnt lgkmcnt(2)
	v_perm_b32 v24, v29, v24, s38
	s_waitcnt lgkmcnt(0)
	v_perm_b32 v25, v31, v25, s38
	s_nop 6
	v_cvt_f16_f32_e32 v14, v14
	v_cvt_f16_f32_e32 v15, v15
	;; [unrolled: 1-line block ×4, first 2 shown]
	v_cvt_f32_f16_e32 v14, v14
	v_cvt_f32_f16_e32 v15, v15
	;; [unrolled: 1-line block ×4, first 2 shown]
	s_nop 1
	v_mfma_f32_16x16x16f16 v[14:17], v[24:25], v[12:13], v[14:17]
	s_nop 7
	s_nop 2
	v_cvt_f16_f32_e32 v13, v14
	v_cvt_f16_f32_e32 v14, v15
	;; [unrolled: 1-line block ×4, first 2 shown]
	ds_read_u16 v12, v120 offset:11712
	ds_read_u16 v17, v69 offset:11952
	;; [unrolled: 1-line block ×4, first 2 shown]
	v_cvt_f32_f16_e32 v74, v13
	v_cvt_f32_f16_e32 v75, v14
	s_waitcnt lgkmcnt(2)
	v_perm_b32 v12, v17, v12, s38
	v_cvt_f32_f16_e32 v76, v15
	s_waitcnt lgkmcnt(0)
	v_perm_b32 v13, v25, v24, s38
	v_cvt_f32_f16_e32 v77, v16
	s_barrier
	s_nop 0
	v_mfma_f32_16x16x16f16 v[12:15], v[12:13], v[4:5], v[74:77]
	s_nop 7
	s_nop 2
	v_cvt_f16_f32_e32 v4, v12
	v_cvt_f16_f32_e32 v5, v13
	;; [unrolled: 1-line block ×4, first 2 shown]
	v_pack_b32_f16 v4, v4, v5
	v_pack_b32_f16 v5, v12, v13
	ds_bpermute_b32 v12, v27, v3
	s_waitcnt lgkmcnt(0)
	v_add_f32_e32 v3, v3, v12
	ds_bpermute_b32 v1, v1, v3
	s_waitcnt lgkmcnt(0)
	v_add_f32_e32 v3, v3, v1
	s_cbranch_scc0 .LBB19_298
; %bb.229:                              ;   in Loop: Header=BB19_13 Depth=1
	v_lshlrev_b32_e32 v1, 2, v36
	global_load_dword v1, v1, s[72:73]
	v_max_f32_e32 v12, v2, v2
	s_waitcnt vmcnt(0)
	v_max_f32_e32 v13, v1, v1
	v_max_f32_e32 v12, v12, v13
	v_sub_f32_e32 v13, v2, v12
	v_sub_f32_e32 v1, v1, v12
	v_mul_f32_e32 v14, 0x3fb8aa3b, v13
	v_mul_f32_e32 v15, 0x3fb8aa3b, v1
	v_fma_f32 v16, v13, s45, -v14
	v_rndne_f32_e32 v17, v14
	v_fma_f32 v24, v1, s45, -v15
	v_rndne_f32_e32 v25, v15
	v_fmac_f32_e32 v16, 0x32a5705f, v13
	v_sub_f32_e32 v14, v14, v17
	v_fmac_f32_e32 v24, 0x32a5705f, v1
	v_sub_f32_e32 v15, v15, v25
	v_add_f32_e32 v14, v14, v16
	v_cvt_i32_f32_e32 v17, v17
	v_add_f32_e32 v15, v15, v24
	v_exp_f32_e32 v14, v14
	v_cvt_i32_f32_e32 v25, v25
	v_exp_f32_e32 v15, v15
	v_cmp_ngt_f32_e32 vcc, s65, v13
	v_ldexp_f32 v14, v14, v17
	v_cndmask_b32_e32 v14, 0, v14, vcc
	v_ldexp_f32 v15, v15, v25
	v_cmp_ngt_f32_e32 vcc, s65, v1
	v_cndmask_b32_e32 v15, 0, v15, vcc
	v_cmp_nlt_f32_e32 vcc, s52, v13
	v_cndmask_b32_e32 v14, v197, v14, vcc
	v_cmp_le_f32_e32 vcc, s53, v13
	v_cndmask_b32_e32 v14, 0, v14, vcc
	v_cvt_f16_f32_e32 v27, v14
	v_cmp_nlt_f32_e32 vcc, s52, v1
	v_cndmask_b32_e32 v13, v197, v15, vcc
	v_fmac_f32_e32 v13, v3, v14
	v_pk_mul_f16 v14, v27, v6 op_sel_hi:[0,1]
	v_pk_mul_f16 v15, v27, v7 op_sel_hi:[0,1]
	;; [unrolled: 1-line block ×14, first 2 shown]
	s_cbranch_execnz .LBB19_231
.LBB19_230:                             ;   in Loop: Header=BB19_13 Depth=1
	v_pk_mov_b32 v[78:79], v[22:23], v[22:23] op_sel:[0,1]
	v_pk_mov_b32 v[76:77], v[20:21], v[20:21] op_sel:[0,1]
	v_pk_mov_b32 v[74:75], v[18:19], v[18:19] op_sel:[0,1]
	v_pk_mov_b32 v[24:25], v[10:11], v[10:11] op_sel:[0,1]
	v_pk_mov_b32 v[16:17], v[8:9], v[8:9] op_sel:[0,1]
	v_pk_mov_b32 v[14:15], v[6:7], v[6:7] op_sel:[0,1]
	v_pk_mov_b32 v[80:81], v[4:5], v[4:5] op_sel:[0,1]
	v_pk_mov_b32 v[12:13], v[2:3], v[2:3] op_sel:[0,1]
.LBB19_231:                             ;   in Loop: Header=BB19_13 Depth=1
	s_mov_b64 s[4:5], exec
	v_readlane_b32 s42, v238, 29
	v_readlane_b32 s43, v238, 30
	s_and_b64 s[42:43], s[4:5], s[42:43]
	s_mov_b64 exec, s[42:43]
	s_cbranch_execz .LBB19_233
; %bb.232:                              ;   in Loop: Header=BB19_13 Depth=1
	ds_write2_b32 v186, v12, v13 offset0:56 offset1:57
.LBB19_233:                             ;   in Loop: Header=BB19_13 Depth=1
	s_or_b64 exec, exec, s[4:5]
	v_mov_b32_e32 v1, 50
	s_waitcnt lgkmcnt(0)
	s_barrier
	ds_write2_b32 v188, v14, v15 offset1:1
	ds_write2_b32 v188, v16, v17 offset0:8 offset1:9
	ds_write2_b32 v188, v24, v25 offset0:16 offset1:17
	ds_write2_b32 v188, v74, v75 offset0:24 offset1:25
	ds_write2_b32 v188, v76, v77 offset0:32 offset1:33
	ds_write2_b32 v188, v78, v79 offset0:40 offset1:41
	ds_write2_b32 v188, v80, v81 offset0:48 offset1:49
	s_waitcnt lgkmcnt(0)
	s_barrier
	s_and_saveexec_b64 s[4:5], s[34:35]
	s_cbranch_execz .LBB19_235
; %bb.234:                              ;   in Loop: Header=BB19_13 Depth=1
	ds_read_b32 v1, v166 offset:228
	ds_read_b32 v4, v165
	v_mad_u64_u32 v[2:3], s[34:35], v209, s29, v[68:69]
	v_mad_u64_u32 v[2:3], s[34:35], v2, 56, v[62:63]
	v_ashrrev_i32_e32 v3, 31, v2
	v_lshlrev_b64 v[2:3], 3, v[2:3]
	v_add_co_u32_e32 v2, vcc, s2, v2
	v_mov_b32_e32 v5, s3
	v_addc_co_u32_e32 v3, vcc, v5, v3, vcc
	s_waitcnt lgkmcnt(0)
	v_cvt_f32_f16_sdwa v5, v4 dst_sel:DWORD dst_unused:UNUSED_PAD src0_sel:WORD_1
	v_cvt_f32_f16_e32 v4, v4
	v_pk_add_f32 v[4:5], v[4:5], 0 op_sel_hi:[1,0]
	v_div_scale_f32 v6, s[34:35], v1, v1, v5
	v_rcp_f32_e32 v7, v6
	v_fma_f32 v8, -v6, v7, 1.0
	v_fmac_f32_e32 v7, v8, v7
	v_div_scale_f32 v8, vcc, v5, v1, v5
	v_mul_f32_e32 v9, v8, v7
	v_fma_f32 v10, -v6, v9, v8
	v_fmac_f32_e32 v9, v10, v7
	v_fma_f32 v6, -v6, v9, v8
	v_div_fmas_f32 v6, v6, v7, v9
	v_div_fixup_f32 v5, v6, v1, v5
	v_div_scale_f32 v6, s[34:35], v1, v1, v4
	v_rcp_f32_e32 v7, v6
	v_fma_f32 v8, -v6, v7, 1.0
	v_fmac_f32_e32 v7, v8, v7
	v_div_scale_f32 v8, vcc, v4, v1, v4
	v_mul_f32_e32 v9, v8, v7
	v_fma_f32 v10, -v6, v9, v8
	v_fmac_f32_e32 v9, v10, v7
	v_fma_f32 v6, -v6, v9, v8
	v_div_fmas_f32 v6, v6, v7, v9
	v_div_fixup_f32 v4, v6, v1, v4
	v_mov_b32_e32 v1, 0
	global_store_dwordx2 v[2:3], v[4:5], off
.LBB19_235:                             ;   in Loop: Header=BB19_13 Depth=1
	s_or_b64 exec, exec, s[4:5]
	v_cmp_gt_i32_e32 vcc, 50, v1
	s_mov_b64 s[34:35], -1
	s_and_saveexec_b64 s[4:5], vcc
; %bb.236:                              ;   in Loop: Header=BB19_13 Depth=1
	v_cmp_eq_u32_e32 vcc, 0, v1
	s_orn2_b64 s[34:35], vcc, exec
; %bb.237:                              ;   in Loop: Header=BB19_13 Depth=1
	s_or_b64 exec, exec, s[4:5]
	s_and_saveexec_b64 s[4:5], s[34:35]
	s_cbranch_execz .LBB19_270
; %bb.238:                              ;   in Loop: Header=BB19_13 Depth=1
	v_mov_b32_e32 v1, 50
	s_and_saveexec_b64 s[34:35], s[56:57]
	s_cbranch_execz .LBB19_240
; %bb.239:                              ;   in Loop: Header=BB19_13 Depth=1
	ds_read_b32 v1, v166 offset:2148
	ds_read_b32 v4, v165 offset:1920
	v_mad_u64_u32 v[2:3], s[42:43], v208, s29, v[68:69]
	v_mad_u64_u32 v[2:3], s[42:43], v2, 56, v[62:63]
	v_ashrrev_i32_e32 v3, 31, v2
	v_lshlrev_b64 v[2:3], 3, v[2:3]
	v_add_co_u32_e32 v2, vcc, s2, v2
	v_mov_b32_e32 v5, s3
	v_addc_co_u32_e32 v3, vcc, v5, v3, vcc
	s_waitcnt lgkmcnt(0)
	v_cvt_f32_f16_sdwa v5, v4 dst_sel:DWORD dst_unused:UNUSED_PAD src0_sel:WORD_1
	v_cvt_f32_f16_e32 v4, v4
	v_pk_add_f32 v[4:5], v[4:5], 0 op_sel_hi:[1,0]
	v_div_scale_f32 v6, s[42:43], v1, v1, v5
	v_rcp_f32_e32 v7, v6
	v_fma_f32 v8, -v6, v7, 1.0
	v_fmac_f32_e32 v7, v8, v7
	v_div_scale_f32 v8, vcc, v5, v1, v5
	v_mul_f32_e32 v9, v8, v7
	v_fma_f32 v10, -v6, v9, v8
	v_fmac_f32_e32 v9, v10, v7
	v_fma_f32 v6, -v6, v9, v8
	v_div_fmas_f32 v6, v6, v7, v9
	v_div_fixup_f32 v5, v6, v1, v5
	v_div_scale_f32 v6, s[42:43], v1, v1, v4
	v_rcp_f32_e32 v7, v6
	v_fma_f32 v8, -v6, v7, 1.0
	v_fmac_f32_e32 v7, v8, v7
	v_div_scale_f32 v8, vcc, v4, v1, v4
	v_mul_f32_e32 v9, v8, v7
	v_fma_f32 v10, -v6, v9, v8
	v_fmac_f32_e32 v9, v10, v7
	v_fma_f32 v6, -v6, v9, v8
	v_div_fmas_f32 v6, v6, v7, v9
	v_div_fixup_f32 v4, v6, v1, v4
	v_mov_b32_e32 v1, 0
	global_store_dwordx2 v[2:3], v[4:5], off
.LBB19_240:                             ;   in Loop: Header=BB19_13 Depth=1
	s_or_b64 exec, exec, s[34:35]
	v_cmp_gt_i32_e32 vcc, 50, v1
	s_mov_b64 s[34:35], -1
	s_and_saveexec_b64 s[56:57], vcc
; %bb.241:                              ;   in Loop: Header=BB19_13 Depth=1
	v_cmp_eq_u32_e32 vcc, 0, v1
	s_orn2_b64 s[34:35], vcc, exec
; %bb.242:                              ;   in Loop: Header=BB19_13 Depth=1
	s_or_b64 exec, exec, s[56:57]
	s_and_b64 exec, exec, s[34:35]
	s_cbranch_execz .LBB19_270
; %bb.243:                              ;   in Loop: Header=BB19_13 Depth=1
	v_mov_b32_e32 v1, 50
	s_and_saveexec_b64 s[34:35], s[94:95]
	s_cbranch_execz .LBB19_245
; %bb.244:                              ;   in Loop: Header=BB19_13 Depth=1
	ds_read_b32 v1, v168 offset:228
	ds_read_b32 v4, v167
	v_mad_u64_u32 v[2:3], s[42:43], v207, s29, v[68:69]
	v_mad_u64_u32 v[2:3], s[42:43], v2, 56, v[62:63]
	v_ashrrev_i32_e32 v3, 31, v2
	v_lshlrev_b64 v[2:3], 3, v[2:3]
	v_add_co_u32_e32 v2, vcc, s2, v2
	v_mov_b32_e32 v5, s3
	v_addc_co_u32_e32 v3, vcc, v5, v3, vcc
	s_waitcnt lgkmcnt(0)
	v_cvt_f32_f16_sdwa v5, v4 dst_sel:DWORD dst_unused:UNUSED_PAD src0_sel:WORD_1
	v_cvt_f32_f16_e32 v4, v4
	v_pk_add_f32 v[4:5], v[4:5], 0 op_sel_hi:[1,0]
	v_div_scale_f32 v6, s[42:43], v1, v1, v5
	v_rcp_f32_e32 v7, v6
	v_fma_f32 v8, -v6, v7, 1.0
	v_fmac_f32_e32 v7, v8, v7
	v_div_scale_f32 v8, vcc, v5, v1, v5
	v_mul_f32_e32 v9, v8, v7
	v_fma_f32 v10, -v6, v9, v8
	v_fmac_f32_e32 v9, v10, v7
	v_fma_f32 v6, -v6, v9, v8
	v_div_fmas_f32 v6, v6, v7, v9
	v_div_fixup_f32 v5, v6, v1, v5
	v_div_scale_f32 v6, s[42:43], v1, v1, v4
	v_rcp_f32_e32 v7, v6
	v_fma_f32 v8, -v6, v7, 1.0
	v_fmac_f32_e32 v7, v8, v7
	v_div_scale_f32 v8, vcc, v4, v1, v4
	v_mul_f32_e32 v9, v8, v7
	v_fma_f32 v10, -v6, v9, v8
	v_fmac_f32_e32 v9, v10, v7
	v_fma_f32 v6, -v6, v9, v8
	v_div_fmas_f32 v6, v6, v7, v9
	v_div_fixup_f32 v4, v6, v1, v4
	v_mov_b32_e32 v1, 0
	global_store_dwordx2 v[2:3], v[4:5], off
.LBB19_245:                             ;   in Loop: Header=BB19_13 Depth=1
	s_or_b64 exec, exec, s[34:35]
	v_cmp_gt_i32_e32 vcc, 50, v1
	s_mov_b64 s[34:35], -1
	s_and_saveexec_b64 s[56:57], vcc
; %bb.246:                              ;   in Loop: Header=BB19_13 Depth=1
	v_cmp_eq_u32_e32 vcc, 0, v1
	s_orn2_b64 s[34:35], vcc, exec
; %bb.247:                              ;   in Loop: Header=BB19_13 Depth=1
	s_or_b64 exec, exec, s[56:57]
	s_and_b64 exec, exec, s[34:35]
	s_cbranch_execz .LBB19_270
; %bb.248:                              ;   in Loop: Header=BB19_13 Depth=1
	v_mov_b32_e32 v1, 50
	s_and_saveexec_b64 s[34:35], s[92:93]
	s_cbranch_execz .LBB19_250
; %bb.249:                              ;   in Loop: Header=BB19_13 Depth=1
	ds_read_b32 v1, v166 offset:5988
	ds_read_b32 v4, v165 offset:5760
	v_mad_u64_u32 v[2:3], s[42:43], v206, s29, v[68:69]
	v_mad_u64_u32 v[2:3], s[42:43], v2, 56, v[62:63]
	v_ashrrev_i32_e32 v3, 31, v2
	v_lshlrev_b64 v[2:3], 3, v[2:3]
	v_add_co_u32_e32 v2, vcc, s2, v2
	v_mov_b32_e32 v5, s3
	v_addc_co_u32_e32 v3, vcc, v5, v3, vcc
	s_waitcnt lgkmcnt(0)
	v_cvt_f32_f16_sdwa v5, v4 dst_sel:DWORD dst_unused:UNUSED_PAD src0_sel:WORD_1
	v_cvt_f32_f16_e32 v4, v4
	v_pk_add_f32 v[4:5], v[4:5], 0 op_sel_hi:[1,0]
	v_div_scale_f32 v6, s[42:43], v1, v1, v5
	v_rcp_f32_e32 v7, v6
	v_fma_f32 v8, -v6, v7, 1.0
	v_fmac_f32_e32 v7, v8, v7
	v_div_scale_f32 v8, vcc, v5, v1, v5
	v_mul_f32_e32 v9, v8, v7
	v_fma_f32 v10, -v6, v9, v8
	v_fmac_f32_e32 v9, v10, v7
	v_fma_f32 v6, -v6, v9, v8
	v_div_fmas_f32 v6, v6, v7, v9
	v_div_fixup_f32 v5, v6, v1, v5
	v_div_scale_f32 v6, s[42:43], v1, v1, v4
	v_rcp_f32_e32 v7, v6
	v_fma_f32 v8, -v6, v7, 1.0
	v_fmac_f32_e32 v7, v8, v7
	v_div_scale_f32 v8, vcc, v4, v1, v4
	v_mul_f32_e32 v9, v8, v7
	v_fma_f32 v10, -v6, v9, v8
	v_fmac_f32_e32 v9, v10, v7
	v_fma_f32 v6, -v6, v9, v8
	v_div_fmas_f32 v6, v6, v7, v9
	v_div_fixup_f32 v4, v6, v1, v4
	v_mov_b32_e32 v1, 0
	global_store_dwordx2 v[2:3], v[4:5], off
.LBB19_250:                             ;   in Loop: Header=BB19_13 Depth=1
	s_or_b64 exec, exec, s[34:35]
	v_cmp_gt_i32_e32 vcc, 50, v1
	s_mov_b64 s[34:35], -1
	s_and_saveexec_b64 s[56:57], vcc
; %bb.251:                              ;   in Loop: Header=BB19_13 Depth=1
	v_cmp_eq_u32_e32 vcc, 0, v1
	s_orn2_b64 s[34:35], vcc, exec
; %bb.252:                              ;   in Loop: Header=BB19_13 Depth=1
	s_or_b64 exec, exec, s[56:57]
	s_and_b64 exec, exec, s[34:35]
	s_cbranch_execz .LBB19_270
; %bb.253:                              ;   in Loop: Header=BB19_13 Depth=1
	v_mov_b32_e32 v1, 50
	s_mov_b64 s[34:35], exec
	v_readlane_b32 s42, v238, 40
	v_readlane_b32 s43, v238, 41
	s_and_b64 s[42:43], s[34:35], s[42:43]
	s_mov_b64 exec, s[42:43]
	s_cbranch_execz .LBB19_255
; %bb.254:                              ;   in Loop: Header=BB19_13 Depth=1
	ds_read_b32 v1, v170 offset:228
	ds_read_b32 v4, v169
	v_mad_u64_u32 v[2:3], s[42:43], v205, s29, v[68:69]
	v_mad_u64_u32 v[2:3], s[42:43], v2, 56, v[62:63]
	v_ashrrev_i32_e32 v3, 31, v2
	v_lshlrev_b64 v[2:3], 3, v[2:3]
	v_add_co_u32_e32 v2, vcc, s2, v2
	v_mov_b32_e32 v5, s3
	v_addc_co_u32_e32 v3, vcc, v5, v3, vcc
	s_waitcnt lgkmcnt(0)
	v_cvt_f32_f16_sdwa v5, v4 dst_sel:DWORD dst_unused:UNUSED_PAD src0_sel:WORD_1
	v_cvt_f32_f16_e32 v4, v4
	v_pk_add_f32 v[4:5], v[4:5], 0 op_sel_hi:[1,0]
	v_div_scale_f32 v6, s[42:43], v1, v1, v5
	v_rcp_f32_e32 v7, v6
	v_fma_f32 v8, -v6, v7, 1.0
	v_fmac_f32_e32 v7, v8, v7
	v_div_scale_f32 v8, vcc, v5, v1, v5
	v_mul_f32_e32 v9, v8, v7
	v_fma_f32 v10, -v6, v9, v8
	v_fmac_f32_e32 v9, v10, v7
	v_fma_f32 v6, -v6, v9, v8
	v_div_fmas_f32 v6, v6, v7, v9
	v_div_fixup_f32 v5, v6, v1, v5
	v_div_scale_f32 v6, s[42:43], v1, v1, v4
	v_rcp_f32_e32 v7, v6
	v_fma_f32 v8, -v6, v7, 1.0
	v_fmac_f32_e32 v7, v8, v7
	v_div_scale_f32 v8, vcc, v4, v1, v4
	v_mul_f32_e32 v9, v8, v7
	v_fma_f32 v10, -v6, v9, v8
	v_fmac_f32_e32 v9, v10, v7
	v_fma_f32 v6, -v6, v9, v8
	v_div_fmas_f32 v6, v6, v7, v9
	v_div_fixup_f32 v4, v6, v1, v4
	v_mov_b32_e32 v1, 0
	global_store_dwordx2 v[2:3], v[4:5], off
.LBB19_255:                             ;   in Loop: Header=BB19_13 Depth=1
	s_or_b64 exec, exec, s[34:35]
	v_cmp_gt_i32_e32 vcc, 50, v1
	s_mov_b64 s[34:35], -1
	s_and_saveexec_b64 s[56:57], vcc
; %bb.256:                              ;   in Loop: Header=BB19_13 Depth=1
	v_cmp_eq_u32_e32 vcc, 0, v1
	s_orn2_b64 s[34:35], vcc, exec
; %bb.257:                              ;   in Loop: Header=BB19_13 Depth=1
	s_or_b64 exec, exec, s[56:57]
	s_and_b64 exec, exec, s[34:35]
	s_cbranch_execz .LBB19_270
; %bb.258:                              ;   in Loop: Header=BB19_13 Depth=1
	v_mov_b32_e32 v1, 50
	s_mov_b64 s[34:35], exec
	v_readlane_b32 s42, v238, 42
	v_readlane_b32 s43, v238, 43
	s_and_b64 s[42:43], s[34:35], s[42:43]
	s_mov_b64 exec, s[42:43]
	s_cbranch_execz .LBB19_260
; %bb.259:                              ;   in Loop: Header=BB19_13 Depth=1
	ds_read_b32 v1, v166 offset:9828
	ds_read_b32 v4, v165 offset:9600
	v_mad_u64_u32 v[2:3], s[42:43], v204, s29, v[68:69]
	v_mad_u64_u32 v[2:3], s[42:43], v2, 56, v[62:63]
	v_ashrrev_i32_e32 v3, 31, v2
	v_lshlrev_b64 v[2:3], 3, v[2:3]
	v_add_co_u32_e32 v2, vcc, s2, v2
	v_mov_b32_e32 v5, s3
	v_addc_co_u32_e32 v3, vcc, v5, v3, vcc
	s_waitcnt lgkmcnt(0)
	v_cvt_f32_f16_sdwa v5, v4 dst_sel:DWORD dst_unused:UNUSED_PAD src0_sel:WORD_1
	v_cvt_f32_f16_e32 v4, v4
	v_pk_add_f32 v[4:5], v[4:5], 0 op_sel_hi:[1,0]
	v_div_scale_f32 v6, s[42:43], v1, v1, v5
	v_rcp_f32_e32 v7, v6
	v_fma_f32 v8, -v6, v7, 1.0
	v_fmac_f32_e32 v7, v8, v7
	v_div_scale_f32 v8, vcc, v5, v1, v5
	v_mul_f32_e32 v9, v8, v7
	v_fma_f32 v10, -v6, v9, v8
	v_fmac_f32_e32 v9, v10, v7
	v_fma_f32 v6, -v6, v9, v8
	v_div_fmas_f32 v6, v6, v7, v9
	v_div_fixup_f32 v5, v6, v1, v5
	v_div_scale_f32 v6, s[42:43], v1, v1, v4
	v_rcp_f32_e32 v7, v6
	v_fma_f32 v8, -v6, v7, 1.0
	v_fmac_f32_e32 v7, v8, v7
	v_div_scale_f32 v8, vcc, v4, v1, v4
	v_mul_f32_e32 v9, v8, v7
	v_fma_f32 v10, -v6, v9, v8
	v_fmac_f32_e32 v9, v10, v7
	v_fma_f32 v6, -v6, v9, v8
	v_div_fmas_f32 v6, v6, v7, v9
	v_div_fixup_f32 v4, v6, v1, v4
	v_mov_b32_e32 v1, 0
	global_store_dwordx2 v[2:3], v[4:5], off
.LBB19_260:                             ;   in Loop: Header=BB19_13 Depth=1
	s_or_b64 exec, exec, s[34:35]
	v_cmp_gt_i32_e32 vcc, 50, v1
	s_mov_b64 s[34:35], -1
	s_and_saveexec_b64 s[56:57], vcc
; %bb.261:                              ;   in Loop: Header=BB19_13 Depth=1
	v_cmp_eq_u32_e32 vcc, 0, v1
	s_orn2_b64 s[34:35], vcc, exec
; %bb.262:                              ;   in Loop: Header=BB19_13 Depth=1
	s_or_b64 exec, exec, s[56:57]
	s_and_b64 exec, exec, s[34:35]
	s_cbranch_execz .LBB19_270
; %bb.263:                              ;   in Loop: Header=BB19_13 Depth=1
	v_mov_b32_e32 v1, 50
	s_mov_b64 s[34:35], exec
	v_readlane_b32 s42, v238, 44
	v_readlane_b32 s43, v238, 45
	s_and_b64 s[42:43], s[34:35], s[42:43]
	s_mov_b64 exec, s[42:43]
	s_cbranch_execz .LBB19_265
; %bb.264:                              ;   in Loop: Header=BB19_13 Depth=1
	ds_read_b32 v1, v172 offset:228
	ds_read_b32 v4, v171
	v_mad_u64_u32 v[2:3], s[42:43], v203, s29, v[68:69]
	v_mad_u64_u32 v[2:3], s[42:43], v2, 56, v[62:63]
	v_ashrrev_i32_e32 v3, 31, v2
	v_lshlrev_b64 v[2:3], 3, v[2:3]
	v_add_co_u32_e32 v2, vcc, s2, v2
	v_mov_b32_e32 v5, s3
	v_addc_co_u32_e32 v3, vcc, v5, v3, vcc
	s_waitcnt lgkmcnt(0)
	v_cvt_f32_f16_sdwa v5, v4 dst_sel:DWORD dst_unused:UNUSED_PAD src0_sel:WORD_1
	v_cvt_f32_f16_e32 v4, v4
	v_pk_add_f32 v[4:5], v[4:5], 0 op_sel_hi:[1,0]
	v_div_scale_f32 v6, s[42:43], v1, v1, v5
	v_rcp_f32_e32 v7, v6
	v_fma_f32 v8, -v6, v7, 1.0
	v_fmac_f32_e32 v7, v8, v7
	v_div_scale_f32 v8, vcc, v5, v1, v5
	v_mul_f32_e32 v9, v8, v7
	v_fma_f32 v10, -v6, v9, v8
	v_fmac_f32_e32 v9, v10, v7
	v_fma_f32 v6, -v6, v9, v8
	v_div_fmas_f32 v6, v6, v7, v9
	v_div_fixup_f32 v5, v6, v1, v5
	v_div_scale_f32 v6, s[42:43], v1, v1, v4
	v_rcp_f32_e32 v7, v6
	v_fma_f32 v8, -v6, v7, 1.0
	v_fmac_f32_e32 v7, v8, v7
	v_div_scale_f32 v8, vcc, v4, v1, v4
	v_mul_f32_e32 v9, v8, v7
	v_fma_f32 v10, -v6, v9, v8
	v_fmac_f32_e32 v9, v10, v7
	v_fma_f32 v6, -v6, v9, v8
	v_div_fmas_f32 v6, v6, v7, v9
	v_div_fixup_f32 v4, v6, v1, v4
	v_mov_b32_e32 v1, 0
	global_store_dwordx2 v[2:3], v[4:5], off
.LBB19_265:                             ;   in Loop: Header=BB19_13 Depth=1
	s_or_b64 exec, exec, s[34:35]
	v_cmp_gt_i32_e32 vcc, 50, v1
	s_mov_b64 s[34:35], -1
	s_and_saveexec_b64 s[56:57], vcc
; %bb.266:                              ;   in Loop: Header=BB19_13 Depth=1
	v_cmp_eq_u32_e32 vcc, 0, v1
	s_orn2_b64 s[34:35], vcc, exec
; %bb.267:                              ;   in Loop: Header=BB19_13 Depth=1
	s_or_b64 exec, exec, s[56:57]
	s_and_b64 exec, exec, s[34:35]
	s_cbranch_execz .LBB19_270
; %bb.268:                              ;   in Loop: Header=BB19_13 Depth=1
	v_readlane_b32 s34, v238, 46
	v_readlane_b32 s35, v238, 47
	s_and_b64 exec, exec, s[34:35]
	s_cbranch_execz .LBB19_270
; %bb.269:                              ;   in Loop: Header=BB19_13 Depth=1
	ds_read_b32 v1, v166 offset:13668
	ds_read_b32 v4, v165 offset:13440
	v_mad_u64_u32 v[2:3], s[34:35], v202, s29, v[68:69]
	v_mad_u64_u32 v[2:3], s[34:35], v2, 56, v[62:63]
	v_ashrrev_i32_e32 v3, 31, v2
	v_lshlrev_b64 v[2:3], 3, v[2:3]
	v_add_co_u32_e32 v2, vcc, s2, v2
	v_mov_b32_e32 v5, s3
	v_addc_co_u32_e32 v3, vcc, v5, v3, vcc
	s_waitcnt lgkmcnt(0)
	v_cvt_f32_f16_sdwa v5, v4 dst_sel:DWORD dst_unused:UNUSED_PAD src0_sel:WORD_1
	v_cvt_f32_f16_e32 v4, v4
	v_pk_add_f32 v[4:5], v[4:5], 0 op_sel_hi:[1,0]
	v_div_scale_f32 v6, s[34:35], v1, v1, v5
	v_rcp_f32_e32 v7, v6
	v_fma_f32 v8, -v6, v7, 1.0
	v_fmac_f32_e32 v7, v8, v7
	v_div_scale_f32 v8, vcc, v5, v1, v5
	v_mul_f32_e32 v9, v8, v7
	v_fma_f32 v10, -v6, v9, v8
	v_fmac_f32_e32 v9, v10, v7
	v_fma_f32 v6, -v6, v9, v8
	v_div_fmas_f32 v6, v6, v7, v9
	v_div_fixup_f32 v5, v6, v1, v5
	v_div_scale_f32 v6, s[34:35], v1, v1, v4
	v_rcp_f32_e32 v7, v6
	v_fma_f32 v8, -v6, v7, 1.0
	v_fmac_f32_e32 v7, v8, v7
	v_div_scale_f32 v8, vcc, v4, v1, v4
	v_mul_f32_e32 v9, v8, v7
	v_fma_f32 v10, -v6, v9, v8
	v_fmac_f32_e32 v9, v10, v7
	v_fma_f32 v6, -v6, v9, v8
	v_div_fmas_f32 v6, v6, v7, v9
	v_div_fixup_f32 v4, v6, v1, v4
	global_store_dwordx2 v[2:3], v[4:5], off
.LBB19_270:                             ;   in Loop: Header=BB19_13 Depth=1
	s_or_b64 exec, exec, s[4:5]
	v_mov_b32_e32 v1, 50
	s_and_saveexec_b64 s[4:5], s[82:83]
	s_cbranch_execz .LBB19_272
; %bb.271:                              ;   in Loop: Header=BB19_13 Depth=1
	v_mad_u64_u32 v[2:3], s[34:35], v201, s29, v[64:65]
	ds_read_b32 v1, v173 offset:228
	ds_read_b32 v4, v154 offset:128
	v_mul_lo_u32 v2, v2, 56
	v_ashrrev_i32_e32 v3, 31, v2
	v_add_co_u32_e32 v2, vcc, v2, v26
	v_addc_co_u32_e32 v3, vcc, 0, v3, vcc
	v_lshlrev_b64 v[2:3], 3, v[2:3]
	v_add_co_u32_e32 v2, vcc, s2, v2
	v_mov_b32_e32 v5, s3
	v_addc_co_u32_e32 v3, vcc, v5, v3, vcc
	s_waitcnt lgkmcnt(0)
	v_cvt_f32_f16_sdwa v5, v4 dst_sel:DWORD dst_unused:UNUSED_PAD src0_sel:WORD_1
	v_cvt_f32_f16_e32 v4, v4
	v_pk_add_f32 v[4:5], v[4:5], 0 op_sel_hi:[1,0]
	v_div_scale_f32 v6, s[34:35], v1, v1, v5
	v_rcp_f32_e32 v7, v6
	v_fma_f32 v8, -v6, v7, 1.0
	v_fmac_f32_e32 v7, v8, v7
	v_div_scale_f32 v8, vcc, v5, v1, v5
	v_mul_f32_e32 v9, v8, v7
	v_fma_f32 v10, -v6, v9, v8
	v_fmac_f32_e32 v9, v10, v7
	v_fma_f32 v6, -v6, v9, v8
	v_div_fmas_f32 v6, v6, v7, v9
	v_div_fixup_f32 v5, v6, v1, v5
	v_div_scale_f32 v6, s[34:35], v1, v1, v4
	v_rcp_f32_e32 v7, v6
	v_fma_f32 v8, -v6, v7, 1.0
	v_fmac_f32_e32 v7, v8, v7
	v_div_scale_f32 v8, vcc, v4, v1, v4
	v_mul_f32_e32 v9, v8, v7
	v_fma_f32 v10, -v6, v9, v8
	v_fmac_f32_e32 v9, v10, v7
	v_fma_f32 v6, -v6, v9, v8
	v_div_fmas_f32 v6, v6, v7, v9
	v_div_fixup_f32 v4, v6, v1, v4
	v_mov_b32_e32 v1, 0
	global_store_dwordx2 v[2:3], v[4:5], off offset:256
.LBB19_272:                             ;   in Loop: Header=BB19_13 Depth=1
	s_or_b64 exec, exec, s[4:5]
	v_cmp_gt_i32_e32 vcc, 50, v1
	s_mov_b64 s[34:35], -1
	s_and_saveexec_b64 s[4:5], vcc
; %bb.273:                              ;   in Loop: Header=BB19_13 Depth=1
	v_cmp_eq_u32_e32 vcc, 0, v1
	s_orn2_b64 s[34:35], vcc, exec
; %bb.274:                              ;   in Loop: Header=BB19_13 Depth=1
	s_or_b64 exec, exec, s[4:5]
	s_and_saveexec_b64 s[4:5], s[34:35]
	s_cbranch_execz .LBB19_287
; %bb.275:                              ;   in Loop: Header=BB19_13 Depth=1
	v_mov_b32_e32 v1, 50
	s_and_saveexec_b64 s[34:35], s[80:81]
	s_cbranch_execz .LBB19_277
; %bb.276:                              ;   in Loop: Header=BB19_13 Depth=1
	v_mad_u64_u32 v[2:3], s[42:43], v200, s29, v[64:65]
	ds_read_b32 v1, v174 offset:228
	ds_read_b32 v4, v161 offset:128
	v_mul_lo_u32 v2, v2, 56
	v_ashrrev_i32_e32 v3, 31, v2
	v_add_co_u32_e32 v2, vcc, v2, v26
	v_addc_co_u32_e32 v3, vcc, 0, v3, vcc
	v_lshlrev_b64 v[2:3], 3, v[2:3]
	v_add_co_u32_e32 v2, vcc, s2, v2
	v_mov_b32_e32 v5, s3
	v_addc_co_u32_e32 v3, vcc, v5, v3, vcc
	s_waitcnt lgkmcnt(0)
	v_cvt_f32_f16_sdwa v5, v4 dst_sel:DWORD dst_unused:UNUSED_PAD src0_sel:WORD_1
	v_cvt_f32_f16_e32 v4, v4
	v_pk_add_f32 v[4:5], v[4:5], 0 op_sel_hi:[1,0]
	v_div_scale_f32 v6, s[42:43], v1, v1, v5
	v_rcp_f32_e32 v7, v6
	v_fma_f32 v8, -v6, v7, 1.0
	v_fmac_f32_e32 v7, v8, v7
	v_div_scale_f32 v8, vcc, v5, v1, v5
	v_mul_f32_e32 v9, v8, v7
	v_fma_f32 v10, -v6, v9, v8
	v_fmac_f32_e32 v9, v10, v7
	v_fma_f32 v6, -v6, v9, v8
	v_div_fmas_f32 v6, v6, v7, v9
	v_div_fixup_f32 v5, v6, v1, v5
	v_div_scale_f32 v6, s[42:43], v1, v1, v4
	v_rcp_f32_e32 v7, v6
	v_fma_f32 v8, -v6, v7, 1.0
	v_fmac_f32_e32 v7, v8, v7
	v_div_scale_f32 v8, vcc, v4, v1, v4
	v_mul_f32_e32 v9, v8, v7
	v_fma_f32 v10, -v6, v9, v8
	v_fmac_f32_e32 v9, v10, v7
	v_fma_f32 v6, -v6, v9, v8
	v_div_fmas_f32 v6, v6, v7, v9
	v_div_fixup_f32 v4, v6, v1, v4
	v_mov_b32_e32 v1, 0
	global_store_dwordx2 v[2:3], v[4:5], off offset:256
.LBB19_277:                             ;   in Loop: Header=BB19_13 Depth=1
	s_or_b64 exec, exec, s[34:35]
	v_cmp_gt_i32_e32 vcc, 50, v1
	s_mov_b64 s[34:35], -1
	s_and_saveexec_b64 s[56:57], vcc
; %bb.278:                              ;   in Loop: Header=BB19_13 Depth=1
	v_cmp_eq_u32_e32 vcc, 0, v1
	s_orn2_b64 s[34:35], vcc, exec
; %bb.279:                              ;   in Loop: Header=BB19_13 Depth=1
	s_or_b64 exec, exec, s[56:57]
	s_and_b64 exec, exec, s[34:35]
	s_cbranch_execz .LBB19_287
; %bb.280:                              ;   in Loop: Header=BB19_13 Depth=1
	v_mov_b32_e32 v1, 50
	s_and_saveexec_b64 s[34:35], s[78:79]
	s_cbranch_execz .LBB19_282
; %bb.281:                              ;   in Loop: Header=BB19_13 Depth=1
	ds_read_b32 v1, v175 offset:228
	ds_read_b32 v4, v162 offset:128
	v_mad_u64_u32 v[2:3], s[42:43], v199, s29, v[64:65]
	v_mul_lo_u32 v5, v2, 56
	v_ashrrev_i32_e32 v6, 31, v5
	s_waitcnt lgkmcnt(0)
	v_cvt_f32_f16_sdwa v3, v4 dst_sel:DWORD dst_unused:UNUSED_PAD src0_sel:WORD_1
	v_cvt_f32_f16_e32 v2, v4
	v_add_co_u32_e32 v4, vcc, v5, v26
	v_addc_co_u32_e32 v5, vcc, 0, v6, vcc
	v_pk_add_f32 v[2:3], v[2:3], 0 op_sel_hi:[1,0]
	v_div_scale_f32 v7, s[42:43], v1, v1, v3
	v_rcp_f32_e32 v8, v7
	v_lshlrev_b64 v[4:5], 3, v[4:5]
	v_mov_b32_e32 v6, s3
	v_add_co_u32_e32 v4, vcc, s2, v4
	v_addc_co_u32_e32 v5, vcc, v6, v5, vcc
	v_fma_f32 v6, -v7, v8, 1.0
	v_fmac_f32_e32 v8, v6, v8
	v_div_scale_f32 v6, vcc, v3, v1, v3
	v_mul_f32_e32 v9, v6, v8
	v_fma_f32 v10, -v7, v9, v6
	v_fmac_f32_e32 v9, v10, v8
	v_fma_f32 v6, -v7, v9, v6
	v_div_scale_f32 v7, s[42:43], v1, v1, v2
	v_rcp_f32_e32 v10, v7
	v_div_fmas_f32 v6, v6, v8, v9
	v_div_fixup_f32 v3, v6, v1, v3
	v_fma_f32 v6, -v7, v10, 1.0
	v_fmac_f32_e32 v10, v6, v10
	v_div_scale_f32 v6, vcc, v2, v1, v2
	v_mul_f32_e32 v8, v6, v10
	v_fma_f32 v9, -v7, v8, v6
	v_fmac_f32_e32 v8, v9, v10
	v_fma_f32 v6, -v7, v8, v6
	v_div_fmas_f32 v6, v6, v10, v8
	v_div_fixup_f32 v2, v6, v1, v2
	v_mov_b32_e32 v1, 0
	global_store_dwordx2 v[4:5], v[2:3], off offset:256
.LBB19_282:                             ;   in Loop: Header=BB19_13 Depth=1
	s_or_b64 exec, exec, s[34:35]
	v_cmp_gt_i32_e32 vcc, 50, v1
	s_mov_b64 s[34:35], -1
	s_and_saveexec_b64 s[56:57], vcc
; %bb.283:                              ;   in Loop: Header=BB19_13 Depth=1
	v_cmp_eq_u32_e32 vcc, 0, v1
	s_orn2_b64 s[34:35], vcc, exec
; %bb.284:                              ;   in Loop: Header=BB19_13 Depth=1
	s_or_b64 exec, exec, s[56:57]
	s_and_b64 exec, exec, s[34:35]
	s_cbranch_execz .LBB19_287
; %bb.285:                              ;   in Loop: Header=BB19_13 Depth=1
	v_readlane_b32 s34, v238, 48
	v_readlane_b32 s35, v238, 49
	s_and_b64 exec, exec, s[34:35]
	s_cbranch_execz .LBB19_287
; %bb.286:                              ;   in Loop: Header=BB19_13 Depth=1
	ds_read_b32 v1, v176 offset:228
	ds_read_b32 v4, v163 offset:128
	v_mad_u64_u32 v[2:3], s[34:35], v87, s29, v[64:65]
	v_mul_lo_u32 v5, v2, 56
	v_ashrrev_i32_e32 v6, 31, v5
	s_waitcnt lgkmcnt(0)
	v_cvt_f32_f16_sdwa v3, v4 dst_sel:DWORD dst_unused:UNUSED_PAD src0_sel:WORD_1
	v_cvt_f32_f16_e32 v2, v4
	v_add_co_u32_e32 v4, vcc, v5, v26
	v_addc_co_u32_e32 v5, vcc, 0, v6, vcc
	v_pk_add_f32 v[2:3], v[2:3], 0 op_sel_hi:[1,0]
	v_div_scale_f32 v7, s[34:35], v1, v1, v3
	v_rcp_f32_e32 v8, v7
	v_lshlrev_b64 v[4:5], 3, v[4:5]
	v_mov_b32_e32 v6, s3
	v_add_co_u32_e32 v4, vcc, s2, v4
	v_addc_co_u32_e32 v5, vcc, v6, v5, vcc
	v_fma_f32 v6, -v7, v8, 1.0
	v_fmac_f32_e32 v8, v6, v8
	v_div_scale_f32 v6, vcc, v3, v1, v3
	v_mul_f32_e32 v9, v6, v8
	v_fma_f32 v10, -v7, v9, v6
	v_fmac_f32_e32 v9, v10, v8
	v_fma_f32 v6, -v7, v9, v6
	v_div_scale_f32 v7, s[34:35], v1, v1, v2
	v_rcp_f32_e32 v10, v7
	v_div_fmas_f32 v6, v6, v8, v9
	v_div_fixup_f32 v3, v6, v1, v3
	v_fma_f32 v6, -v7, v10, 1.0
	v_fmac_f32_e32 v10, v6, v10
	v_div_scale_f32 v6, vcc, v2, v1, v2
	v_mul_f32_e32 v8, v6, v10
	v_fma_f32 v9, -v7, v8, v6
	v_fmac_f32_e32 v8, v9, v10
	v_fma_f32 v6, -v7, v8, v6
	v_div_fmas_f32 v6, v6, v10, v8
	v_div_fixup_f32 v2, v6, v1, v2
	global_store_dwordx2 v[4:5], v[2:3], off offset:256
.LBB19_287:                             ;   in Loop: Header=BB19_13 Depth=1
	s_or_b64 exec, exec, s[4:5]
	v_mov_b32_e32 v1, 50
	s_and_saveexec_b64 s[4:5], s[74:75]
	s_cbranch_execz .LBB19_289
; %bb.288:                              ;   in Loop: Header=BB19_13 Depth=1
	ds_read_b32 v1, v177 offset:228
	ds_read_b32 v4, v95 offset:192
	v_mad_u64_u32 v[2:3], s[34:35], v85, s29, v[58:59]
	v_mul_lo_u32 v2, v2, 56
	v_ashrrev_i32_e32 v3, 31, v2
	s_waitcnt lgkmcnt(0)
	v_cvt_f32_f16_sdwa v5, v4 dst_sel:DWORD dst_unused:UNUSED_PAD src0_sel:WORD_1
	v_cvt_f32_f16_e32 v4, v4
	v_or_b32_e32 v3, 0, v3
	v_or_b32_e32 v2, v2, v28
	v_lshlrev_b64 v[2:3], 3, v[2:3]
	v_pk_add_f32 v[4:5], v[4:5], 0 op_sel_hi:[1,0]
	v_div_scale_f32 v7, s[34:35], v1, v1, v5
	v_rcp_f32_e32 v8, v7
	v_mov_b32_e32 v6, s3
	v_add_co_u32_e32 v2, vcc, s2, v2
	v_addc_co_u32_e32 v3, vcc, v6, v3, vcc
	v_fma_f32 v6, -v7, v8, 1.0
	v_fmac_f32_e32 v8, v6, v8
	v_div_scale_f32 v6, vcc, v5, v1, v5
	v_mul_f32_e32 v9, v6, v8
	v_fma_f32 v10, -v7, v9, v6
	v_fmac_f32_e32 v9, v10, v8
	v_fma_f32 v6, -v7, v9, v6
	v_div_scale_f32 v7, s[34:35], v1, v1, v4
	v_rcp_f32_e32 v10, v7
	v_div_fmas_f32 v6, v6, v8, v9
	v_div_fixup_f32 v5, v6, v1, v5
	v_fma_f32 v6, -v7, v10, 1.0
	v_fmac_f32_e32 v10, v6, v10
	v_div_scale_f32 v6, vcc, v4, v1, v4
	v_mul_f32_e32 v8, v6, v10
	v_fma_f32 v9, -v7, v8, v6
	v_fmac_f32_e32 v8, v9, v10
	v_fma_f32 v6, -v7, v8, v6
	v_div_fmas_f32 v6, v6, v10, v8
	v_div_fixup_f32 v4, v6, v1, v4
	v_mov_b32_e32 v1, 0
	global_store_dwordx2 v[2:3], v[4:5], off offset:384
.LBB19_289:                             ;   in Loop: Header=BB19_13 Depth=1
	s_or_b64 exec, exec, s[4:5]
	v_readlane_b32 s46, v238, 21
	v_readlane_b32 s47, v238, 22
	v_cmp_gt_i32_e32 vcc, 50, v1
	s_mov_b64 s[34:35], -1
	s_and_saveexec_b64 s[4:5], vcc
; %bb.290:                              ;   in Loop: Header=BB19_13 Depth=1
	v_cmp_eq_u32_e32 vcc, 0, v1
	s_orn2_b64 s[34:35], vcc, exec
; %bb.291:                              ;   in Loop: Header=BB19_13 Depth=1
	s_or_b64 exec, exec, s[4:5]
                                        ; implicit-def: $vgpr2_vgpr3
	s_and_saveexec_b64 s[4:5], s[34:35]
	s_cbranch_execz .LBB19_295
; %bb.292:                              ;   in Loop: Header=BB19_13 Depth=1
	s_mov_b64 s[56:57], s[10:11]
                                        ; implicit-def: $vgpr2_vgpr3
	s_and_saveexec_b64 s[34:35], s[8:9]
	s_cbranch_execz .LBB19_294
; %bb.293:                              ;   in Loop: Header=BB19_13 Depth=1
	ds_read_b32 v1, v97 offset:192
	s_or_b64 s[56:57], s[10:11], exec
	s_waitcnt lgkmcnt(0)
	v_cvt_f32_f16_sdwa v3, v1 dst_sel:DWORD dst_unused:UNUSED_PAD src0_sel:WORD_1
	v_cvt_f32_f16_e32 v2, v1
	ds_read_b32 v1, v177 offset:7908
	v_pk_add_f32 v[2:3], v[2:3], 0 op_sel_hi:[1,0]
	s_waitcnt lgkmcnt(0)
	v_div_scale_f32 v4, s[8:9], v1, v1, v3
	v_rcp_f32_e32 v6, v4
	v_div_scale_f32 v5, s[8:9], v1, v1, v2
	v_div_scale_f32 v8, vcc, v3, v1, v3
	v_fma_f32 v9, -v4, v6, 1.0
	v_fmac_f32_e32 v6, v9, v6
	v_rcp_f32_e32 v7, v5
	v_mul_f32_e32 v9, v8, v6
	v_fma_f32 v11, -v4, v9, v8
	v_fmac_f32_e32 v9, v11, v6
	v_fma_f32 v4, -v4, v9, v8
	v_fma_f32 v10, -v5, v7, 1.0
	v_div_fmas_f32 v4, v4, v6, v9
	v_div_fixup_f32 v3, v4, v1, v3
	v_fmac_f32_e32 v7, v10, v7
	v_div_scale_f32 v4, vcc, v2, v1, v2
	v_mul_f32_e32 v6, v4, v7
	v_fma_f32 v8, -v5, v6, v4
	v_fmac_f32_e32 v6, v8, v7
	v_fma_f32 v4, -v5, v6, v4
	v_div_fmas_f32 v4, v4, v7, v6
	v_div_fixup_f32 v2, v4, v1, v2
.LBB19_294:                             ;   in Loop: Header=BB19_13 Depth=1
	s_or_b64 exec, exec, s[34:35]
	s_andn2_b64 s[8:9], s[10:11], exec
	s_and_b64 s[10:11], s[56:57], exec
	s_or_b64 s[10:11], s[8:9], s[10:11]
.LBB19_295:                             ;   in Loop: Header=BB19_13 Depth=1
	s_or_b64 exec, exec, s[4:5]
	s_and_saveexec_b64 s[4:5], s[10:11]
	s_cbranch_execz .LBB19_12
.LBB19_296:                             ;   in Loop: Header=BB19_13 Depth=1
	v_mad_u64_u32 v[4:5], s[8:9], v71, s29, v[58:59]
	v_mul_lo_u32 v1, v4, 56
	v_ashrrev_i32_e32 v4, 31, v1
	v_or_b32_e32 v5, 0, v4
	v_or_b32_e32 v4, v1, v28
	v_lshlrev_b64 v[4:5], 3, v[4:5]
	v_mov_b32_e32 v1, s3
	v_add_co_u32_e32 v4, vcc, s2, v4
	v_addc_co_u32_e32 v5, vcc, v1, v5, vcc
	global_store_dwordx2 v[4:5], v[2:3], off offset:384
	s_branch .LBB19_12
.LBB19_297:                             ;   in Loop: Header=BB19_13 Depth=1
                                        ; implicit-def: $vgpr12_vgpr13
                                        ; implicit-def: $vgpr82_vgpr83
                                        ; implicit-def: $vgpr14_vgpr15
                                        ; implicit-def: $vgpr16_vgpr17
                                        ; implicit-def: $vgpr24_vgpr25
                                        ; implicit-def: $vgpr76_vgpr77
                                        ; implicit-def: $vgpr78_vgpr79
                                        ; implicit-def: $vgpr80_vgpr81
	s_branch .LBB19_91
.LBB19_298:                             ;   in Loop: Header=BB19_13 Depth=1
                                        ; implicit-def: $vgpr12_vgpr13
                                        ; implicit-def: $vgpr80_vgpr81
                                        ; implicit-def: $vgpr14_vgpr15
                                        ; implicit-def: $vgpr16_vgpr17
                                        ; implicit-def: $vgpr24_vgpr25
                                        ; implicit-def: $vgpr74_vgpr75
                                        ; implicit-def: $vgpr76_vgpr77
                                        ; implicit-def: $vgpr78_vgpr79
	s_branch .LBB19_230
.LBB19_299:
	v_writelane_b32 v238, s44, 19
	v_writelane_b32 v238, s45, 20
	s_andn2_b64 vcc, exec, s[4:5]
	s_cbranch_vccz .LBB19_302
.LBB19_300:
	s_endpgm
.LBB19_301:
	v_readlane_b32 s10, v238, 27
	v_readlane_b32 s11, v238, 28
	s_andn2_b64 vcc, exec, s[4:5]
	s_cbranch_vccnz .LBB19_300
.LBB19_302:
	v_readlane_b32 s6, v238, 2
	s_abs_i32 s0, s6
	v_cvt_f32_u32_e32 v1, s0
	s_sub_i32 s3, 0, s0
	s_abs_i32 s2, s54
	s_xor_b32 s1, s54, s6
	v_rcp_iflag_f32_e32 v1, v1
	s_ashr_i32 s1, s1, 31
	v_readlane_b32 s8, v238, 1
	v_mov_b32_e32 v12, s86
	v_mul_f32_e32 v1, 0x4f7ffffe, v1
	v_cvt_u32_f32_e32 v1, v1
	v_readfirstlane_b32 s4, v1
	s_mul_i32 s3, s3, s4
	s_mul_hi_u32 s3, s4, s3
	s_add_i32 s4, s4, s3
	s_mul_hi_u32 s3, s2, s4
	s_mul_i32 s4, s3, s0
	s_sub_i32 s2, s2, s4
	s_add_i32 s5, s3, 1
	s_sub_i32 s4, s2, s0
	s_cmp_ge_u32 s2, s0
	s_cselect_b32 s3, s5, s3
	s_cselect_b32 s2, s4, s2
	s_add_i32 s4, s3, 1
	s_cmp_ge_u32 s2, s0
	s_cselect_b32 s0, s4, s3
	s_abs_i32 s2, s8
	v_cvt_f32_u32_e32 v1, s2
	s_xor_b32 s0, s0, s1
	s_sub_i32 s5, s0, s1
	s_sub_i32 s3, 0, s2
	v_rcp_iflag_f32_e32 v1, v1
	s_mul_i32 s0, s5, s6
	s_sub_i32 s0, s54, s0
	s_abs_i32 s4, s0
	v_mul_f32_e32 v1, 0x4f7ffffe, v1
	v_cvt_u32_f32_e32 v1, v1
	s_xor_b32 s1, s0, s8
	s_ashr_i32 s1, s1, 31
	v_readfirstlane_b32 s6, v1
	s_mul_i32 s3, s3, s6
	s_mul_hi_u32 s3, s6, s3
	s_add_i32 s6, s6, s3
	s_mul_hi_u32 s3, s4, s6
	s_mul_i32 s6, s3, s2
	s_sub_i32 s4, s4, s6
	s_add_i32 s7, s3, 1
	s_sub_i32 s6, s4, s2
	s_cmp_ge_u32 s4, s2
	s_cselect_b32 s3, s7, s3
	s_cselect_b32 s4, s6, s4
	s_add_i32 s6, s3, 1
	s_cmp_ge_u32 s4, s2
	s_cselect_b32 s2, s6, s3
	s_abs_i32 s3, s89
	v_cvt_f32_u32_e32 v1, s3
	s_xor_b32 s2, s2, s1
	s_sub_i32 s4, 0, s3
	s_sub_i32 s6, s2, s1
	v_rcp_iflag_f32_e32 v1, v1
	s_mul_i32 s1, s6, s8
	s_sub_i32 s1, s0, s1
	s_abs_i32 s2, s1
	v_mul_f32_e32 v1, 0x4f7ffffe, v1
	v_cvt_u32_f32_e32 v1, v1
	s_xor_b32 s0, s1, s89
	s_ashr_i32 s0, s0, 31
	v_readfirstlane_b32 s7, v1
	s_mul_i32 s4, s4, s7
	s_mul_hi_u32 s4, s7, s4
	s_add_i32 s7, s7, s4
	s_mul_hi_u32 s4, s2, s7
	s_mul_i32 s7, s4, s3
	s_sub_i32 s2, s2, s7
	s_add_i32 s8, s4, 1
	s_sub_i32 s7, s2, s3
	s_cmp_ge_u32 s2, s3
	s_cselect_b32 s4, s8, s4
	s_cselect_b32 s2, s7, s2
	s_add_i32 s7, s4, 1
	s_cmp_ge_u32 s2, s3
	s_cselect_b32 s2, s7, s4
	s_xor_b32 s2, s2, s0
	s_sub_i32 s0, s2, s0
	s_mul_i32 s2, s0, s89
	s_sub_i32 s1, s1, s2
	s_ashr_i32 s2, s1, 31
	v_readlane_b32 s3, v238, 17
	s_abs_i32 s1, s1
	s_xor_b32 s2, s2, s3
	s_mul_hi_u32 s3, s1, s76
	s_mul_i32 s4, s3, s59
	s_sub_i32 s1, s1, s4
	s_add_i32 s4, s3, 1
	s_sub_i32 s7, s1, s59
	s_cmp_ge_u32 s1, s59
	s_cselect_b32 s3, s4, s3
	s_cselect_b32 s1, s7, s1
	s_add_i32 s4, s3, 1
	s_cmp_ge_u32 s1, s59
	s_cselect_b32 s1, s4, s3
	s_abs_i32 s7, s10
	v_cvt_f32_u32_e32 v1, s7
	s_xor_b32 s1, s1, s2
	s_sub_i32 s1, s1, s2
	s_cmp_eq_u64 s[22:23], 0
	v_rcp_iflag_f32_e32 v1, v1
	v_mul_f32_e32 v1, 0x4f7ffffe, v1
	v_cvt_u32_f32_e32 v1, v1
	v_readfirstlane_b32 s10, v1
	s_cbranch_scc1 .LBB19_304
; %bb.303:
	v_readlane_b32 s2, v238, 0
	s_mul_i32 s2, s5, s2
	s_add_i32 s2, s1, s2
	s_ashr_i32 s3, s2, 31
	s_lshl_b64 s[2:3], s[2:3], 2
	s_add_u32 s2, s22, s2
	s_addc_u32 s3, s23, s3
	v_mov_b32_e32 v1, 0
	global_load_dword v1, v1, s[2:3]
	s_waitcnt vmcnt(0)
	v_ashrrev_i32_e32 v2, 31, v1
	v_lshrrev_b32_e32 v2, 26, v2
	v_add_u32_e32 v1, v1, v2
	v_ashrrev_i32_e32 v1, 6, v1
	v_min_i32_e32 v12, s86, v1
.LBB19_304:
	v_readlane_b32 s8, v238, 5
	s_mul_i32 s2, s6, s33
	s_lshl_b32 s11, s0, 2
	v_readlane_b32 s9, v238, 6
	s_add_i32 s0, s11, s2
	s_mul_i32 s2, s5, s9
	s_ashr_i32 s3, s2, 31
	v_and_b32_e32 v70, 0x3ff, v0
	s_add_u32 s2, s12, s2
	s_mul_i32 s0, s0, s8
	v_lshrrev_b32_e32 v0, 5, v70
	s_addc_u32 s3, s13, s3
	s_ashr_i32 s4, s0, 31
	v_lshl_add_u32 v67, v59, 1, v0
	s_add_u32 s8, s2, s0
	v_and_b32_e32 v0, 3, v67
	s_addc_u32 s9, s3, s4
	s_lshl_b32 s4, s1, 4
	v_lshrrev_b32_e32 v1, 2, v67
	v_or_b32_e32 v2, s11, v0
	v_add_u32_e32 v1, s4, v1
	v_cmp_gt_i32_e64 s[0:1], s33, v2
	v_and_b32_e32 v64, 31, v70
	v_cmp_le_i32_e32 vcc, s28, v1
	s_xor_b64 s[0:1], s[0:1], -1
	s_or_b64 s[2:3], vcc, s[0:1]
	v_mad_u32_u24 v62, v67, 60, v64
	s_and_saveexec_b64 s[12:13], s[2:3]
	s_xor_b64 s[2:3], exec, s[12:13]
	v_readlane_b32 s24, v238, 19
	v_readlane_b32 s25, v238, 20
	s_cbranch_execz .LBB19_306
; %bb.305:
	v_lshl_add_u32 v1, v62, 2, 0
	v_mov_b32_e32 v2, 0
	ds_write_b32 v1, v2
                                        ; implicit-def: $vgpr1
.LBB19_306:
	s_or_saveexec_b64 s[2:3], s[2:3]
	v_readlane_b32 s22, v238, 18
	s_xor_b64 exec, exec, s[2:3]
	s_cbranch_execz .LBB19_308
; %bb.307:
	v_mul_lo_u32 v1, v1, s55
	v_mul_lo_u32 v2, v0, s22
	v_add3_u32 v2, v2, v64, v1
	v_ashrrev_i32_e32 v3, 31, v2
	v_lshlrev_b64 v[2:3], 3, v[2:3]
	v_mov_b32_e32 v1, s9
	v_add_co_u32_e32 v2, vcc, s8, v2
	v_addc_co_u32_e32 v3, vcc, v1, v3, vcc
	global_load_dwordx2 v[2:3], v[2:3], off
	s_waitcnt vmcnt(0)
	v_cvt_f16_f32_e32 v1, v2
	v_cvt_f16_f32_e32 v2, v3
	v_pack_b32_f16 v1, v1, v2
	v_pk_mul_f16 v1, v61, v1
	v_lshl_add_u32 v2, v62, 2, 0
	ds_write_b32 v2, v1
.LBB19_308:
	s_or_b64 exec, exec, s[2:3]
	v_add_u32_e32 v65, 8, v67
	v_lshrrev_b32_e32 v1, 2, v65
	v_add_u32_e32 v1, s4, v1
	v_cmp_le_i32_e32 vcc, s28, v1
	s_or_b64 s[2:3], vcc, s[0:1]
	s_and_saveexec_b64 s[12:13], s[2:3]
	s_xor_b64 s[2:3], exec, s[12:13]
	s_cbranch_execz .LBB19_310
; %bb.309:
	v_mad_u32_u24 v1, v65, 60, v64
	v_lshl_add_u32 v1, v1, 2, 0
	v_mov_b32_e32 v2, 0
	ds_write_b32 v1, v2
                                        ; implicit-def: $vgpr1
.LBB19_310:
	s_andn2_saveexec_b64 s[2:3], s[2:3]
	s_cbranch_execz .LBB19_312
; %bb.311:
	v_mul_lo_u32 v1, v1, s55
	v_mul_lo_u32 v2, v0, s22
	v_add3_u32 v2, v2, v64, v1
	v_ashrrev_i32_e32 v3, 31, v2
	v_lshlrev_b64 v[2:3], 3, v[2:3]
	v_mov_b32_e32 v1, s9
	v_add_co_u32_e32 v2, vcc, s8, v2
	v_addc_co_u32_e32 v3, vcc, v1, v3, vcc
	global_load_dwordx2 v[2:3], v[2:3], off
	s_waitcnt vmcnt(0)
	v_cvt_f16_f32_e32 v1, v2
	v_cvt_f16_f32_e32 v2, v3
	v_mad_u32_u24 v3, v65, 60, v64
	v_pack_b32_f16 v1, v1, v2
	v_pk_mul_f16 v1, v61, v1
	v_lshl_add_u32 v2, v3, 2, 0
	ds_write_b32 v2, v1
.LBB19_312:
	s_or_b64 exec, exec, s[2:3]
	v_add_u32_e32 v69, 16, v67
	v_lshrrev_b32_e32 v1, 2, v69
	v_add_u32_e32 v1, s4, v1
	v_cmp_le_i32_e32 vcc, s28, v1
	s_or_b64 s[2:3], vcc, s[0:1]
	s_and_saveexec_b64 s[12:13], s[2:3]
	s_xor_b64 s[2:3], exec, s[12:13]
	s_cbranch_execz .LBB19_314
; %bb.313:
	v_mad_u32_u24 v1, v69, 60, v64
	v_lshl_add_u32 v1, v1, 2, 0
	v_mov_b32_e32 v2, 0
	ds_write_b32 v1, v2
                                        ; implicit-def: $vgpr1
.LBB19_314:
	s_andn2_saveexec_b64 s[2:3], s[2:3]
	s_cbranch_execz .LBB19_316
; %bb.315:
	v_mul_lo_u32 v1, v1, s55
	v_mul_lo_u32 v2, v0, s22
	v_add3_u32 v2, v2, v64, v1
	v_ashrrev_i32_e32 v3, 31, v2
	v_lshlrev_b64 v[2:3], 3, v[2:3]
	v_mov_b32_e32 v1, s9
	v_add_co_u32_e32 v2, vcc, s8, v2
	v_addc_co_u32_e32 v3, vcc, v1, v3, vcc
	global_load_dwordx2 v[2:3], v[2:3], off
	s_waitcnt vmcnt(0)
	v_cvt_f16_f32_e32 v1, v2
	v_cvt_f16_f32_e32 v2, v3
	v_mad_u32_u24 v3, v69, 60, v64
	v_pack_b32_f16 v1, v1, v2
	v_pk_mul_f16 v1, v61, v1
	v_lshl_add_u32 v2, v3, 2, 0
	ds_write_b32 v2, v1
.LBB19_316:
	;; [unrolled: 37-line block ×6, first 2 shown]
	s_or_b64 exec, exec, s[2:3]
	v_add_u32_e32 v71, 56, v67
	v_lshrrev_b32_e32 v1, 2, v71
	v_add_u32_e32 v1, s4, v1
	v_cmp_le_i32_e32 vcc, s28, v1
	s_or_b64 s[0:1], vcc, s[0:1]
	s_and_saveexec_b64 s[2:3], s[0:1]
	s_xor_b64 s[0:1], exec, s[2:3]
	s_cbranch_execz .LBB19_334
; %bb.333:
	v_mad_u32_u24 v0, v71, 60, v64
	v_lshl_add_u32 v0, v0, 2, 0
	v_mov_b32_e32 v1, 0
	ds_write_b32 v0, v1
                                        ; implicit-def: $vgpr1
                                        ; implicit-def: $vgpr0
.LBB19_334:
	s_andn2_saveexec_b64 s[0:1], s[0:1]
	s_cbranch_execz .LBB19_336
; %bb.335:
	v_mul_lo_u32 v1, v1, s55
	v_mul_lo_u32 v0, v0, s22
	v_add3_u32 v0, v0, v64, v1
	v_ashrrev_i32_e32 v1, 31, v0
	v_lshlrev_b64 v[0:1], 3, v[0:1]
	v_mov_b32_e32 v2, s9
	v_add_co_u32_e32 v0, vcc, s8, v0
	v_addc_co_u32_e32 v1, vcc, v2, v1, vcc
	global_load_dwordx2 v[0:1], v[0:1], off
	v_mad_u32_u24 v2, v71, 60, v64
	s_waitcnt vmcnt(0)
	v_cvt_f16_f32_e32 v0, v0
	v_cvt_f16_f32_e32 v1, v1
	v_pack_b32_f16 v0, v0, v1
	v_pk_mul_f16 v0, v61, v0
	v_lshl_add_u32 v1, v2, 2, 0
	ds_write_b32 v1, v0
.LBB19_336:
	s_or_b64 exec, exec, s[0:1]
	v_lshrrev_b32_e32 v0, 4, v70
	v_lshl_add_u32 v74, v59, 2, v0
	v_bfe_u32 v0, v70, 4, 2
	v_lshrrev_b32_e32 v1, 2, v74
	v_add_u32_e32 v2, s4, v1
	v_or_b32_e32 v1, s11, v0
	v_cmp_gt_i32_e64 s[0:1], s33, v1
	v_and_b32_e32 v73, 15, v70
	v_cmp_le_i32_e32 vcc, s28, v2
	s_xor_b64 s[0:1], s[0:1], -1
	s_or_b64 s[2:3], vcc, s[0:1]
	v_mad_u32_u24 v76, v74, 60, v73
	s_and_saveexec_b64 s[12:13], s[2:3]
	s_xor_b64 s[2:3], exec, s[12:13]
	s_cbranch_execz .LBB19_338
; %bb.337:
	v_lshl_add_u32 v1, v76, 2, 0
	v_mov_b32_e32 v2, 0
	ds_write_b32 v1, v2 offset:128
                                        ; implicit-def: $vgpr2
.LBB19_338:
	s_or_saveexec_b64 s[2:3], s[2:3]
	v_or_b32_e32 v1, 32, v73
	s_xor_b64 exec, exec, s[2:3]
	s_cbranch_execz .LBB19_340
; %bb.339:
	v_mul_lo_u32 v2, v2, s55
	v_mul_lo_u32 v3, v0, s22
	v_add3_u32 v2, v3, v1, v2
	v_ashrrev_i32_e32 v3, 31, v2
	v_lshlrev_b64 v[2:3], 3, v[2:3]
	v_mov_b32_e32 v4, s9
	v_add_co_u32_e32 v2, vcc, s8, v2
	v_addc_co_u32_e32 v3, vcc, v4, v3, vcc
	global_load_dwordx2 v[2:3], v[2:3], off
	s_waitcnt vmcnt(0)
	v_cvt_f16_f32_e32 v2, v2
	v_cvt_f16_f32_e32 v3, v3
	v_pack_b32_f16 v2, v2, v3
	v_pk_mul_f16 v2, v61, v2
	v_lshl_add_u32 v3, v76, 2, 0
	ds_write_b32 v3, v2 offset:128
.LBB19_340:
	s_or_b64 exec, exec, s[2:3]
	v_add_u32_e32 v77, 16, v74
	v_lshrrev_b32_e32 v2, 2, v77
	v_add_u32_e32 v2, s4, v2
	v_cmp_le_i32_e32 vcc, s28, v2
	s_or_b64 s[2:3], vcc, s[0:1]
	s_and_saveexec_b64 s[12:13], s[2:3]
	s_xor_b64 s[2:3], exec, s[12:13]
	s_cbranch_execz .LBB19_342
; %bb.341:
	v_mad_u32_u24 v2, v77, 60, v73
	v_lshl_add_u32 v2, v2, 2, 0
	v_mov_b32_e32 v3, 0
	ds_write_b32 v2, v3 offset:128
                                        ; implicit-def: $vgpr2
.LBB19_342:
	s_andn2_saveexec_b64 s[2:3], s[2:3]
	s_cbranch_execz .LBB19_344
; %bb.343:
	v_mul_lo_u32 v2, v2, s55
	v_mul_lo_u32 v3, v0, s22
	v_add3_u32 v2, v3, v1, v2
	v_ashrrev_i32_e32 v3, 31, v2
	v_lshlrev_b64 v[2:3], 3, v[2:3]
	v_mov_b32_e32 v4, s9
	v_add_co_u32_e32 v2, vcc, s8, v2
	v_addc_co_u32_e32 v3, vcc, v4, v3, vcc
	global_load_dwordx2 v[2:3], v[2:3], off
	v_mad_u32_u24 v4, v77, 60, v73
	s_waitcnt vmcnt(0)
	v_cvt_f16_f32_e32 v2, v2
	v_cvt_f16_f32_e32 v3, v3
	v_pack_b32_f16 v2, v2, v3
	v_pk_mul_f16 v2, v61, v2
	v_lshl_add_u32 v3, v4, 2, 0
	ds_write_b32 v3, v2 offset:128
.LBB19_344:
	s_or_b64 exec, exec, s[2:3]
	v_add_u32_e32 v80, 32, v74
	v_lshrrev_b32_e32 v2, 2, v80
	v_add_u32_e32 v2, s4, v2
	v_cmp_le_i32_e32 vcc, s28, v2
	s_or_b64 s[2:3], vcc, s[0:1]
	s_and_saveexec_b64 s[12:13], s[2:3]
	s_xor_b64 s[2:3], exec, s[12:13]
	s_cbranch_execz .LBB19_346
; %bb.345:
	v_mad_u32_u24 v2, v80, 60, v73
	v_lshl_add_u32 v2, v2, 2, 0
	v_mov_b32_e32 v3, 0
	ds_write_b32 v2, v3 offset:128
                                        ; implicit-def: $vgpr2
.LBB19_346:
	s_andn2_saveexec_b64 s[2:3], s[2:3]
	s_cbranch_execz .LBB19_348
; %bb.347:
	v_mul_lo_u32 v2, v2, s55
	v_mul_lo_u32 v3, v0, s22
	v_add3_u32 v2, v3, v1, v2
	v_ashrrev_i32_e32 v3, 31, v2
	v_lshlrev_b64 v[2:3], 3, v[2:3]
	v_mov_b32_e32 v4, s9
	v_add_co_u32_e32 v2, vcc, s8, v2
	v_addc_co_u32_e32 v3, vcc, v4, v3, vcc
	global_load_dwordx2 v[2:3], v[2:3], off
	v_mad_u32_u24 v4, v80, 60, v73
	s_waitcnt vmcnt(0)
	v_cvt_f16_f32_e32 v2, v2
	v_cvt_f16_f32_e32 v3, v3
	v_pack_b32_f16 v2, v2, v3
	v_pk_mul_f16 v2, v61, v2
	v_lshl_add_u32 v3, v4, 2, 0
	ds_write_b32 v3, v2 offset:128
.LBB19_348:
	s_or_b64 exec, exec, s[2:3]
	v_add_u32_e32 v81, 48, v74
	v_lshrrev_b32_e32 v2, 2, v81
	v_add_u32_e32 v2, s4, v2
	v_cmp_le_i32_e32 vcc, s28, v2
	s_sub_i32 s2, 0, s7
	s_or_b64 s[0:1], vcc, s[0:1]
	s_and_saveexec_b64 s[12:13], s[0:1]
	s_xor_b64 s[0:1], exec, s[12:13]
	s_cbranch_execz .LBB19_350
; %bb.349:
	v_mad_u32_u24 v0, v81, 60, v73
	v_lshl_add_u32 v0, v0, 2, 0
	v_mov_b32_e32 v1, 0
	ds_write_b32 v0, v1 offset:128
                                        ; implicit-def: $vgpr2
                                        ; implicit-def: $vgpr0
                                        ; implicit-def: $vgpr1
.LBB19_350:
	s_or_saveexec_b64 s[0:1], s[0:1]
	s_mul_i32 s2, s2, s10
	s_xor_b64 exec, exec, s[0:1]
	s_cbranch_execz .LBB19_352
; %bb.351:
	v_mul_lo_u32 v2, v2, s55
	v_mul_lo_u32 v0, v0, s22
	v_add3_u32 v0, v0, v1, v2
	v_ashrrev_i32_e32 v1, 31, v0
	v_lshlrev_b64 v[0:1], 3, v[0:1]
	v_mov_b32_e32 v2, s9
	v_add_co_u32_e32 v0, vcc, s8, v0
	v_addc_co_u32_e32 v1, vcc, v2, v1, vcc
	global_load_dwordx2 v[0:1], v[0:1], off
	v_mad_u32_u24 v2, v81, 60, v73
	s_waitcnt vmcnt(0)
	v_cvt_f16_f32_e32 v0, v0
	v_cvt_f16_f32_e32 v1, v1
	v_pack_b32_f16 v0, v0, v1
	v_pk_mul_f16 v0, v61, v0
	v_lshl_add_u32 v1, v2, 2, 0
	ds_write_b32 v1, v0 offset:128
.LBB19_352:
	s_or_b64 exec, exec, s[0:1]
	v_lshrrev_b32_e32 v13, 3, v70
	v_bfe_u32 v0, v70, 3, 2
	v_lshl_add_u32 v79, v59, 3, v13
	v_or_b32_e32 v1, s11, v0
	v_cmp_gt_i32_e32 vcc, s33, v1
	v_lshrrev_b32_e32 v1, 2, v79
	v_add_u32_e32 v1, s4, v1
	s_xor_b64 s[0:1], vcc, -1
	v_cmp_le_i32_e32 vcc, s28, v1
	s_mul_hi_u32 s13, s10, s2
	v_and_b32_e32 v78, 7, v70
	v_mul_lo_u32 v0, s22, v0
	s_or_b64 s[2:3], vcc, s[0:1]
	s_and_saveexec_b64 s[20:21], s[2:3]
	s_xor_b64 s[2:3], exec, s[20:21]
	s_cbranch_execz .LBB19_354
; %bb.353:
	v_mad_u32_u24 v1, v79, 60, v78
	v_lshl_add_u32 v1, v1, 2, 0
	v_mov_b32_e32 v2, 0
	ds_write_b32 v1, v2 offset:192
                                        ; implicit-def: $vgpr1
.LBB19_354:
	s_or_saveexec_b64 s[2:3], s[2:3]
	s_abs_i32 s12, s5
	s_add_i32 s10, s10, s13
	v_add3_u32 v0, v0, v78, 48
	s_xor_b64 exec, exec, s[2:3]
	s_cbranch_execz .LBB19_356
; %bb.355:
	v_mad_u64_u32 v[2:3], s[20:21], v1, s55, v[0:1]
	v_ashrrev_i32_e32 v3, 31, v2
	v_lshlrev_b64 v[2:3], 3, v[2:3]
	v_mov_b32_e32 v1, s9
	v_add_co_u32_e32 v2, vcc, s8, v2
	v_addc_co_u32_e32 v3, vcc, v1, v3, vcc
	global_load_dwordx2 v[2:3], v[2:3], off
	s_waitcnt vmcnt(0)
	v_cvt_f16_f32_e32 v1, v2
	v_cvt_f16_f32_e32 v2, v3
	v_mad_u32_u24 v3, v79, 60, v78
	v_pack_b32_f16 v1, v1, v2
	v_pk_mul_f16 v1, v61, v1
	v_lshl_add_u32 v2, v3, 2, 0
	ds_write_b32 v2, v1 offset:192
.LBB19_356:
	s_or_b64 exec, exec, s[2:3]
	v_add_u32_e32 v14, 32, v79
	v_lshrrev_b32_e32 v1, 2, v14
	v_add_u32_e32 v1, s4, v1
	v_cmp_le_i32_e32 vcc, s28, v1
	s_mul_hi_u32 s2, s12, s10
	s_or_b64 s[0:1], vcc, s[0:1]
	s_and_saveexec_b64 s[10:11], s[0:1]
	s_xor_b64 s[0:1], exec, s[10:11]
	s_cbranch_execz .LBB19_358
; %bb.357:
	v_mad_u32_u24 v0, v14, 60, v78
	v_lshl_add_u32 v0, v0, 2, 0
	v_mov_b32_e32 v1, 0
	ds_write_b32 v0, v1 offset:192
                                        ; implicit-def: $vgpr0
                                        ; implicit-def: $vgpr1
                                        ; implicit-def: $vgpr61
.LBB19_358:
	s_or_saveexec_b64 s[0:1], s[0:1]
	s_ashr_i32 s3, s5, 31
	s_xor_b64 exec, exec, s[0:1]
	s_cbranch_execz .LBB19_360
; %bb.359:
	v_mad_u64_u32 v[0:1], s[10:11], v1, s55, v[0:1]
	v_ashrrev_i32_e32 v1, 31, v0
	v_lshlrev_b64 v[0:1], 3, v[0:1]
	v_mov_b32_e32 v2, s9
	v_add_co_u32_e32 v0, vcc, s8, v0
	v_addc_co_u32_e32 v1, vcc, v2, v1, vcc
	global_load_dwordx2 v[0:1], v[0:1], off
	v_mad_u32_u24 v2, v14, 60, v78
	s_waitcnt vmcnt(0)
	v_cvt_f16_f32_e32 v0, v0
	v_cvt_f16_f32_e32 v1, v1
	v_pack_b32_f16 v0, v0, v1
	v_pk_mul_f16 v0, v61, v0
	v_lshl_add_u32 v1, v2, 2, 0
	ds_write_b32 v1, v0 offset:192
.LBB19_360:
	s_or_b64 exec, exec, s[0:1]
	s_mul_i32 s0, s5, s37
	s_mul_hi_u32 s1, s5, s36
	s_add_i32 s0, s1, s0
	s_mul_i32 s1, s3, s36
	v_readlane_b32 s8, v238, 15
	s_add_i32 s0, s0, s1
	s_mul_i32 s1, s5, s36
	v_readlane_b32 s9, v238, 16
	s_add_u32 s1, s14, s1
	s_mul_i32 s8, s6, s9
	s_addc_u32 s0, s15, s0
	s_ashr_i32 s9, s8, 31
	s_add_u32 s10, s1, s8
	s_mul_i32 s2, s2, s7
	s_addc_u32 s11, s0, s9
	s_sub_i32 s0, s12, s2
	s_sub_i32 s1, s0, s7
	s_cmp_ge_u32 s0, s7
	s_cselect_b32 s0, s1, s0
	s_sub_i32 s1, s0, s7
	s_cmp_ge_u32 s0, s7
	s_cselect_b32 s0, s1, s0
	s_xor_b32 s0, s0, s3
	v_readlane_b32 s8, v238, 13
	s_sub_i32 s0, s0, s3
	v_readlane_b32 s9, v238, 14
	s_ashr_i32 s1, s0, 31
	s_mul_i32 s2, s0, s9
	s_mul_hi_u32 s7, s0, s8
	s_add_i32 s2, s7, s2
	s_mul_i32 s1, s1, s8
	s_mul_i32 s0, s0, s8
	v_readlane_b32 s8, v238, 11
	s_add_i32 s2, s2, s1
	v_readlane_b32 s9, v238, 12
	s_add_u32 s12, s18, s0
	s_mul_i32 s0, s5, s9
	s_mul_hi_u32 s1, s5, s8
	s_addc_u32 s13, s19, s2
	s_add_i32 s0, s1, s0
	s_mul_i32 s3, s3, s8
	s_add_i32 s0, s0, s3
	s_mul_i32 s5, s5, s8
	s_add_u32 s1, s16, s5
	s_mul_i32 s6, s6, s39
	s_addc_u32 s0, s17, s0
	s_ashr_i32 s2, s6, 31
	s_add_u32 s8, s1, s6
	s_addc_u32 s9, s0, s2
	s_movk_i32 s0, 0xf00
	v_and_b32_e32 v1, 0x7e, v13
	v_mad_u32_u24 v0, v59, s0, 0
	v_mul_u32_u24_e32 v97, 0xf0, v73
	v_lshlrev_b32_e32 v98, 2, v1
	v_add3_u32 v82, v0, v97, v98
	s_waitcnt lgkmcnt(0)
	s_barrier
	ds_read2_b64 v[8:11], v82 offset1:4
	ds_read2_b64 v[4:7], v82 offset0:8 offset1:12
	ds_read2_b64 v[0:3], v82 offset0:16 offset1:20
	ds_read_b64 v[20:21], v82 offset:192
	v_add_u32_e32 v101, -1, v12
	v_cmp_lt_i32_e32 vcc, s34, v101
	v_lshlrev_b32_e32 v12, 1, v70
	s_mov_b32 s5, 0
	v_and_b32_e32 v12, 62, v12
	s_waitcnt lgkmcnt(0)
	s_barrier
	s_cbranch_vccnz .LBB19_362
; %bb.361:
	v_add_u32_e32 v15, s4, v67
	v_mul_hi_u32 v16, s46, v15
	v_add_u32_e32 v16, v15, v16
	v_lshrrev_b32_e32 v16, s47, v16
	v_mul_lo_u32 v16, v16, s28
	v_sub_u32_e32 v15, v15, v16
	v_mad_i64_i32 v[28:29], s[0:1], v15, s24, 0
	v_add_u32_e32 v15, s4, v65
	v_mul_hi_u32 v16, s46, v15
	v_add_u32_e32 v16, v15, v16
	v_lshrrev_b32_e32 v16, s47, v16
	v_mul_lo_u32 v16, v16, s28
	v_sub_u32_e32 v15, v15, v16
	s_movk_i32 s2, 0x90
	v_mov_b32_e32 v16, 0x480
	v_mad_i64_i32 v[30:31], s[0:1], v15, s24, 0
	v_lshrrev_b32_e32 v15, 1, v70
	v_mul_u32_u24_e32 v99, 0x90, v67
	v_mad_u32_u24 v100, v67, s2, v16
	s_ashr_i32 s3, s40, 31
	v_lshl_add_u32 v94, v59, 5, v15
	s_mov_b64 s[0:1], 0
	s_mov_b32 s7, 0xfeffffff
	s_mov_b32 s6, 0
	s_branch .LBB19_363
.LBB19_362:
	s_mov_b64 s[0:1], -1
                                        ; implicit-def: $sgpr6
                                        ; implicit-def: $sgpr5
                                        ; implicit-def: $sgpr7
                                        ; implicit-def: $vgpr99
                                        ; implicit-def: $vgpr28_vgpr29
                                        ; implicit-def: $vgpr100
                                        ; implicit-def: $vgpr30_vgpr31
                                        ; implicit-def: $vgpr94
                                        ; implicit-def: $sgpr2_sgpr3
.LBB19_363:
	v_mul_lo_u32 v26, s40, v79
	v_mul_lo_u32 v16, s30, v14
	;; [unrolled: 1-line block ×3, first 2 shown]
	s_andn2_b64 vcc, exec, s[0:1]
	v_mov_b32_e32 v23, s6
	v_mov_b32_e32 v54, s5
	;; [unrolled: 1-line block ×3, first 2 shown]
	v_lshlrev_b32_e32 v102, 1, v12
	v_lshrrev_b32_e32 v93, 2, v70
	v_ashrrev_i32_e32 v27, 31, v26
	v_lshl_add_u32 v24, s40, 5, v26
	v_lshl_or_b32 v96, v13, 2, 4
	v_mbcnt_lo_u32_b32 v95, -1, 0
	v_ashrrev_i32_e32 v17, 31, v16
	v_ashrrev_i32_e32 v19, 31, v18
	v_lshlrev_b32_e32 v92, 1, v73
	v_mov_b32_e32 v83, s6
	v_mov_b32_e32 v126, s6
	;; [unrolled: 1-line block ×13, first 2 shown]
	s_cbranch_vccnz .LBB19_371
; %bb.364:
	v_mov_b32_e32 v12, s13
	v_add_co_u32_e32 v103, vcc, s12, v102
	v_addc_co_u32_e32 v104, vcc, 0, v12, vcc
	v_add_u32_e32 v12, s4, v67
	v_mul_hi_u32 v13, s46, v12
	v_add_u32_e32 v13, v12, v13
	v_lshrrev_b32_e32 v13, s47, v13
	v_mul_lo_u32 v13, v13, s28
	v_sub_u32_e32 v12, v12, v13
	v_mad_i64_i32 v[28:29], s[0:1], v12, s24, 0
	v_add_u32_e32 v12, s4, v65
	v_mul_hi_u32 v13, s46, v12
	v_add_u32_e32 v13, v12, v13
	v_lshrrev_b32_e32 v13, s47, v13
	v_mul_lo_u32 v13, v13, s28
	v_sub_u32_e32 v12, v12, v13
	v_mad_i64_i32 v[30:31], s[0:1], v12, s24, 0
	v_lshrrev_b32_e32 v12, 1, v70
	v_lshlrev_b32_e32 v34, 2, v70
	v_and_b32_e32 v38, 0xfc, v93
	v_lshl_add_u32 v94, v59, 5, v12
	s_movk_i32 s4, 0xf0
	v_and_b32_e32 v32, 4, v34
	v_and_or_b32 v22, v70, 12, v63
	v_mul_u32_u24_e32 v40, 0x78, v38
	s_movk_i32 s2, 0x90
	v_mov_b32_e32 v13, 0x480
	v_mad_u32_u24 v14, v94, s4, 0
	v_lshlrev_b32_e32 v15, 2, v32
	s_movk_i32 s5, 0xc0
	v_add_u32_e32 v35, v63, v93
	v_lshrrev_b32_e32 v22, 2, v22
	v_or_b32_e32 v40, v40, v73
	v_mad_u32_u24 v100, v67, s2, v13
	v_add3_u32 v105, v14, v15, s5
	v_mad_u32_u24 v36, v35, s4, 0
	v_mul_lo_u32 v14, s40, v35
	v_mad_u32_u24 v22, v22, s2, 0
	v_mul_lo_u32 v44, s30, v35
	v_lshlrev_b32_e32 v35, 1, v40
	s_add_i32 s2, 0, 0xf00
	v_add_u32_e32 v114, s2, v35
	s_add_i32 s2, 0, 0x1e00
	s_add_i32 s4, 0, 0x80
	v_add_u32_e32 v115, s2, v35
	s_add_i32 s2, 0, 0x2d00
	v_add_u32_e32 v131, s4, v35
	;; [unrolled: 2-line block ×4, first 2 shown]
	s_add_i32 s4, 0, 0x1e80
	v_lshl_add_u32 v107, v38, 1, v22
	v_add_u32_e32 v108, v22, v96
	v_mbcnt_hi_u32_b32 v22, -1, v95
	v_add_u32_e32 v118, s2, v35
	s_add_i32 s2, 0, 0x1e20
	v_add_u32_e32 v133, s4, v35
	s_add_i32 s4, 0, 0x2d80
	v_and_b32_e32 v23, 64, v22
	v_add_u32_e32 v119, s2, v35
	s_add_i32 s2, 0, 0x2d20
	v_add_u32_e32 v134, s4, v35
	s_add_i32 s4, 0, 0xa0
	v_add_u32_e32 v23, 64, v23
	v_xor_b32_e32 v39, 32, v22
	v_add_u32_e32 v120, s2, v35
	s_add_i32 s2, 0, 0xf40
	v_add_u32_e32 v135, s4, v35
	s_add_i32 s4, 0, 0xfa0
	v_cmp_lt_i32_e32 vcc, v39, v23
	v_add_u32_e32 v122, s2, v35
	s_add_i32 s2, 0, 0x1e40
	v_add_u32_e32 v136, s4, v35
	s_add_i32 s4, 0, 0x1ea0
	v_cndmask_b32_e32 v39, v22, v39, vcc
	v_add_u32_e32 v123, s2, v35
	s_add_i32 s2, 0, 0x2d40
	v_add_u32_e32 v137, s4, v35
	s_add_i32 s4, 0, 0x2da0
	v_lshlrev_b32_e32 v109, 2, v39
	v_xor_b32_e32 v39, 16, v22
	v_add_u32_e32 v124, s2, v35
	s_add_i32 s2, 0, 0x60
	v_add_u32_e32 v138, s4, v35
	s_add_i32 s4, 0, 0xc0
	v_cmp_lt_i32_e32 vcc, v39, v23
	v_add_u32_e32 v125, s2, v35
	s_add_i32 s2, 0, 0xf60
	v_add_u32_e32 v139, s4, v35
	s_add_i32 s4, 0, 0xfc0
	v_cndmask_b32_e32 v22, v22, v39, vcc
	v_mul_u32_u24_e32 v38, 0xf0, v38
	v_add_u32_e32 v128, s2, v35
	s_add_i32 s2, 0, 0x1e60
	v_add_u32_e32 v140, s4, v35
	s_add_i32 s4, 0, 0x1ec0
	v_and_b32_e32 v40, 28, v34
	v_mul_lo_u32 v12, s40, v94
	v_mul_u32_u24_e32 v37, 0xf0, v79
	v_lshlrev_b32_e32 v110, 2, v22
	v_mul_lo_u32 v22, s30, v94
	v_or_b32_e32 v39, 3, v93
	v_add3_u32 v112, 0, v38, v92
	v_add_u32_e32 v129, s2, v35
	s_add_i32 s2, 0, 0x2d60
	v_add_u32_e32 v141, s4, v35
	s_add_i32 s4, 0, 0x2dc0
	v_and_b32_e32 v38, 12, v34
	v_lshlrev_b32_e32 v34, 2, v40
	v_add_u32_e32 v33, 0, v102
	v_mul_u32_u24_e32 v99, 0x90, v67
	v_ashrrev_i32_e32 v13, 31, v12
	v_ashrrev_i32_e32 v15, 31, v14
	;; [unrolled: 1-line block ×3, first 2 shown]
	v_add_u32_e32 v42, 32, v107
	v_add_u32_e32 v43, 64, v107
	;; [unrolled: 1-line block ×3, first 2 shown]
	v_ashrrev_i32_e32 v23, 31, v22
	v_mul_u32_u24_e32 v39, 0xf0, v39
	v_ashrrev_i32_e32 v45, 31, v44
	v_add_u32_e32 v111, 0, v35
	v_add3_u32 v117, 0, 32, v35
	v_add3_u32 v121, 0, 64, v35
	v_add_u32_e32 v130, s2, v35
	s_movk_i32 s2, 0x80
	v_add_u32_e32 v143, s4, v35
	v_lshlrev_b32_e32 v35, 2, v38
	v_add3_u32 v145, 0, v37, v34
	v_mov_b32_e32 v153, 0
	s_ashr_i32 s3, s40, 31
	v_cmp_gt_u32_e64 s[0:1], 64, v94
	v_add3_u32 v106, 0, v97, v98
	v_add3_u32 v113, 0, v39, v92
	;; [unrolled: 1-line block ×3, first 2 shown]
	v_add_u32_e32 v146, 0x1e00, v145
	s_lshl_b32 s4, s34, 6
	v_mov_b32_e32 v159, 0xfeffffff
	v_add_u32_e32 v147, v33, v99
	v_lshlrev_b64 v[34:35], 2, v[12:13]
	v_lshlrev_b64 v[36:37], 2, v[14:15]
	v_lshlrev_b32_e32 v148, 2, v38
	v_lshlrev_b64 v[38:39], 2, v[26:27]
	v_lshlrev_b32_e32 v149, 2, v40
	v_lshlrev_b64 v[40:41], 2, v[24:25]
	v_add_u32_e32 v25, 0x3c00, v42
	v_add_u32_e32 v150, 0x3c00, v43
	;; [unrolled: 1-line block ×3, first 2 shown]
	v_lshlrev_b64 v[42:43], 2, v[22:23]
	s_mov_b32 s2, 0x3fb8aa3b
	s_mov_b32 s14, 0xc2ce8ed0
	;; [unrolled: 1-line block ×4, first 2 shown]
	v_lshlrev_b64 v[44:45], 2, v[44:45]
	v_lshlrev_b64 v[46:47], 2, v[18:19]
	;; [unrolled: 1-line block ×3, first 2 shown]
	s_mov_b32 s17, 0x5040100
	v_mov_b32_e32 v152, 0x7f800000
	v_mov_b32_e32 v85, 0
	;; [unrolled: 1-line block ×15, first 2 shown]
.LBB19_365:                             ; =>This Inner Loop Header: Depth=1
	s_ashr_i32 s5, s4, 31
	s_lshl_b64 s[6:7], s[4:5], 1
	v_mov_b32_e32 v12, s7
	v_add_co_u32_e32 v22, vcc, s6, v103
	v_addc_co_u32_e32 v50, vcc, v104, v12, vcc
	v_lshlrev_b64 v[12:13], 1, v[28:29]
	v_add_co_u32_e32 v12, vcc, v22, v12
	v_addc_co_u32_e32 v13, vcc, v50, v13, vcc
	v_lshlrev_b64 v[14:15], 1, v[30:31]
	v_add_co_u32_e32 v14, vcc, v22, v14
	v_addc_co_u32_e32 v15, vcc, v50, v15, vcc
	global_load_dword v12, v[12:13], off
	s_nop 0
	global_load_dword v13, v[14:15], off
	s_mul_hi_i32 s7, s4, s40
	s_mul_i32 s6, s4, s40
	s_lshl_b64 s[6:7], s[6:7], 2
	s_add_u32 s5, s10, s6
	s_addc_u32 s18, s11, s7
	s_waitcnt vmcnt(1)
	ds_write_b32 v147, v12 offset:15360
	s_waitcnt vmcnt(0)
	ds_write_b32 v147, v13 offset:16512
	s_and_saveexec_b64 s[6:7], s[0:1]
	s_cbranch_execz .LBB19_367
; %bb.366:                              ;   in Loop: Header=BB19_365 Depth=1
	v_mov_b32_e32 v12, s18
	v_add_co_u32_e32 v13, vcc, s5, v34
	v_addc_co_u32_e32 v14, vcc, v12, v35, vcc
	v_lshlrev_b32_e32 v12, 2, v32
	v_add_co_u32_e32 v12, vcc, v13, v12
	v_addc_co_u32_e32 v13, vcc, 0, v14, vcc
	global_load_dwordx4 v[12:15], v[12:13], off offset:192
	s_waitcnt vmcnt(0)
	ds_write_b128 v105, v[12:15]
.LBB19_367:                             ;   in Loop: Header=BB19_365 Depth=1
	s_or_b64 exec, exec, s[6:7]
	v_mov_b32_e32 v12, s18
	v_add_co_u32_e32 v13, vcc, s5, v36
	v_addc_co_u32_e32 v14, vcc, v12, v37, vcc
	v_add_co_u32_e32 v12, vcc, v13, v148
	v_addc_co_u32_e32 v13, vcc, 0, v14, vcc
	v_mov_b32_e32 v14, s18
	v_add_co_u32_e32 v15, vcc, s5, v38
	v_addc_co_u32_e32 v14, vcc, v14, v39, vcc
	v_add_co_u32_e32 v50, vcc, v15, v149
	v_addc_co_u32_e32 v51, vcc, 0, v14, vcc
	v_mov_b32_e32 v22, s18
	v_add_co_u32_e32 v54, vcc, s5, v40
	v_addc_co_u32_e32 v22, vcc, v22, v41, vcc
	global_load_dwordx4 v[12:15], v[12:13], off offset:128
	s_nop 0
	global_load_dwordx4 v[50:53], v[50:51], off
	v_add_co_u32_e32 v54, vcc, v54, v149
	v_addc_co_u32_e32 v55, vcc, 0, v22, vcc
	global_load_dwordx4 v[54:57], v[54:55], off
	v_add_u32_e32 v22, 0x800, v106
	v_add_u32_e32 v158, 0x1800, v106
	s_mul_hi_i32 s7, s4, s30
	s_mul_i32 s6, s4, s30
	s_lshl_b64 s[6:7], s[6:7], 2
	s_add_u32 s5, s8, s6
	s_addc_u32 s18, s9, s7
	s_waitcnt vmcnt(2)
	ds_write_b128 v144, v[12:15]
	s_waitcnt vmcnt(1)
	ds_write_b128 v145, v[50:53]
	;; [unrolled: 2-line block ×3, first 2 shown]
	s_waitcnt lgkmcnt(0)
	s_barrier
	ds_read2_b64 v[12:15], v106 offset1:4
	ds_read2_b64 v[54:57], v22 offset0:224 offset1:228
	ds_read2_b64 v[154:157], v158 offset0:192 offset1:196
	s_waitcnt lgkmcnt(2)
	v_mfma_f32_16x16x16f16 v[50:53], v[12:13], v[8:9], 0
	s_waitcnt lgkmcnt(1)
	v_mfma_f32_16x16x16f16 v[58:61], v[54:55], v[8:9], 0
	;; [unrolled: 2-line block ×3, first 2 shown]
	v_mfma_f32_16x16x16f16 v[12:15], v[14:15], v[10:11], v[50:53]
	v_mfma_f32_16x16x16f16 v[50:53], v[56:57], v[10:11], v[58:61]
	;; [unrolled: 1-line block ×3, first 2 shown]
	s_nop 5
	ds_read2_b64 v[58:61], v106 offset0:8 offset1:12
	ds_read2_b64 v[154:157], v22 offset0:232 offset1:236
	s_waitcnt lgkmcnt(1)
	v_mfma_f32_16x16x16f16 v[12:15], v[58:59], v[4:5], v[12:15]
	ds_read2_b64 v[160:163], v158 offset0:200 offset1:204
	s_waitcnt lgkmcnt(1)
	v_mfma_f32_16x16x16f16 v[50:53], v[154:155], v[4:5], v[50:53]
	v_mfma_f32_16x16x16f16 v[12:15], v[60:61], v[6:7], v[12:15]
	ds_read2_b64 v[58:61], v106 offset0:16 offset1:20
	v_mfma_f32_16x16x16f16 v[50:53], v[156:157], v[6:7], v[50:53]
	ds_read2_b64 v[154:157], v22 offset0:240 offset1:244
	v_add_u32_e32 v22, 0x2800, v106
	s_waitcnt lgkmcnt(1)
	v_mfma_f32_16x16x16f16 v[12:15], v[58:59], v[0:1], v[12:15]
	s_waitcnt lgkmcnt(0)
	v_mfma_f32_16x16x16f16 v[50:53], v[154:155], v[0:1], v[50:53]
	v_mfma_f32_16x16x16f16 v[12:15], v[60:61], v[2:3], v[12:15]
	ds_read_b64 v[58:59], v106 offset:192
	ds_read_b64 v[60:61], v106 offset:4032
	;; [unrolled: 1-line block ×4, first 2 shown]
	v_mfma_f32_16x16x16f16 v[50:53], v[156:157], v[2:3], v[50:53]
	v_mfma_f32_16x16x16f16 v[54:57], v[160:161], v[4:5], v[54:57]
	s_waitcnt lgkmcnt(3)
	v_mfma_f32_16x16x16f16 v[12:15], v[58:59], v[20:21], v[12:15]
	s_waitcnt lgkmcnt(2)
	v_mfma_f32_16x16x16f16 v[50:53], v[60:61], v[20:21], v[50:53]
	ds_read2_b64 v[58:61], v158 offset0:208 offset1:212
	v_mfma_f32_16x16x16f16 v[54:57], v[162:163], v[6:7], v[54:57]
	s_waitcnt lgkmcnt(0)
	v_mfma_f32_16x16x16f16 v[54:57], v[58:59], v[0:1], v[54:57]
	v_mfma_f32_16x16x16f16 v[54:57], v[60:61], v[2:3], v[54:57]
	ds_read2_b64 v[58:61], v22 offset0:160 offset1:164
	ds_read2_b64 v[154:157], v22 offset0:168 offset1:172
	;; [unrolled: 1-line block ×3, first 2 shown]
	s_waitcnt lgkmcnt(0)
	s_barrier
	ds_read_b32 v22, v108 offset:15360
	ds_read_b32 v158, v107 offset:15360
	ds_read2_b32 v[170:171], v25 offset1:1
	ds_read2_b32 v[172:173], v150 offset1:1
	ds_read2_b32 v[176:177], v151 offset1:1
	s_waitcnt lgkmcnt(4)
	v_cvt_f32_f16_sdwa v175, v22 dst_sel:DWORD dst_unused:UNUSED_PAD src0_sel:WORD_1
	v_mfma_f32_16x16x16f16 v[164:167], v[164:165], v[20:21], v[54:57]
	v_cvt_f32_f16_e32 v174, v22
	v_mfma_f32_16x16x16f16 v[54:57], v[58:59], v[8:9], 0
	v_pk_add_f32 v[58:59], v[14:15], v[174:175]
	s_waitcnt lgkmcnt(3)
	v_cvt_f32_f16_sdwa v15, v158 dst_sel:DWORD dst_unused:UNUSED_PAD src0_sel:WORD_1
	v_cvt_f32_f16_e32 v14, v158
	s_waitcnt lgkmcnt(2)
	v_cvt_f32_f16_e32 v174, v171
	v_cvt_f32_f16_sdwa v175, v171 dst_sel:DWORD dst_unused:UNUSED_PAD src0_sel:WORD_1
	v_add_f32_e32 v22, 0x40051340, v58
	v_add_f32_e32 v158, 0x40051340, v59
	v_mfma_f32_16x16x16f16 v[54:57], v[60:61], v[10:11], v[54:57]
	v_pk_add_f32 v[60:61], v[12:13], v[14:15]
	v_add_f32_e32 v178, 0x40051340, v60
	v_add_f32_e32 v179, 0x40051340, v61
	v_mfma_f32_16x16x16f16 v[12:15], v[154:155], v[4:5], v[54:57]
	v_mfma_f32_16x16x16f16 v[12:15], v[156:157], v[6:7], v[12:15]
	s_nop 5
	v_max3_f32 v54, v159, v178, v179
	v_max3_f32 v22, v54, v22, v158
	v_pk_add_f32 v[54:55], v[52:53], v[174:175]
	v_cvt_f32_f16_e32 v52, v170
	v_cvt_f32_f16_sdwa v53, v170 dst_sel:DWORD dst_unused:UNUSED_PAD src0_sel:WORD_1
	v_add_f32_e32 v154, 0x40051340, v54
	v_add_f32_e32 v155, 0x40051340, v55
	v_mfma_f32_16x16x16f16 v[12:15], v[160:161], v[0:1], v[12:15]
	v_pk_add_f32 v[56:57], v[50:51], v[52:53]
	v_add_f32_e32 v50, 0x40051340, v56
	v_add_f32_e32 v51, 0x40051340, v57
	s_waitcnt lgkmcnt(1)
	v_cvt_f32_f16_e32 v52, v172
	v_cvt_f32_f16_sdwa v53, v172 dst_sel:DWORD dst_unused:UNUSED_PAD src0_sel:WORD_1
	v_max3_f32 v22, v22, v50, v51
	v_cvt_f32_f16_e32 v50, v173
	v_mfma_f32_16x16x16f16 v[12:15], v[162:163], v[2:3], v[12:15]
	v_cvt_f32_f16_sdwa v51, v173 dst_sel:DWORD dst_unused:UNUSED_PAD src0_sel:WORD_1
	v_pk_add_f32 v[52:53], v[164:165], v[52:53]
	v_max3_f32 v22, v22, v154, v155
	v_add_f32_e32 v156, 0x40051340, v52
	v_pk_add_f32 v[50:51], v[166:167], v[50:51]
	v_add_f32_e32 v157, 0x40051340, v53
	v_add_f32_e32 v154, 0x40051340, v50
	;; [unrolled: 1-line block ×3, first 2 shown]
	v_max3_f32 v22, v22, v156, v157
	v_max3_f32 v22, v22, v154, v155
	v_mfma_f32_16x16x16f16 v[154:157], v[168:169], v[20:21], v[12:15]
	s_waitcnt lgkmcnt(0)
	v_cvt_f32_f16_e32 v162, v176
	v_cvt_f32_f16_sdwa v163, v176 dst_sel:DWORD dst_unused:UNUSED_PAD src0_sel:WORD_1
	v_cvt_f32_f16_e32 v160, v177
	v_cvt_f32_f16_sdwa v161, v177 dst_sel:DWORD dst_unused:UNUSED_PAD src0_sel:WORD_1
	s_nop 5
	v_pk_add_f32 v[14:15], v[154:155], v[162:163]
	v_pk_add_f32 v[12:13], v[156:157], v[160:161]
	v_add_f32_e32 v154, 0x40051340, v14
	v_add_f32_e32 v155, 0x40051340, v15
	;; [unrolled: 1-line block ×4, first 2 shown]
	v_max3_f32 v22, v22, v154, v155
	v_max3_f32 v22, v22, v156, v157
	ds_bpermute_b32 v154, v109, v22
	s_waitcnt lgkmcnt(0)
	v_max_f32_e32 v154, v154, v154
	v_max_f32_e32 v22, v22, v154
	ds_bpermute_b32 v154, v110, v22
	s_and_saveexec_b64 s[6:7], s[0:1]
	s_cbranch_execz .LBB19_369
; %bb.368:                              ;   in Loop: Header=BB19_365 Depth=1
	v_mov_b32_e32 v155, s18
	v_add_co_u32_e32 v156, vcc, s5, v42
	v_addc_co_u32_e32 v155, vcc, v155, v43, vcc
	v_lshlrev_b32_e32 v157, 2, v32
	v_add_co_u32_e32 v156, vcc, v156, v157
	v_addc_co_u32_e32 v157, vcc, 0, v155, vcc
	global_load_dwordx4 v[160:163], v[156:157], off offset:192
	s_waitcnt vmcnt(0)
	ds_write_b128 v105, v[160:163]
.LBB19_369:                             ;   in Loop: Header=BB19_365 Depth=1
	s_or_b64 exec, exec, s[6:7]
	s_waitcnt lgkmcnt(0)
	v_max_f32_e32 v154, v154, v154
	v_max_f32_e32 v22, v22, v22
	;; [unrolled: 1-line block ×3, first 2 shown]
	v_pk_add_f32 v[154:155], v[60:61], v[22:23] op_sel_hi:[1,0] neg_lo:[0,1] neg_hi:[0,1]
	v_mul_f32_e32 v60, 0x3fb8aa3b, v155
	v_fma_f32 v61, v155, s2, -v60
	v_rndne_f32_e32 v156, v60
	v_fmac_f32_e32 v61, 0x32a5705f, v155
	v_sub_f32_e32 v60, v60, v156
	v_add_f32_e32 v60, v60, v61
	v_exp_f32_e32 v60, v60
	v_cvt_i32_f32_e32 v61, v156
	v_cmp_ngt_f32_e32 vcc, s14, v155
	v_pk_add_f32 v[52:53], v[52:53], v[22:23] op_sel_hi:[1,0] neg_lo:[0,1] neg_hi:[0,1]
	v_pk_add_f32 v[50:51], v[50:51], v[22:23] op_sel_hi:[1,0] neg_lo:[0,1] neg_hi:[0,1]
	v_ldexp_f32 v60, v60, v61
	v_mul_f32_e32 v61, 0x3fb8aa3b, v154
	v_fma_f32 v156, v154, s2, -v61
	v_rndne_f32_e32 v157, v61
	v_fmac_f32_e32 v156, 0x32a5705f, v154
	v_sub_f32_e32 v61, v61, v157
	v_add_f32_e32 v61, v61, v156
	v_exp_f32_e32 v61, v61
	v_cvt_i32_f32_e32 v156, v157
	v_cndmask_b32_e32 v60, 0, v60, vcc
	v_cmp_nlt_f32_e32 vcc, s15, v155
	v_cndmask_b32_e32 v60, v152, v60, vcc
	v_ldexp_f32 v61, v61, v156
	v_pk_add_f32 v[156:157], v[58:59], v[22:23] op_sel_hi:[1,0] neg_lo:[0,1] neg_hi:[0,1]
	v_mul_f32_e32 v58, 0x3fb8aa3b, v157
	v_fma_f32 v59, v157, s2, -v58
	v_rndne_f32_e32 v155, v58
	v_fmac_f32_e32 v59, 0x32a5705f, v157
	v_sub_f32_e32 v58, v58, v155
	v_add_f32_e32 v58, v58, v59
	v_exp_f32_e32 v59, v58
	v_cvt_i32_f32_e32 v155, v155
	v_cmp_ngt_f32_e32 vcc, s14, v154
	v_cndmask_b32_e32 v58, 0, v61, vcc
	v_mul_f32_e32 v61, 0x3fb8aa3b, v156
	v_cmp_nlt_f32_e32 vcc, s15, v154
	v_ldexp_f32 v59, v59, v155
	v_fma_f32 v154, v156, s2, -v61
	v_rndne_f32_e32 v155, v61
	v_fmac_f32_e32 v154, 0x32a5705f, v156
	v_sub_f32_e32 v61, v61, v155
	v_add_f32_e32 v61, v61, v154
	v_exp_f32_e32 v61, v61
	v_cvt_i32_f32_e32 v154, v155
	v_cndmask_b32_e32 v58, v152, v58, vcc
	v_cmp_ngt_f32_e32 vcc, s14, v157
	v_cndmask_b32_e32 v59, 0, v59, vcc
	v_ldexp_f32 v61, v61, v154
	v_pk_add_f32 v[154:155], v[56:57], v[22:23] op_sel_hi:[1,0] neg_lo:[0,1] neg_hi:[0,1]
	v_mul_f32_e32 v56, 0x3fb8aa3b, v155
	v_cmp_nlt_f32_e32 vcc, s15, v157
	v_fma_f32 v57, v155, s2, -v56
	v_rndne_f32_e32 v157, v56
	v_fmac_f32_e32 v57, 0x32a5705f, v155
	v_sub_f32_e32 v56, v56, v157
	v_add_f32_e32 v56, v56, v57
	v_exp_f32_e32 v57, v56
	v_cvt_i32_f32_e32 v157, v157
	v_cndmask_b32_e32 v59, v152, v59, vcc
	v_cmp_ngt_f32_e32 vcc, s14, v156
	v_cndmask_b32_e32 v56, 0, v61, vcc
	v_mul_f32_e32 v61, 0x3fb8aa3b, v154
	v_cmp_nlt_f32_e32 vcc, s15, v156
	v_ldexp_f32 v57, v57, v157
	v_fma_f32 v156, v154, s2, -v61
	v_rndne_f32_e32 v157, v61
	v_fmac_f32_e32 v156, 0x32a5705f, v154
	v_sub_f32_e32 v61, v61, v157
	v_add_f32_e32 v61, v61, v156
	v_exp_f32_e32 v61, v61
	v_cvt_i32_f32_e32 v156, v157
	v_cndmask_b32_e32 v56, v152, v56, vcc
	v_cmp_ngt_f32_e32 vcc, s14, v155
	v_cndmask_b32_e32 v57, 0, v57, vcc
	v_ldexp_f32 v61, v61, v156
	v_pk_add_f32 v[156:157], v[54:55], v[22:23] op_sel_hi:[1,0] neg_lo:[0,1] neg_hi:[0,1]
	v_mul_f32_e32 v54, 0x3fb8aa3b, v157
	v_cmp_nlt_f32_e32 vcc, s15, v155
	v_fma_f32 v55, v157, s2, -v54
	v_rndne_f32_e32 v155, v54
	v_fmac_f32_e32 v55, 0x32a5705f, v157
	v_sub_f32_e32 v54, v54, v155
	v_add_f32_e32 v54, v54, v55
	v_exp_f32_e32 v55, v54
	v_cvt_i32_f32_e32 v155, v155
	v_cndmask_b32_e32 v57, v152, v57, vcc
	v_cmp_ngt_f32_e32 vcc, s14, v154
	v_cndmask_b32_e32 v54, 0, v61, vcc
	v_mul_f32_e32 v61, 0x3fb8aa3b, v156
	v_cmp_nlt_f32_e32 vcc, s15, v154
	v_ldexp_f32 v55, v55, v155
	v_fma_f32 v154, v156, s2, -v61
	v_rndne_f32_e32 v155, v61
	v_fmac_f32_e32 v154, 0x32a5705f, v156
	v_sub_f32_e32 v61, v61, v155
	v_add_f32_e32 v61, v61, v154
	v_exp_f32_e32 v61, v61
	v_cvt_i32_f32_e32 v154, v155
	v_cndmask_b32_e32 v54, v152, v54, vcc
	v_cmp_ngt_f32_e32 vcc, s14, v157
	v_cndmask_b32_e32 v55, 0, v55, vcc
	v_ldexp_f32 v61, v61, v154
	v_mul_f32_e32 v154, 0x3fb8aa3b, v53
	v_cmp_nlt_f32_e32 vcc, s15, v157
	v_fma_f32 v155, v53, s2, -v154
	v_rndne_f32_e32 v157, v154
	v_fmac_f32_e32 v155, 0x32a5705f, v53
	v_sub_f32_e32 v154, v154, v157
	v_add_f32_e32 v154, v154, v155
	v_exp_f32_e32 v155, v154
	v_cvt_i32_f32_e32 v157, v157
	v_cndmask_b32_e32 v55, v152, v55, vcc
	v_cmp_ngt_f32_e32 vcc, s14, v156
	v_cndmask_b32_e32 v61, 0, v61, vcc
	v_cmp_nlt_f32_e32 vcc, s15, v156
	v_cndmask_b32_e32 v154, v152, v61, vcc
	v_ldexp_f32 v61, v155, v157
	v_mul_f32_e32 v155, 0x3fb8aa3b, v52
	v_fma_f32 v156, v52, s2, -v155
	v_rndne_f32_e32 v157, v155
	v_fmac_f32_e32 v156, 0x32a5705f, v52
	v_sub_f32_e32 v155, v155, v157
	v_add_f32_e32 v155, v155, v156
	v_exp_f32_e32 v155, v155
	v_cvt_i32_f32_e32 v156, v157
	v_cmp_ngt_f32_e32 vcc, s14, v53
	v_cndmask_b32_e32 v61, 0, v61, vcc
	v_cmp_nlt_f32_e32 vcc, s15, v53
	v_ldexp_f32 v53, v155, v156
	v_mul_f32_e32 v155, 0x3fb8aa3b, v51
	v_fma_f32 v156, v51, s2, -v155
	v_rndne_f32_e32 v157, v155
	v_fmac_f32_e32 v156, 0x32a5705f, v51
	v_sub_f32_e32 v155, v155, v157
	v_add_f32_e32 v155, v155, v156
	v_exp_f32_e32 v155, v155
	v_cvt_i32_f32_e32 v157, v157
	v_cndmask_b32_e32 v61, v152, v61, vcc
	v_cmp_ngt_f32_e32 vcc, s14, v52
	v_cndmask_b32_e32 v53, 0, v53, vcc
	v_cmp_nlt_f32_e32 vcc, s15, v52
	v_cndmask_b32_e32 v156, v152, v53, vcc
	v_mul_f32_e32 v53, 0x3fb8aa3b, v50
	v_ldexp_f32 v52, v155, v157
	v_fma_f32 v155, v50, s2, -v53
	v_rndne_f32_e32 v157, v53
	v_fmac_f32_e32 v155, 0x32a5705f, v50
	v_sub_f32_e32 v53, v53, v157
	v_add_f32_e32 v53, v53, v155
	v_exp_f32_e32 v53, v53
	v_cvt_i32_f32_e32 v157, v157
	v_cmp_ngt_f32_e32 vcc, s14, v51
	v_cndmask_b32_e32 v52, 0, v52, vcc
	v_cmp_nlt_f32_e32 vcc, s15, v51
	v_pk_add_f32 v[14:15], v[14:15], v[22:23] op_sel_hi:[1,0] neg_lo:[0,1] neg_hi:[0,1]
	v_cndmask_b32_e32 v155, v152, v52, vcc
	v_mul_f32_e32 v52, 0x3fb8aa3b, v15
	v_ldexp_f32 v51, v53, v157
	v_fma_f32 v53, v15, s2, -v52
	v_rndne_f32_e32 v157, v52
	v_fmac_f32_e32 v53, 0x32a5705f, v15
	v_sub_f32_e32 v52, v52, v157
	v_add_f32_e32 v52, v52, v53
	v_exp_f32_e32 v52, v52
	v_cvt_i32_f32_e32 v53, v157
	v_cmp_ngt_f32_e32 vcc, s14, v50
	v_cndmask_b32_e32 v51, 0, v51, vcc
	v_cmp_nlt_f32_e32 vcc, s15, v50
	v_cndmask_b32_e32 v157, v152, v51, vcc
	v_mov_b32_e32 v50, s18
	v_add_co_u32_e32 v51, vcc, s5, v44
	v_ldexp_f32 v158, v52, v53
	v_addc_co_u32_e32 v52, vcc, v50, v45, vcc
	v_add_co_u32_e32 v50, vcc, v51, v148
	v_addc_co_u32_e32 v51, vcc, 0, v52, vcc
	v_mov_b32_e32 v52, s18
	v_add_co_u32_e32 v53, vcc, s5, v46
	v_addc_co_u32_e32 v160, vcc, v52, v47, vcc
	v_add_co_u32_e32 v52, vcc, v53, v149
	v_addc_co_u32_e32 v53, vcc, 0, v160, vcc
	global_load_dwordx4 v[172:175], v[50:51], off offset:128
	global_load_dwordx4 v[176:179], v[52:53], off
	v_mov_b32_e32 v50, s18
	v_add_co_u32_e32 v51, vcc, s5, v48
	v_addc_co_u32_e32 v52, vcc, v50, v49, vcc
	v_add_co_u32_e32 v50, vcc, v51, v149
	v_addc_co_u32_e32 v51, vcc, 0, v52, vcc
	global_load_dwordx4 v[180:183], v[50:51], off
	v_mul_f32_e32 v50, 0x3fb8aa3b, v14
	v_fma_f32 v51, v14, s2, -v50
	v_rndne_f32_e32 v52, v50
	v_fmac_f32_e32 v51, 0x32a5705f, v14
	v_sub_f32_e32 v50, v50, v52
	v_add_f32_e32 v50, v50, v51
	v_exp_f32_e32 v50, v50
	v_cvt_i32_f32_e32 v51, v52
	v_cmp_ngt_f32_e32 vcc, s14, v15
	v_pk_add_f32 v[12:13], v[12:13], v[22:23] op_sel_hi:[1,0] neg_lo:[0,1] neg_hi:[0,1]
	v_cndmask_b32_e32 v52, 0, v158, vcc
	v_cmp_nlt_f32_e32 vcc, s15, v15
	v_ldexp_f32 v15, v50, v51
	v_mul_f32_e32 v50, 0x3fb8aa3b, v13
	v_cndmask_b32_e32 v158, v152, v52, vcc
	v_fma_f32 v51, v13, s2, -v50
	v_rndne_f32_e32 v52, v50
	v_fmac_f32_e32 v51, 0x32a5705f, v13
	v_sub_f32_e32 v50, v50, v52
	v_add_f32_e32 v50, v50, v51
	v_exp_f32_e32 v50, v50
	v_cvt_i32_f32_e32 v51, v52
	v_cmp_ngt_f32_e32 vcc, s14, v14
	v_cndmask_b32_e32 v15, 0, v15, vcc
	v_cmp_nlt_f32_e32 vcc, s15, v14
	v_cndmask_b32_e32 v160, v152, v15, vcc
	v_mul_f32_e32 v15, 0x3fb8aa3b, v12
	v_ldexp_f32 v14, v50, v51
	v_fma_f32 v50, v12, s2, -v15
	v_rndne_f32_e32 v51, v15
	v_fmac_f32_e32 v50, 0x32a5705f, v12
	v_sub_f32_e32 v15, v15, v51
	v_add_f32_e32 v15, v15, v50
	v_cvt_i32_f32_e32 v50, v51
	v_sub_f32_e32 v51, v159, v22
	v_mul_f32_e32 v52, 0x3fb8aa3b, v51
	v_fma_f32 v53, v51, s2, -v52
	v_rndne_f32_e32 v159, v52
	v_fmac_f32_e32 v53, 0x32a5705f, v51
	v_sub_f32_e32 v52, v52, v159
	v_add_f32_e32 v52, v52, v53
	v_exp_f32_e32 v52, v52
	v_cvt_i32_f32_e32 v53, v159
	v_cmp_ngt_f32_e32 vcc, s14, v13
	v_cndmask_b32_e32 v14, 0, v14, vcc
	v_cmp_nlt_f32_e32 vcc, s15, v13
	v_cndmask_b32_e32 v161, v152, v14, vcc
	v_ldexp_f32 v14, v52, v53
	v_cmp_ngt_f32_e32 vcc, s14, v51
	v_cndmask_b32_e32 v14, 0, v14, vcc
	v_cmp_nlt_f32_e32 vcc, s15, v51
	v_exp_f32_e32 v15, v15
	v_cndmask_b32_e32 v14, v152, v14, vcc
	v_cmp_le_f32_e32 vcc, s16, v51
	v_cndmask_b32_e32 v162, 0, v14, vcc
	v_cvt_f16_f32_e32 v159, v162
	v_ldexp_f32 v13, v15, v50
	v_cmp_ngt_f32_e32 vcc, s14, v12
	s_waitcnt vmcnt(2)
	ds_write_b128 v144, v[172:175]
	s_waitcnt vmcnt(1)
	ds_write_b128 v145, v[176:179]
	s_waitcnt vmcnt(0)
	ds_write_b128 v146, v[180:183]
	s_waitcnt lgkmcnt(0)
	s_barrier
	ds_read_u16 v172, v112 offset:4080
	ds_read_u16 v171, v112 offset:4112
	;; [unrolled: 1-line block ×8, first 2 shown]
	ds_read_u16 v177, v113
	ds_read_u16 v182, v113 offset:32
	ds_read_u16 v183, v113 offset:64
	;; [unrolled: 1-line block ×7, first 2 shown]
	v_cndmask_b32_e32 v13, 0, v13, vcc
	v_cmp_nlt_f32_e32 vcc, s15, v12
	s_waitcnt lgkmcnt(7)
	v_perm_b32 v177, v177, v176, s17
	ds_read_u16 v176, v112 offset:240
	ds_read_u16 v189, v112 offset:272
	;; [unrolled: 1-line block ×4, first 2 shown]
	ds_read_u16 v178, v111
	ds_read_u16 v192, v111 offset:32
	ds_read_u16 v193, v111 offset:64
	;; [unrolled: 1-line block ×8, first 2 shown]
	v_cndmask_b32_e32 v163, v152, v13, vcc
	v_pk_mul_f16 v13, v159, v127 op_sel_hi:[0,1]
	v_pk_mul_f16 v15, v159, v126 op_sel_hi:[0,1]
	v_cvt_f16_f32_e32 v50, v60
	v_cvt_f16_f32_e32 v51, v58
	;; [unrolled: 1-line block ×4, first 2 shown]
	s_waitcnt lgkmcnt(8)
	v_perm_b32 v176, v176, v178, s17
	v_cvt_f32_f16_e32 v12, v13
	v_cvt_f32_f16_sdwa v13, v13 dst_sel:DWORD dst_unused:UNUSED_PAD src0_sel:WORD_1
	v_cvt_f32_f16_e32 v14, v15
	v_cvt_f32_f16_sdwa v15, v15 dst_sel:DWORD dst_unused:UNUSED_PAD src0_sel:WORD_1
	v_pack_b32_f16 v50, v51, v50
	v_pack_b32_f16 v51, v170, v169
	v_cvt_f16_f32_e32 v166, v57
	v_cvt_f16_f32_e32 v167, v54
	v_mfma_f32_16x16x16f16 v[12:15], v[176:177], v[50:51], v[12:15]
	v_cvt_f16_f32_e32 v168, v55
	v_cvt_f16_f32_e32 v199, v154
	v_pk_mul_f16 v126, v159, v142 op_sel_hi:[0,1]
	v_cvt_f16_f32_e32 v142, v61
	v_cvt_f16_f32_e32 v164, v156
	;; [unrolled: 1-line block ×4, first 2 shown]
	s_nop 3
	v_cvt_f16_f32_e32 v12, v12
	v_cvt_f16_f32_e32 v13, v13
	;; [unrolled: 1-line block ×4, first 2 shown]
	v_cvt_f32_f16_e32 v176, v12
	v_cvt_f32_f16_e32 v177, v13
	;; [unrolled: 1-line block ×3, first 2 shown]
	ds_read_u16 v12, v114 offset:480
	ds_read_u16 v170, v115 offset:480
	;; [unrolled: 1-line block ×12, first 2 shown]
	s_waitcnt lgkmcnt(8)
	v_perm_b32 v15, v13, v12, s17
	v_perm_b32 v14, v172, v179, s17
	v_cvt_f32_f16_e32 v179, v169
	v_pack_b32_f16 v12, v167, v166
	v_pack_b32_f16 v13, v199, v168
	v_cvt_f16_f32_e32 v172, v157
	v_cvt_f16_f32_e32 v53, v160
	v_mfma_f32_16x16x16f16 v[166:169], v[14:15], v[12:13], v[176:179]
	v_cvt_f16_f32_e32 v127, v161
	v_pk_mul_f16 v33, v159, v33 op_sel_hi:[0,1]
	v_pack_b32_f16 v52, v53, v52
	v_pk_mul_f16 v91, v159, v91 op_sel_hi:[0,1]
	v_pk_mul_f16 v90, v159, v90 op_sel_hi:[0,1]
	s_waitcnt lgkmcnt(2)
	s_nop 0
	v_perm_b32 v177, v206, v170, s17
	v_cvt_f16_f32_e32 v170, v163
	s_nop 1
	v_cvt_f16_f32_e32 v14, v166
	v_cvt_f16_f32_e32 v15, v167
	;; [unrolled: 1-line block ×4, first 2 shown]
	v_cvt_f32_f16_e32 v166, v14
	v_cvt_f32_f16_e32 v167, v15
	ds_read_u16 v14, v111 offset:7680
	ds_read_u16 v199, v111 offset:7712
	;; [unrolled: 1-line block ×9, first 2 shown]
	s_waitcnt lgkmcnt(6)
	v_perm_b32 v176, v15, v14, s17
	v_cvt_f32_f16_e32 v168, v168
	v_cvt_f32_f16_e32 v169, v169
	v_pack_b32_f16 v14, v164, v142
	v_pack_b32_f16 v15, v172, v165
	;; [unrolled: 1-line block ×3, first 2 shown]
	v_cvt_f32_f16_e32 v178, v33
	v_mfma_f32_16x16x16f16 v[164:167], v[176:177], v[14:15], v[166:169]
	v_cvt_f32_f16_e32 v176, v126
	v_cvt_f32_f16_sdwa v177, v126 dst_sel:DWORD dst_unused:UNUSED_PAD src0_sel:WORD_1
	v_cvt_f32_f16_sdwa v179, v33 dst_sel:DWORD dst_unused:UNUSED_PAD src0_sel:WORD_1
	v_perm_b32 v126, v189, v192, s17
	v_add_f32_e32 v58, v58, v60
	v_add_f32_e32 v56, v56, v58
	;; [unrolled: 1-line block ×3, first 2 shown]
	s_nop 3
	v_cvt_f16_f32_e32 v142, v164
	v_cvt_f16_f32_e32 v165, v165
	v_cvt_f16_f32_e32 v166, v166
	v_cvt_f16_f32_e32 v167, v167
	v_cvt_f32_f16_e32 v164, v142
	ds_read_u16 v142, v113 offset:11520
	ds_read_u16 v172, v113 offset:11552
	;; [unrolled: 1-line block ×3, first 2 shown]
	v_cvt_f32_f16_e32 v165, v165
	v_cvt_f32_f16_e32 v166, v166
	;; [unrolled: 1-line block ×3, first 2 shown]
	s_waitcnt lgkmcnt(2)
	v_perm_b32 v169, v142, v200, s17
	ds_read_u16 v142, v111 offset:11520
	ds_read_u16 v200, v111 offset:11552
	ds_read_u16 v215, v111 offset:11584
	ds_read_u16 v168, v112 offset:11760
	ds_read_u16 v216, v112 offset:11792
	ds_read_u16 v217, v112 offset:11824
	ds_read_u16 v218, v112 offset:11856
	ds_read_u16 v219, v112 offset:11888
	ds_read_u16 v220, v112 offset:11920
	ds_read_u16 v221, v111 offset:7872
	ds_read_u16 v222, v112 offset:8112
	s_waitcnt lgkmcnt(7)
	v_perm_b32 v168, v168, v142, s17
	ds_read_u16 v33, v117 offset:480
	ds_read_u16 v142, v118 offset:480
	;; [unrolled: 1-line block ×8, first 2 shown]
	s_waitcnt lgkmcnt(7)
	v_perm_b32 v127, v182, v33, s17
	v_mfma_f32_16x16x16f16 v[164:167], v[168:169], v[52:53], v[164:167]
	ds_read_u16 v33, v111 offset:3872
	ds_read_u16 v182, v111 offset:3904
	;; [unrolled: 1-line block ×7, first 2 shown]
	v_add_f32_e32 v54, v54, v56
	v_pk_mul_f16 v23, v159, v23 op_sel_hi:[0,1]
	s_add_i32 s34, s34, 1
	v_cmp_lt_i32_e32 vcc, s34, v101
	s_and_b64 vcc, exec, vcc
	s_add_i32 s4, s4, 64
	v_mfma_f32_16x16x16f16 v[176:179], v[126:127], v[50:51], v[176:179]
	s_nop 7
	s_nop 2
	v_cvt_f16_f32_e32 v126, v176
	v_cvt_f16_f32_e32 v127, v177
	;; [unrolled: 1-line block ×4, first 2 shown]
	v_cvt_f32_f16_e32 v176, v126
	v_cvt_f32_f16_e32 v177, v127
	s_waitcnt lgkmcnt(13)
	v_perm_b32 v127, v201, v142, s17
	s_waitcnt lgkmcnt(6)
	v_perm_b32 v126, v171, v33, s17
	v_cvt_f32_f16_e32 v178, v168
	v_cvt_f32_f16_e32 v179, v169
	ds_read_u16 v33, v113 offset:7712
	ds_read_u16 v142, v113 offset:7744
	;; [unrolled: 1-line block ×5, first 2 shown]
	v_mfma_f32_16x16x16f16 v[168:171], v[126:127], v[12:13], v[176:179]
	s_nop 6
	v_cvt_f32_f16_e32 v176, v91
	v_cvt_f32_f16_sdwa v177, v91 dst_sel:DWORD dst_unused:UNUSED_PAD src0_sel:WORD_1
	v_cvt_f32_f16_e32 v178, v90
	v_cvt_f32_f16_sdwa v179, v90 dst_sel:DWORD dst_unused:UNUSED_PAD src0_sel:WORD_1
	v_perm_b32 v91, v183, v225, s17
	v_perm_b32 v90, v190, v193, s17
	v_cvt_f16_f32_e32 v126, v168
	v_cvt_f16_f32_e32 v127, v169
	v_mfma_f32_16x16x16f16 v[176:179], v[90:91], v[50:51], v[176:179]
	v_cvt_f16_f32_e32 v170, v170
	v_cvt_f16_f32_e32 v171, v171
	v_cvt_f32_f16_e32 v168, v126
	v_cvt_f32_f16_e32 v169, v127
	s_waitcnt lgkmcnt(4)
	v_perm_b32 v127, v33, v223, s17
	v_perm_b32 v126, v206, v199, s17
	v_cvt_f32_f16_e32 v170, v170
	s_nop 2
	v_cvt_f16_f32_e32 v90, v177
	v_cvt_f16_f32_e32 v91, v178
	;; [unrolled: 1-line block ×4, first 2 shown]
	v_cvt_f32_f16_e32 v177, v90
	v_cvt_f32_f16_e32 v178, v91
	v_perm_b32 v91, v202, v226, s17
	v_perm_b32 v90, v173, v182, s17
	v_cvt_f32_f16_e32 v176, v60
	v_cvt_f32_f16_e32 v179, v179
	;; [unrolled: 1-line block ×3, first 2 shown]
	ds_read_u16 v33, v111 offset:7744
	ds_read_u16 v199, v111 offset:7776
	;; [unrolled: 1-line block ×5, first 2 shown]
	v_mfma_f32_16x16x16f16 v[176:179], v[90:91], v[12:13], v[176:179]
	v_pk_mul_f16 v91, v159, v88 op_sel_hi:[0,1]
	v_cvt_f32_f16_e32 v90, v91
	v_cvt_f32_f16_sdwa v91, v91 dst_sel:DWORD dst_unused:UNUSED_PAD src0_sel:WORD_1
	v_mfma_f32_16x16x16f16 v[168:171], v[126:127], v[14:15], v[168:171]
	s_nop 6
	v_cvt_f16_f32_e32 v58, v177
	v_cvt_f16_f32_e32 v59, v178
	;; [unrolled: 1-line block ×4, first 2 shown]
	v_cvt_f32_f16_e32 v177, v58
	v_cvt_f32_f16_e32 v178, v59
	s_waitcnt lgkmcnt(8)
	v_perm_b32 v59, v142, v227, s17
	s_waitcnt lgkmcnt(4)
	v_perm_b32 v58, v209, v33, s17
	v_cvt_f32_f16_e32 v176, v56
	v_cvt_f32_f16_e32 v179, v60
	v_add_f32_e32 v33, v57, v54
	v_add_f32_e32 v33, v154, v33
	v_cvt_f16_f32_e32 v126, v168
	v_cvt_f16_f32_e32 v127, v169
	v_add_f32_e32 v33, v55, v33
	v_mfma_f32_16x16x16f16 v[54:57], v[58:59], v[14:15], v[176:179]
	v_cvt_f16_f32_e32 v170, v170
	v_cvt_f16_f32_e32 v171, v171
	v_cvt_f32_f16_e32 v168, v126
	v_cvt_f32_f16_e32 v169, v127
	v_perm_b32 v127, v172, v224, s17
	v_perm_b32 v126, v216, v200, s17
	v_cvt_f32_f16_e32 v170, v170
	v_cvt_f32_f16_e32 v171, v171
	s_nop 2
	v_cvt_f16_f32_e32 v54, v54
	v_cvt_f16_f32_e32 v55, v55
	;; [unrolled: 1-line block ×4, first 2 shown]
	ds_read_u16 v172, v111 offset:11616
	ds_read_u16 v200, v111 offset:11648
	;; [unrolled: 1-line block ×3, first 2 shown]
	v_mfma_f32_16x16x16f16 v[168:171], v[126:127], v[52:53], v[168:171]
	ds_read_u16 v126, v113 offset:11584
	ds_read_u16 v127, v113 offset:11616
	;; [unrolled: 1-line block ×4, first 2 shown]
	v_perm_b32 v58, v217, v215, s17
	s_waitcnt lgkmcnt(3)
	v_perm_b32 v59, v126, v228, s17
	v_cvt_f32_f16_e32 v54, v54
	v_cvt_f32_f16_e32 v55, v55
	;; [unrolled: 1-line block ×4, first 2 shown]
	v_pk_mul_f16 v60, v159, v89 op_sel_hi:[0,1]
	v_add_f32_e32 v33, v156, v33
	v_mfma_f32_16x16x16f16 v[56:59], v[58:59], v[52:53], v[54:57]
	v_cvt_f32_f16_e32 v88, v60
	v_cvt_f32_f16_sdwa v89, v60 dst_sel:DWORD dst_unused:UNUSED_PAD src0_sel:WORD_1
	s_nop 4
	ds_read_u16 v54, v125 offset:480
	ds_read_u16 v60, v128 offset:480
	;; [unrolled: 1-line block ×8, first 2 shown]
	s_waitcnt lgkmcnt(7)
	v_perm_b32 v55, v184, v54, s17
	v_perm_b32 v54, v191, v194, s17
	v_add_f32_e32 v33, v61, v33
	v_add_f32_e32 v33, v157, v33
	v_mfma_f32_16x16x16f16 v[88:91], v[54:55], v[50:51], v[88:91]
	v_add_f32_e32 v33, v155, v33
	v_add_f32_e32 v33, v160, v33
	;; [unrolled: 1-line block ×4, first 2 shown]
	v_cvt_f16_f32_e32 v158, v170
	s_nop 5
	v_cvt_f16_f32_e32 v54, v88
	v_cvt_f16_f32_e32 v55, v89
	;; [unrolled: 1-line block ×4, first 2 shown]
	v_cvt_f32_f16_e32 v88, v54
	v_cvt_f32_f16_e32 v89, v55
	s_waitcnt lgkmcnt(6)
	v_perm_b32 v55, v203, v60, s17
	v_perm_b32 v54, v174, v189, s17
	v_cvt_f32_f16_e32 v90, v61
	v_cvt_f32_f16_e32 v91, v91
	s_waitcnt lgkmcnt(5)
	v_perm_b32 v61, v201, v126, s17
	v_cvt_f16_f32_e32 v126, v166
	v_mfma_f32_16x16x16f16 v[88:91], v[54:55], v[12:13], v[88:91]
	s_nop 7
	s_nop 2
	v_cvt_f16_f32_e32 v60, v90
	v_cvt_f16_f32_e32 v54, v88
	;; [unrolled: 1-line block ×4, first 2 shown]
	v_cvt_f32_f16_e32 v90, v60
	v_perm_b32 v60, v210, v199, s17
	v_cvt_f32_f16_e32 v88, v54
	v_cvt_f32_f16_e32 v89, v55
	;; [unrolled: 1-line block ×3, first 2 shown]
	v_add_f32_e32 v54, v161, v33
	v_pk_mul_f16 v33, v159, v87 op_sel_hi:[0,1]
	v_mfma_f32_16x16x16f16 v[88:91], v[60:61], v[14:15], v[88:91]
	v_fmac_f32_e32 v54, v153, v162
	v_pk_mul_f16 v153, v159, v84 op_sel_hi:[0,1]
	s_nop 7
	s_nop 0
	v_cvt_f16_f32_e32 v60, v89
	v_cvt_f16_f32_e32 v61, v90
	;; [unrolled: 1-line block ×4, first 2 shown]
	v_cvt_f32_f16_e32 v89, v60
	v_cvt_f32_f16_e32 v90, v61
	s_waitcnt lgkmcnt(4)
	v_perm_b32 v61, v127, v142, s17
	v_perm_b32 v60, v218, v172, s17
	v_cvt_f32_f16_e32 v88, v55
	v_cvt_f32_f16_e32 v91, v87
	v_pk_mul_f16 v55, v159, v86 op_sel_hi:[0,1]
	v_pk_mul_f16 v142, v159, v85 op_sel_hi:[0,1]
	v_mfma_f32_16x16x16f16 v[84:87], v[60:61], v[52:53], v[88:91]
	s_waitcnt lgkmcnt(3)
	v_perm_b32 v61, v185, v154, s17
	v_perm_b32 v60, v175, v195, s17
	v_cvt_f16_f32_e32 v154, v167
	v_pack_b32_f16 v126, v126, v154
	s_nop 1
	v_cvt_f32_f16_e32 v88, v33
	v_cvt_f32_f16_sdwa v89, v33 dst_sel:DWORD dst_unused:UNUSED_PAD src0_sel:WORD_1
	v_cvt_f32_f16_e32 v90, v55
	v_cvt_f32_f16_sdwa v91, v55 dst_sel:DWORD dst_unused:UNUSED_PAD src0_sel:WORD_1
	v_pk_mul_f16 v55, v159, v83 op_sel_hi:[0,1]
	v_cvt_f16_f32_e32 v33, v164
	v_mfma_f32_16x16x16f16 v[88:91], v[60:61], v[50:51], v[88:91]
	v_cvt_f16_f32_e32 v159, v171
	s_nop 7
	s_nop 1
	v_cvt_f16_f32_e32 v60, v88
	v_cvt_f16_f32_e32 v61, v89
	v_cvt_f16_f32_e32 v83, v90
	v_cvt_f16_f32_e32 v91, v91
	v_cvt_f32_f16_e32 v88, v60
	v_cvt_f32_f16_e32 v89, v61
	s_waitcnt lgkmcnt(2)
	v_perm_b32 v61, v204, v156, s17
	v_perm_b32 v60, v230, v192, s17
	v_cvt_f32_f16_e32 v90, v83
	v_cvt_f32_f16_e32 v91, v91
	v_cvt_f16_f32_e32 v83, v165
	v_pack_b32_f16 v127, v33, v83
	v_mfma_f32_16x16x16f16 v[88:91], v[60:61], v[12:13], v[88:91]
	v_cvt_f16_f32_e32 v33, v168
	s_nop 7
	s_nop 1
	v_cvt_f16_f32_e32 v60, v88
	v_cvt_f16_f32_e32 v61, v89
	;; [unrolled: 1-line block ×4, first 2 shown]
	v_cvt_f32_f16_e32 v88, v60
	v_cvt_f32_f16_e32 v89, v61
	s_waitcnt lgkmcnt(1)
	v_perm_b32 v61, v232, v173, s17
	v_perm_b32 v60, v211, v206, s17
	v_cvt_f32_f16_e32 v90, v90
	v_cvt_f32_f16_e32 v91, v91
	s_nop 1
	v_mfma_f32_16x16x16f16 v[88:91], v[60:61], v[14:15], v[88:91]
	s_nop 7
	s_nop 2
	v_cvt_f16_f32_e32 v60, v88
	v_cvt_f16_f32_e32 v61, v89
	;; [unrolled: 1-line block ×4, first 2 shown]
	v_cvt_f32_f16_e32 v88, v60
	v_cvt_f32_f16_e32 v89, v61
	s_waitcnt lgkmcnt(0)
	v_perm_b32 v61, v183, v176, s17
	v_perm_b32 v60, v219, v200, s17
	v_cvt_f32_f16_e32 v90, v83
	v_cvt_f32_f16_e32 v91, v91
	v_cvt_f16_f32_e32 v83, v169
	s_nop 0
	v_mfma_f32_16x16x16f16 v[154:157], v[60:61], v[52:53], v[88:91]
	ds_read_u16 v60, v135 offset:480
	ds_read_u16 v160, v136 offset:480
	;; [unrolled: 1-line block ×8, first 2 shown]
	s_waitcnt lgkmcnt(7)
	v_perm_b32 v61, v186, v60, s17
	v_perm_b32 v60, v180, v196, s17
	v_cvt_f32_f16_e32 v88, v142
	v_cvt_f32_f16_sdwa v89, v142 dst_sel:DWORD dst_unused:UNUSED_PAD src0_sel:WORD_1
	v_cvt_f32_f16_e32 v90, v153
	v_cvt_f32_f16_sdwa v91, v153 dst_sel:DWORD dst_unused:UNUSED_PAD src0_sel:WORD_1
	v_pack_b32_f16 v142, v33, v83
	v_cvt_f16_f32_e32 v83, v56
	v_mfma_f32_16x16x16f16 v[88:91], v[60:61], v[50:51], v[88:91]
	v_pack_b32_f16 v33, v158, v159
	v_cvt_f16_f32_e32 v153, v57
	v_cvt_f16_f32_e32 v158, v58
	;; [unrolled: 1-line block ×3, first 2 shown]
	s_waitcnt lgkmcnt(0)
	s_barrier
	s_nop 4
	v_cvt_f16_f32_e32 v60, v89
	v_cvt_f16_f32_e32 v61, v90
	;; [unrolled: 1-line block ×4, first 2 shown]
	v_cvt_f32_f16_e32 v89, v60
	v_cvt_f32_f16_e32 v90, v61
	v_perm_b32 v61, v205, v160, s17
	v_perm_b32 v60, v231, v229, s17
	v_cvt_f32_f16_e32 v88, v56
	v_cvt_f32_f16_e32 v91, v91
	s_nop 1
	v_mfma_f32_16x16x16f16 v[56:59], v[60:61], v[12:13], v[88:91]
	v_perm_b32 v61, v233, v161, s17
	v_perm_b32 v60, v234, v223, s17
	s_nop 4
	v_pack_b32_f16 v91, v83, v153
	s_nop 2
	v_cvt_f16_f32_e32 v56, v56
	v_cvt_f16_f32_e32 v57, v57
	;; [unrolled: 1-line block ×4, first 2 shown]
	v_cvt_f32_f16_e32 v56, v56
	v_cvt_f32_f16_e32 v57, v57
	;; [unrolled: 1-line block ×4, first 2 shown]
	v_pack_b32_f16 v90, v158, v159
	v_cvt_f16_f32_e32 v83, v84
	v_mfma_f32_16x16x16f16 v[56:59], v[60:61], v[14:15], v[56:59]
	v_perm_b32 v61, v190, v162, s17
	v_perm_b32 v60, v220, v216, s17
	v_cvt_f16_f32_e32 v88, v85
	v_cvt_f16_f32_e32 v153, v86
	;; [unrolled: 1-line block ×3, first 2 shown]
	v_cvt_f32_f16_e32 v84, v55
	v_cvt_f32_f16_sdwa v85, v55 dst_sel:DWORD dst_unused:UNUSED_PAD src0_sel:WORD_1
	s_nop 3
	v_cvt_f16_f32_e32 v56, v56
	v_cvt_f16_f32_e32 v57, v57
	;; [unrolled: 1-line block ×4, first 2 shown]
	v_cvt_f32_f16_e32 v56, v56
	v_cvt_f32_f16_e32 v57, v57
	v_cvt_f32_f16_e32 v58, v58
	v_cvt_f32_f16_e32 v59, v59
	v_cvt_f32_f16_e32 v86, v23
	v_cvt_f32_f16_sdwa v87, v23 dst_sel:DWORD dst_unused:UNUSED_PAD src0_sel:WORD_1
	v_mfma_f32_16x16x16f16 v[56:59], v[60:61], v[52:53], v[56:59]
	v_perm_b32 v61, v187, v163, s17
	v_perm_b32 v60, v181, v197, s17
	v_cvt_f16_f32_e32 v23, v154
	v_pack_b32_f16 v89, v83, v88
	v_pack_b32_f16 v88, v153, v158
	v_mfma_f32_16x16x16f16 v[84:87], v[60:61], v[50:51], v[84:87]
	v_cvt_f16_f32_e32 v61, v157
	s_nop 7
	s_nop 1
	v_cvt_f16_f32_e32 v50, v84
	v_cvt_f16_f32_e32 v51, v85
	;; [unrolled: 1-line block ×4, first 2 shown]
	v_cvt_f32_f16_e32 v84, v50
	v_cvt_f32_f16_e32 v85, v51
	v_perm_b32 v51, v207, v164, s17
	v_perm_b32 v50, v213, v212, s17
	v_cvt_f32_f16_e32 v86, v55
	v_cvt_f32_f16_e32 v87, v60
	v_cvt_f16_f32_e32 v55, v155
	v_cvt_f16_f32_e32 v60, v156
	v_mfma_f32_16x16x16f16 v[84:87], v[50:51], v[12:13], v[84:87]
	s_nop 7
	s_nop 2
	v_cvt_f16_f32_e32 v12, v84
	v_cvt_f16_f32_e32 v13, v85
	;; [unrolled: 1-line block ×4, first 2 shown]
	v_cvt_f32_f16_e32 v154, v12
	v_cvt_f32_f16_e32 v155, v13
	v_perm_b32 v13, v214, v165, s17
	v_perm_b32 v12, v222, v221, s17
	v_cvt_f32_f16_e32 v156, v50
	v_cvt_f32_f16_e32 v157, v51
	v_perm_b32 v51, v208, v166, s17
	v_perm_b32 v50, v188, v198, s17
	v_mfma_f32_16x16x16f16 v[12:15], v[12:13], v[14:15], v[154:157]
	v_pack_b32_f16 v87, v23, v55
	v_cvt_f16_f32_e32 v23, v56
	v_cvt_f16_f32_e32 v55, v57
	;; [unrolled: 1-line block ×4, first 2 shown]
	v_pack_b32_f16 v86, v60, v61
	v_pack_b32_f16 v85, v23, v55
	s_nop 3
	v_cvt_f16_f32_e32 v12, v12
	v_cvt_f16_f32_e32 v13, v13
	;; [unrolled: 1-line block ×4, first 2 shown]
	v_cvt_f32_f16_e32 v12, v12
	v_cvt_f32_f16_e32 v13, v13
	;; [unrolled: 1-line block ×4, first 2 shown]
	v_pack_b32_f16 v84, v56, v57
	s_nop 0
	v_mfma_f32_16x16x16f16 v[12:15], v[50:51], v[52:53], v[12:15]
	s_nop 7
	s_nop 2
	v_cvt_f16_f32_e32 v12, v12
	v_cvt_f16_f32_e32 v13, v13
	;; [unrolled: 1-line block ×4, first 2 shown]
	v_pack_b32_f16 v83, v12, v13
	v_pack_b32_f16 v23, v14, v15
	s_cbranch_vccz .LBB19_371
; %bb.370:                              ;   in Loop: Header=BB19_365 Depth=1
	v_mov_b32_e32 v153, v54
	v_mov_b32_e32 v159, v22
	s_branch .LBB19_365
.LBB19_371:
	s_lshl_b32 s4, s34, 6
	s_ashr_i32 s5, s4, 31
	s_lshl_b64 s[0:1], s[4:5], 1
	s_add_u32 s0, s12, s0
	s_addc_u32 s1, s13, s1
	v_mov_b32_e32 v12, s1
	v_add_co_u32_e32 v25, vcc, s0, v102
	v_addc_co_u32_e32 v32, vcc, 0, v12, vcc
	v_lshlrev_b64 v[12:13], 1, v[28:29]
	v_add_co_u32_e32 v12, vcc, v25, v12
	v_addc_co_u32_e32 v13, vcc, v32, v13, vcc
	v_lshlrev_b64 v[14:15], 1, v[30:31]
	v_add_co_u32_e32 v14, vcc, v25, v14
	v_addc_co_u32_e32 v15, vcc, v32, v15, vcc
	global_load_dword v25, v[12:13], off
	global_load_dword v28, v[14:15], off
	s_mul_hi_u32 s1, s40, s4
	s_mul_i32 s2, s3, s4
	s_mul_i32 s3, s40, s5
	s_add_i32 s1, s1, s3
	s_mul_i32 s0, s40, s4
	s_add_i32 s1, s1, s2
	s_lshl_b64 s[0:1], s[0:1], 2
	v_add_u32_e32 v35, 0, v102
	s_add_u32 s5, s10, s0
	v_add_u32_e32 v12, v35, v99
	v_add_u32_e32 v13, v35, v100
	s_addc_u32 s6, s11, s1
	v_cmp_gt_u32_e32 vcc, 64, v94
                                        ; implicit-def: $vgpr14
	s_waitcnt vmcnt(1)
	ds_write_b32 v12, v25 offset:15360
	s_waitcnt vmcnt(0)
	ds_write_b32 v13, v28 offset:15360
                                        ; implicit-def: $vgpr28
                                        ; implicit-def: $vgpr12
	s_and_saveexec_b64 s[0:1], vcc
	s_xor_b64 s[2:3], exec, s[0:1]
	s_cbranch_execz .LBB19_373
; %bb.372:
	v_mul_lo_u32 v12, v94, s40
	v_ashrrev_i32_e32 v13, 31, v12
	v_lshlrev_b64 v[12:13], 2, v[12:13]
	v_mov_b32_e32 v14, s6
	v_add_co_u32_e64 v12, s[0:1], s5, v12
	v_addc_co_u32_e64 v13, s[0:1], v14, v13, s[0:1]
	v_lshlrev_b32_e32 v14, 2, v70
	v_and_b32_e32 v15, 4, v14
	v_lshlrev_b32_e32 v25, 2, v15
	v_add_co_u32_e64 v12, s[0:1], v12, v25
	v_addc_co_u32_e64 v13, s[0:1], 0, v13, s[0:1]
	global_load_dwordx4 v[36:39], v[12:13], off offset:192
	v_mul_i32_i24_e32 v28, 0xf0, v94
	v_or_b32_e32 v12, 48, v15
	v_add3_u32 v15, 0, v28, v25
	v_mov_b32_e32 v13, 0
	s_waitcnt vmcnt(0)
	ds_write_b128 v15, v[36:39] offset:192
.LBB19_373:
	s_or_saveexec_b64 s[0:1], s[2:3]
	v_readlane_b32 s10, v238, 7
	s_xor_b64 exec, exec, s[0:1]
; %bb.374:
	v_lshlrev_b32_e32 v14, 2, v70
	v_mul_i32_i24_e32 v28, 0xf0, v94
	v_and_or_b32 v12, v14, 4, 48
	v_mov_b32_e32 v13, 0
; %bb.375:
	s_or_b64 exec, exec, s[0:1]
	v_add_u32_e32 v47, v63, v93
	v_mul_lo_u32 v30, s40, v47
	v_ashrrev_i32_e32 v31, 31, v30
	v_lshlrev_b64 v[30:31], 2, v[30:31]
	v_mov_b32_e32 v15, s6
	v_add_co_u32_e64 v25, s[0:1], s5, v30
	v_and_b32_e32 v29, 12, v14
	v_addc_co_u32_e64 v15, s[0:1], v15, v31, s[0:1]
	v_lshlrev_b32_e32 v31, 2, v29
	v_add_co_u32_e64 v44, s[0:1], v25, v31
	v_and_b32_e32 v14, 28, v14
	v_addc_co_u32_e64 v45, s[0:1], 0, v15, s[0:1]
	v_lshlrev_b32_e32 v30, 2, v14
	v_lshlrev_b64 v[14:15], 2, v[26:27]
	v_mov_b32_e32 v25, s6
	v_add_co_u32_e64 v14, s[0:1], s5, v14
	v_addc_co_u32_e64 v15, s[0:1], v25, v15, s[0:1]
	v_add_co_u32_e64 v14, s[0:1], v14, v30
	v_addc_co_u32_e64 v15, s[0:1], 0, v15, s[0:1]
	v_ashrrev_i32_e32 v25, 31, v24
	global_load_dwordx4 v[36:39], v[44:45], off offset:128
	global_load_dwordx4 v[40:43], v[14:15], off
	v_lshlrev_b64 v[14:15], 2, v[24:25]
	v_mov_b32_e32 v24, s6
	v_add_co_u32_e64 v14, s[0:1], s5, v14
	v_addc_co_u32_e64 v15, s[0:1], v24, v15, s[0:1]
	v_add_co_u32_e64 v14, s[0:1], v14, v30
	v_addc_co_u32_e64 v15, s[0:1], 0, v15, s[0:1]
	global_load_dwordx4 v[48:51], v[14:15], off
	s_movk_i32 s0, 0xf0
	v_add3_u32 v27, 0, v97, v98
	v_mul_u32_u24_e32 v14, 0xf0, v47
	v_mad_u32_u24 v34, v79, s0, 0
	v_add3_u32 v29, 0, v14, v31
	v_add_u32_e32 v14, 0x800, v27
	v_add_u32_e32 v26, v34, v30
	;; [unrolled: 1-line block ×3, first 2 shown]
	s_movk_i32 s0, 0x90
	v_and_b32_e32 v52, 0xfc, v93
	v_mbcnt_hi_u32_b32 v53, -1, v95
	s_waitcnt vmcnt(2)
	ds_write_b128 v29, v[36:39] offset:128
	s_waitcnt vmcnt(1)
	ds_write_b128 v26, v[40:43]
	s_waitcnt vmcnt(0)
	ds_write_b128 v26, v[48:51] offset:7680
	s_waitcnt lgkmcnt(0)
	s_barrier
	ds_read2_b64 v[36:39], v27 offset1:4
	ds_read2_b64 v[48:51], v14 offset0:224 offset1:228
	s_waitcnt lgkmcnt(1)
	v_mfma_f32_16x16x16f16 v[40:43], v[36:37], v[8:9], 0
	ds_read2_b64 v[98:101], v32 offset0:192 offset1:196
	s_waitcnt lgkmcnt(1)
	v_mfma_f32_16x16x16f16 v[56:59], v[48:49], v[8:9], 0
	v_mfma_f32_16x16x16f16 v[36:39], v[38:39], v[10:11], v[40:43]
	;; [unrolled: 1-line block ×3, first 2 shown]
	s_nop 7
	s_nop 0
	ds_read2_b64 v[56:59], v27 offset0:8 offset1:12
	s_waitcnt lgkmcnt(1)
	v_mfma_f32_16x16x16f16 v[102:105], v[98:99], v[8:9], 0
	s_waitcnt lgkmcnt(0)
	v_mfma_f32_16x16x16f16 v[36:39], v[56:57], v[4:5], v[36:39]
	v_mfma_f32_16x16x16f16 v[48:51], v[100:101], v[10:11], v[102:105]
	ds_read2_b64 v[98:101], v14 offset0:232 offset1:236
	v_mfma_f32_16x16x16f16 v[36:39], v[58:59], v[6:7], v[36:39]
	ds_read2_b64 v[56:59], v27 offset0:16 offset1:20
	s_nop 4
	ds_read2_b64 v[102:105], v32 offset0:200 offset1:204
	s_waitcnt lgkmcnt(2)
	v_mfma_f32_16x16x16f16 v[40:43], v[98:99], v[4:5], v[40:43]
	s_waitcnt lgkmcnt(1)
	v_mfma_f32_16x16x16f16 v[36:39], v[56:57], v[0:1], v[36:39]
	;; [unrolled: 2-line block ×3, first 2 shown]
	v_mfma_f32_16x16x16f16 v[40:43], v[100:101], v[6:7], v[40:43]
	ds_read2_b64 v[98:101], v14 offset0:240 offset1:244
	ds_read_b64 v[14:15], v27 offset:192
	ds_read_b64 v[24:25], v27 offset:4032
	;; [unrolled: 1-line block ×4, first 2 shown]
	v_mfma_f32_16x16x16f16 v[36:39], v[58:59], v[2:3], v[36:39]
	ds_read2_b64 v[56:59], v32 offset0:208 offset1:212
	v_add_u32_e32 v32, 0x80, v29
	v_mfma_f32_16x16x16f16 v[48:51], v[104:105], v[6:7], v[48:51]
	s_waitcnt lgkmcnt(5)
	v_mfma_f32_16x16x16f16 v[40:43], v[98:99], v[0:1], v[40:43]
	s_waitcnt lgkmcnt(0)
	v_mfma_f32_16x16x16f16 v[48:51], v[56:57], v[0:1], v[48:51]
	v_mfma_f32_16x16x16f16 v[40:43], v[100:101], v[2:3], v[40:43]
	;; [unrolled: 1-line block ×3, first 2 shown]
	v_add_u32_e32 v14, 0x2800, v27
	ds_read2_b64 v[98:101], v14 offset0:160 offset1:164
	ds_read2_b64 v[102:105], v14 offset0:168 offset1:172
	;; [unrolled: 1-line block ×3, first 2 shown]
	v_and_or_b32 v14, v70, 12, v63
	v_lshrrev_b32_e32 v14, 2, v14
	v_mad_u32_u24 v14, v14, s0, 0
	v_lshl_add_u32 v15, v52, 1, v14
	v_add_u32_e32 v14, v14, v96
	v_mfma_f32_16x16x16f16 v[48:51], v[58:59], v[2:3], v[48:51]
	s_waitcnt lgkmcnt(0)
	s_barrier
	v_add_u32_e32 v27, 0x1e00, v26
	v_mfma_f32_16x16x16f16 v[56:59], v[98:99], v[8:9], 0
	v_mfma_f32_16x16x16f16 v[40:43], v[24:25], v[20:21], v[40:43]
	v_add_u32_e32 v24, 0x3c20, v15
	v_add_u32_e32 v25, 0x3c40, v15
	ds_read_b32 v46, v15 offset:15360
	ds_read_b32 v29, v14 offset:15360
	ds_read2_b32 v[96:97], v24 offset1:1
	ds_read2_b32 v[110:111], v25 offset1:1
	v_add_u32_e32 v14, 0x3c60, v15
	v_xor_b32_e32 v24, 32, v53
	s_waitcnt lgkmcnt(2)
	v_cvt_f32_f16_sdwa v15, v29 dst_sel:DWORD dst_unused:UNUSED_PAD src0_sel:WORD_1
	v_cvt_f32_f16_sdwa v25, v46 dst_sel:DWORD dst_unused:UNUSED_PAD src0_sel:WORD_1
	v_mfma_f32_16x16x16f16 v[48:51], v[44:45], v[20:21], v[48:51]
	ds_read2_b32 v[44:45], v14 offset1:1
	v_and_b32_e32 v14, 64, v53
	v_add_u32_e32 v55, 64, v14
	v_cmp_lt_i32_e64 s[0:1], v24, v55
	v_cndmask_b32_e64 v8, v53, v24, s[0:1]
	v_cvt_f32_f16_e32 v14, v29
	v_lshlrev_b32_e32 v29, 2, v8
	v_mfma_f32_16x16x16f16 v[8:11], v[100:101], v[10:11], v[56:59]
	v_cvt_f32_f16_e32 v24, v46
	v_pk_add_f32 v[14:15], v[38:39], v[14:15]
	v_add_f32_e32 v46, 0x40051340, v14
	v_pk_add_f32 v[24:25], v[36:37], v[24:25]
	v_add_f32_e32 v95, 0x40051340, v25
	s_nop 1
	v_add_f32_e32 v59, 0x40051340, v24
	v_mfma_f32_16x16x16f16 v[36:39], v[102:103], v[4:5], v[8:11]
	v_add_f32_e32 v58, 0x40051340, v15
	v_max3_f32 v4, v22, v59, v95
	v_max3_f32 v46, v4, v46, v58
	s_waitcnt lgkmcnt(2)
	v_cvt_f32_f16_e32 v56, v97
	v_cvt_f32_f16_sdwa v57, v97 dst_sel:DWORD dst_unused:UNUSED_PAD src0_sel:WORD_1
	s_nop 0
	v_cvt_f32_f16_e32 v10, v96
	v_cvt_f32_f16_sdwa v11, v96 dst_sel:DWORD dst_unused:UNUSED_PAD src0_sel:WORD_1
	v_mfma_f32_16x16x16f16 v[4:7], v[104:105], v[6:7], v[36:39]
	v_pk_add_f32 v[8:9], v[42:43], v[56:57]
	v_add_f32_e32 v42, 0x40051340, v8
	v_pk_add_f32 v[10:11], v[40:41], v[10:11]
	v_add_f32_e32 v43, 0x40051340, v9
	s_waitcnt lgkmcnt(1)
	v_cvt_f32_f16_e32 v40, v111
	s_nop 0
	v_add_f32_e32 v36, 0x40051340, v10
	v_add_f32_e32 v37, 0x40051340, v11
	v_max3_f32 v36, v46, v36, v37
	v_max3_f32 v42, v36, v42, v43
	v_mfma_f32_16x16x16f16 v[36:39], v[106:107], v[0:1], v[4:7]
	v_cvt_f32_f16_e32 v0, v110
	v_cvt_f32_f16_sdwa v1, v110 dst_sel:DWORD dst_unused:UNUSED_PAD src0_sel:WORD_1
	v_cvt_f32_f16_sdwa v41, v111 dst_sel:DWORD dst_unused:UNUSED_PAD src0_sel:WORD_1
	s_nop 3
	v_pk_add_f32 v[6:7], v[48:49], v[0:1]
	v_mfma_f32_16x16x16f16 v[0:3], v[108:109], v[2:3], v[36:39]
	v_pk_add_f32 v[4:5], v[50:51], v[40:41]
	v_add_f32_e32 v43, 0x40051340, v6
	v_add_f32_e32 v40, 0x40051340, v4
	;; [unrolled: 1-line block ×3, first 2 shown]
	s_nop 2
	v_add_f32_e32 v36, 0x40051340, v7
	v_max3_f32 v36, v42, v43, v36
	v_max3_f32 v46, v36, v40, v41
	v_mfma_f32_16x16x16f16 v[36:39], v[60:61], v[20:21], v[0:3]
	s_waitcnt lgkmcnt(0)
	v_cvt_f32_f16_e32 v42, v44
	v_cvt_f32_f16_sdwa v43, v44 dst_sel:DWORD dst_unused:UNUSED_PAD src0_sel:WORD_1
	v_cvt_f32_f16_e32 v40, v45
	v_cvt_f32_f16_sdwa v41, v45 dst_sel:DWORD dst_unused:UNUSED_PAD src0_sel:WORD_1
	s_nop 5
	v_pk_add_f32 v[2:3], v[36:37], v[42:43]
	v_pk_add_f32 v[0:1], v[38:39], v[40:41]
	v_add_f32_e32 v36, 0x40051340, v2
	v_add_f32_e32 v37, 0x40051340, v3
	;; [unrolled: 1-line block ×4, first 2 shown]
	v_max3_f32 v36, v46, v36, v37
	v_max3_f32 v20, v36, v20, v21
	ds_bpermute_b32 v21, v29, v20
	v_xor_b32_e32 v36, 16, v53
	v_cmp_lt_i32_e64 s[0:1], v36, v55
	v_cndmask_b32_e64 v36, v53, v36, s[0:1]
	v_lshlrev_b32_e32 v36, 2, v36
	s_waitcnt lgkmcnt(0)
	v_max_f32_e32 v21, v21, v21
	v_max_f32_e32 v20, v20, v21
	ds_bpermute_b32 v21, v36, v20
	s_mul_hi_i32 s1, s4, s30
	s_mul_i32 s0, s4, s30
	s_lshl_b64 s[0:1], s[0:1], 2
	s_add_u32 s3, s8, s0
	s_addc_u32 s4, s9, s1
	s_and_saveexec_b64 s[0:1], vcc
	s_cbranch_execz .LBB19_377
; %bb.376:
	v_mul_lo_u32 v38, v94, s30
	v_ashrrev_i32_e32 v39, 31, v38
	v_lshlrev_b64 v[38:39], 2, v[38:39]
	v_mov_b32_e32 v37, s4
	v_add_co_u32_e32 v40, vcc, s3, v38
	v_addc_co_u32_e32 v37, vcc, v37, v39, vcc
	v_lshlrev_b64 v[38:39], 2, v[12:13]
	v_add_co_u32_e32 v38, vcc, v40, v38
	v_addc_co_u32_e32 v39, vcc, v37, v39, vcc
	global_load_dwordx4 v[38:41], v[38:39], off
	v_lshlrev_b32_e32 v12, 2, v12
	v_add3_u32 v12, 0, v28, v12
	s_waitcnt vmcnt(0)
	ds_write_b128 v12, v[38:41]
.LBB19_377:
	s_or_b64 exec, exec, s[0:1]
	s_waitcnt lgkmcnt(0)
	v_max_f32_e32 v12, v21, v21
	v_max_f32_e32 v13, v20, v20
	;; [unrolled: 1-line block ×3, first 2 shown]
	v_pk_add_f32 v[12:13], v[24:25], v[28:29] op_sel_hi:[1,0] neg_lo:[0,1] neg_hi:[0,1]
	s_mov_b32 s2, 0x3fb8aa3b
	v_mul_f32_e32 v20, 0x3fb8aa3b, v13
	v_fma_f32 v21, v13, s2, -v20
	v_rndne_f32_e32 v24, v20
	v_fmac_f32_e32 v21, 0x32a5705f, v13
	v_sub_f32_e32 v20, v20, v24
	v_add_f32_e32 v20, v20, v21
	v_exp_f32_e32 v20, v20
	v_cvt_i32_f32_e32 v21, v24
	s_mov_b32 s0, 0xc2ce8ed0
	v_cmp_ngt_f32_e32 vcc, s0, v13
	s_mov_b32 s1, 0x42b17218
	v_ldexp_f32 v20, v20, v21
	v_mul_f32_e32 v21, 0x3fb8aa3b, v12
	v_fma_f32 v24, v12, s2, -v21
	v_rndne_f32_e32 v25, v21
	v_fmac_f32_e32 v24, 0x32a5705f, v12
	v_sub_f32_e32 v21, v21, v25
	v_add_f32_e32 v21, v21, v24
	v_exp_f32_e32 v21, v21
	v_cvt_i32_f32_e32 v24, v25
	v_pk_add_f32 v[14:15], v[14:15], v[28:29] op_sel_hi:[1,0] neg_lo:[0,1] neg_hi:[0,1]
	v_cndmask_b32_e32 v20, 0, v20, vcc
	v_cmp_nlt_f32_e32 vcc, s1, v13
	v_ldexp_f32 v13, v21, v24
	v_mul_f32_e32 v21, 0x3fb8aa3b, v15
	v_fma_f32 v24, v15, s2, -v21
	v_rndne_f32_e32 v37, v21
	v_fmac_f32_e32 v24, 0x32a5705f, v15
	v_sub_f32_e32 v21, v21, v37
	v_add_f32_e32 v21, v21, v24
	v_mov_b32_e32 v25, 0x7f800000
	v_exp_f32_e32 v24, v21
	v_cvt_i32_f32_e32 v37, v37
	v_cndmask_b32_e32 v20, v25, v20, vcc
	v_cmp_ngt_f32_e32 vcc, s0, v12
	v_cndmask_b32_e32 v13, 0, v13, vcc
	v_cmp_nlt_f32_e32 vcc, s1, v12
	v_cndmask_b32_e32 v21, v25, v13, vcc
	v_mul_f32_e32 v13, 0x3fb8aa3b, v14
	v_ldexp_f32 v12, v24, v37
	v_fma_f32 v24, v14, s2, -v13
	v_rndne_f32_e32 v37, v13
	v_fmac_f32_e32 v24, 0x32a5705f, v14
	v_sub_f32_e32 v13, v13, v37
	v_add_f32_e32 v13, v13, v24
	v_exp_f32_e32 v13, v13
	v_cvt_i32_f32_e32 v24, v37
	v_cmp_ngt_f32_e32 vcc, s0, v15
	v_cndmask_b32_e32 v12, 0, v12, vcc
	v_cmp_nlt_f32_e32 vcc, s1, v15
	v_pk_add_f32 v[10:11], v[10:11], v[28:29] op_sel_hi:[1,0] neg_lo:[0,1] neg_hi:[0,1]
	v_cndmask_b32_e32 v37, v25, v12, vcc
	v_ldexp_f32 v12, v13, v24
	v_mul_f32_e32 v13, 0x3fb8aa3b, v11
	v_fma_f32 v15, v11, s2, -v13
	v_rndne_f32_e32 v24, v13
	v_fmac_f32_e32 v15, 0x32a5705f, v11
	v_sub_f32_e32 v13, v13, v24
	v_add_f32_e32 v13, v13, v15
	v_exp_f32_e32 v13, v13
	v_cvt_i32_f32_e32 v15, v24
	v_cmp_ngt_f32_e32 vcc, s0, v14
	v_cndmask_b32_e32 v12, 0, v12, vcc
	v_cmp_nlt_f32_e32 vcc, s1, v14
	v_cndmask_b32_e32 v38, v25, v12, vcc
	v_ldexp_f32 v12, v13, v15
	v_mul_f32_e32 v13, 0x3fb8aa3b, v10
	v_fma_f32 v14, v10, s2, -v13
	v_rndne_f32_e32 v15, v13
	v_fmac_f32_e32 v14, 0x32a5705f, v10
	v_sub_f32_e32 v13, v13, v15
	v_add_f32_e32 v13, v13, v14
	v_exp_f32_e32 v13, v13
	v_cvt_i32_f32_e32 v14, v15
	v_cmp_ngt_f32_e32 vcc, s0, v11
	v_cndmask_b32_e32 v12, 0, v12, vcc
	v_cmp_nlt_f32_e32 vcc, s1, v11
	v_pk_add_f32 v[8:9], v[8:9], v[28:29] op_sel_hi:[1,0] neg_lo:[0,1] neg_hi:[0,1]
	v_cndmask_b32_e32 v39, v25, v12, vcc
	v_mul_f32_e32 v12, 0x3fb8aa3b, v9
	v_ldexp_f32 v11, v13, v14
	v_fma_f32 v13, v9, s2, -v12
	v_rndne_f32_e32 v14, v12
	v_fmac_f32_e32 v13, 0x32a5705f, v9
	v_sub_f32_e32 v12, v12, v14
	v_add_f32_e32 v12, v12, v13
	v_exp_f32_e32 v12, v12
	v_cvt_i32_f32_e32 v13, v14
	v_cmp_ngt_f32_e32 vcc, s0, v10
	v_cndmask_b32_e32 v11, 0, v11, vcc
	v_cmp_nlt_f32_e32 vcc, s1, v10
	v_cndmask_b32_e32 v41, v25, v11, vcc
	v_mul_f32_e32 v11, 0x3fb8aa3b, v8
	v_ldexp_f32 v10, v12, v13
	v_fma_f32 v12, v8, s2, -v11
	v_rndne_f32_e32 v13, v11
	v_fmac_f32_e32 v12, 0x32a5705f, v8
	v_sub_f32_e32 v11, v11, v13
	v_add_f32_e32 v11, v11, v12
	v_exp_f32_e32 v11, v11
	v_cvt_i32_f32_e32 v12, v13
	v_cmp_ngt_f32_e32 vcc, s0, v9
	v_cndmask_b32_e32 v10, 0, v10, vcc
	v_cmp_nlt_f32_e32 vcc, s1, v9
	v_pk_add_f32 v[6:7], v[6:7], v[28:29] op_sel_hi:[1,0] neg_lo:[0,1] neg_hi:[0,1]
	v_cndmask_b32_e32 v40, v25, v10, vcc
	v_mul_f32_e32 v10, 0x3fb8aa3b, v7
	v_ldexp_f32 v9, v11, v12
	v_fma_f32 v11, v7, s2, -v10
	v_rndne_f32_e32 v12, v10
	v_fmac_f32_e32 v11, 0x32a5705f, v7
	v_sub_f32_e32 v10, v10, v12
	v_add_f32_e32 v10, v10, v11
	v_exp_f32_e32 v10, v10
	v_cvt_i32_f32_e32 v11, v12
	v_cmp_ngt_f32_e32 vcc, s0, v8
	v_cndmask_b32_e32 v9, 0, v9, vcc
	v_cmp_nlt_f32_e32 vcc, s1, v8
	v_cndmask_b32_e32 v42, v25, v9, vcc
	v_mul_f32_e32 v9, 0x3fb8aa3b, v6
	v_ldexp_f32 v8, v10, v11
	;; [unrolled: 27-line block ×3, first 2 shown]
	v_fma_f32 v8, v4, s2, -v7
	v_rndne_f32_e32 v9, v7
	v_fmac_f32_e32 v8, 0x32a5705f, v4
	v_sub_f32_e32 v7, v7, v9
	v_add_f32_e32 v7, v7, v8
	v_exp_f32_e32 v7, v7
	v_cvt_i32_f32_e32 v8, v9
	v_cmp_ngt_f32_e32 vcc, s0, v5
	v_cndmask_b32_e32 v6, 0, v6, vcc
	v_cmp_nlt_f32_e32 vcc, s1, v5
	v_pk_add_f32 v[2:3], v[2:3], v[28:29] op_sel_hi:[1,0] neg_lo:[0,1] neg_hi:[0,1]
	v_cndmask_b32_e32 v45, v25, v6, vcc
	v_mul_f32_e32 v6, 0x3fb8aa3b, v3
	v_ldexp_f32 v5, v7, v8
	v_fma_f32 v7, v3, s2, -v6
	v_rndne_f32_e32 v8, v6
	v_cmp_ngt_f32_e32 vcc, s0, v4
	v_fmac_f32_e32 v7, 0x32a5705f, v3
	v_sub_f32_e32 v6, v6, v8
	v_cndmask_b32_e32 v5, 0, v5, vcc
	v_cmp_nlt_f32_e32 vcc, s1, v4
	v_mul_f32_e32 v4, 0x3fb8aa3b, v2
	v_add_f32_e32 v6, v6, v7
	v_cndmask_b32_e32 v46, v25, v5, vcc
	v_fma_f32 v5, v2, s2, -v4
	v_rndne_f32_e32 v9, v4
	v_exp_f32_e32 v6, v6
	v_cvt_i32_f32_e32 v7, v8
	v_fmac_f32_e32 v5, 0x32a5705f, v2
	v_sub_f32_e32 v4, v4, v9
	v_add_f32_e32 v10, v4, v5
	v_mul_lo_u32 v4, s30, v47
	v_ashrrev_i32_e32 v5, 31, v4
	v_lshlrev_b64 v[4:5], 2, v[4:5]
	v_ldexp_f32 v8, v6, v7
	v_mov_b32_e32 v6, s4
	v_add_co_u32_e32 v4, vcc, s3, v4
	v_addc_co_u32_e32 v5, vcc, v6, v5, vcc
	v_add_co_u32_e32 v4, vcc, v4, v31
	v_addc_co_u32_e32 v5, vcc, 0, v5, vcc
	v_lshlrev_b64 v[6:7], 2, v[18:19]
	v_mov_b32_e32 v11, s4
	v_add_co_u32_e32 v6, vcc, s3, v6
	v_addc_co_u32_e32 v7, vcc, v11, v7, vcc
	v_add_co_u32_e32 v6, vcc, v6, v30
	v_addc_co_u32_e32 v7, vcc, 0, v7, vcc
	global_load_dwordx4 v[56:59], v[4:5], off offset:128
	global_load_dwordx4 v[94:97], v[6:7], off
	v_lshlrev_b64 v[4:5], 2, v[16:17]
	v_mov_b32_e32 v6, s4
	v_add_co_u32_e32 v4, vcc, s3, v4
	v_addc_co_u32_e32 v5, vcc, v6, v5, vcc
	v_add_co_u32_e32 v4, vcc, v4, v30
	v_addc_co_u32_e32 v5, vcc, 0, v5, vcc
	global_load_dwordx4 v[98:101], v[4:5], off
	v_exp_f32_e32 v4, v10
	v_cvt_i32_f32_e32 v5, v9
	v_cmp_ngt_f32_e32 vcc, s0, v3
	v_pk_add_f32 v[0:1], v[0:1], v[28:29] op_sel_hi:[1,0] neg_lo:[0,1] neg_hi:[0,1]
	v_cndmask_b32_e32 v6, 0, v8, vcc
	v_cmp_nlt_f32_e32 vcc, s1, v3
	v_ldexp_f32 v3, v4, v5
	v_mul_f32_e32 v4, 0x3fb8aa3b, v1
	v_cndmask_b32_e32 v47, v25, v6, vcc
	v_fma_f32 v5, v1, s2, -v4
	v_rndne_f32_e32 v6, v4
	v_fmac_f32_e32 v5, 0x32a5705f, v1
	v_sub_f32_e32 v4, v4, v6
	v_add_f32_e32 v4, v4, v5
	v_exp_f32_e32 v4, v4
	v_cvt_i32_f32_e32 v5, v6
	v_cmp_ngt_f32_e32 vcc, s0, v2
	v_cndmask_b32_e32 v3, 0, v3, vcc
	v_cmp_nlt_f32_e32 vcc, s1, v2
	v_cndmask_b32_e32 v48, v25, v3, vcc
	v_mul_f32_e32 v3, 0x3fb8aa3b, v0
	v_ldexp_f32 v2, v4, v5
	v_fma_f32 v4, v0, s2, -v3
	v_rndne_f32_e32 v5, v3
	v_fmac_f32_e32 v4, 0x32a5705f, v0
	v_sub_f32_e32 v3, v3, v5
	v_add_f32_e32 v3, v3, v4
	v_cvt_i32_f32_e32 v4, v5
	v_sub_f32_e32 v5, v22, v28
	v_mul_f32_e32 v6, 0x3fb8aa3b, v5
	v_fma_f32 v7, v5, s2, -v6
	v_rndne_f32_e32 v8, v6
	v_fmac_f32_e32 v7, 0x32a5705f, v5
	v_sub_f32_e32 v6, v6, v8
	v_add_f32_e32 v6, v6, v7
	v_exp_f32_e32 v6, v6
	v_cvt_i32_f32_e32 v7, v8
	v_cmp_ngt_f32_e32 vcc, s0, v1
	v_cndmask_b32_e32 v2, 0, v2, vcc
	v_exp_f32_e32 v3, v3
	v_cmp_nlt_f32_e32 vcc, s1, v1
	v_cndmask_b32_e32 v50, v25, v2, vcc
	v_ldexp_f32 v2, v6, v7
	v_cmp_ngt_f32_e32 vcc, s0, v5
	v_cndmask_b32_e32 v2, 0, v2, vcc
	v_cmp_nlt_f32_e32 vcc, s1, v5
	s_mov_b32 s2, 0xc1a00000
	v_cndmask_b32_e32 v2, v25, v2, vcc
	v_cmp_le_f32_e32 vcc, s2, v5
	v_ldexp_f32 v1, v3, v4
	v_cndmask_b32_e32 v49, 0, v2, vcc
	v_cmp_ngt_f32_e32 vcc, s0, v0
	v_cndmask_b32_e32 v1, 0, v1, vcc
	v_cmp_nlt_f32_e32 vcc, s1, v0
	v_or_b32_e32 v0, 3, v93
	v_cvt_f16_f32_e32 v22, v49
	v_mul_u32_u24_e32 v0, 0xf0, v0
	v_mul_u32_u24_e32 v2, 0x78, v52
	;; [unrolled: 1-line block ×3, first 2 shown]
	v_add3_u32 v52, 0, v0, v92
	v_or_b32_e32 v2, v2, v73
	s_waitcnt vmcnt(2)
	ds_write_b128 v32, v[56:59]
	s_waitcnt vmcnt(1)
	ds_write_b128 v26, v[94:97]
	;; [unrolled: 2-line block ×3, first 2 shown]
	s_waitcnt lgkmcnt(0)
	s_barrier
	v_add3_u32 v16, 0, v8, v92
	s_mov_b32 s0, 0x5040100
	ds_read_u16 v24, v52
	ds_read_u16 v8, v52 offset:32
	ds_read_u16 v53, v52 offset:64
	;; [unrolled: 1-line block ×10, first 2 shown]
	v_lshl_add_u32 v12, v2, 1, 0
	s_waitcnt lgkmcnt(6)
	v_perm_b32 v27, v24, v26, s0
	ds_read_u16 v24, v16 offset:240
	ds_read_u16 v96, v16 offset:272
	;; [unrolled: 1-line block ×4, first 2 shown]
	ds_read_u16 v26, v12
	ds_read_u16 v99, v12 offset:32
	ds_read_u16 v100, v12 offset:64
	;; [unrolled: 1-line block ×8, first 2 shown]
	v_cndmask_b32_e32 v51, v25, v1, vcc
	v_pk_mul_f16 v1, v22, v127 op_sel_hi:[0,1]
	v_pk_mul_f16 v3, v22, v126 op_sel_hi:[0,1]
	v_cvt_f16_f32_e32 v17, v20
	v_cvt_f16_f32_e32 v18, v21
	;; [unrolled: 1-line block ×4, first 2 shown]
	s_waitcnt lgkmcnt(8)
	v_perm_b32 v26, v24, v26, s0
	v_cvt_f32_f16_e32 v0, v1
	v_cvt_f32_f16_sdwa v1, v1 dst_sel:DWORD dst_unused:UNUSED_PAD src0_sel:WORD_1
	v_cvt_f32_f16_e32 v2, v3
	v_cvt_f32_f16_sdwa v3, v3 dst_sel:DWORD dst_unused:UNUSED_PAD src0_sel:WORD_1
	v_pack_b32_f16 v24, v18, v17
	v_pack_b32_f16 v25, v25, v19
	ds_read_u16 v17, v52 offset:3872
	ds_read_u16 v106, v52 offset:3904
	;; [unrolled: 1-line block ×14, first 2 shown]
	v_mfma_f32_16x16x16f16 v[0:3], v[26:27], v[24:25], v[0:3]
	s_waitcnt lgkmcnt(7)
	v_perm_b32 v19, v18, v19, s0
	ds_read_u16 v18, v16 offset:4080
	ds_read_u16 v117, v16 offset:4112
	;; [unrolled: 1-line block ×7, first 2 shown]
	v_cvt_f16_f32_e32 v13, v39
	v_cvt_f16_f32_e32 v14, v41
	;; [unrolled: 1-line block ×4, first 2 shown]
	s_waitcnt lgkmcnt(6)
	v_perm_b32 v18, v18, v30, s0
	v_cvt_f16_f32_e32 v0, v0
	v_cvt_f16_f32_e32 v1, v1
	;; [unrolled: 1-line block ×4, first 2 shown]
	v_cvt_f32_f16_e32 v0, v0
	v_cvt_f32_f16_e32 v1, v1
	;; [unrolled: 1-line block ×4, first 2 shown]
	v_pack_b32_f16 v26, v14, v13
	v_pack_b32_f16 v27, v31, v15
	ds_read_u16 v13, v12 offset:7680
	ds_read_u16 v14, v16 offset:8160
	v_mfma_f32_16x16x16f16 v[0:3], v[18:19], v[26:27], v[0:3]
	ds_read_u16 v18, v16 offset:7920
	ds_read_u16 v19, v16 offset:7952
	;; [unrolled: 1-line block ×14, first 2 shown]
	v_cvt_f16_f32_e32 v9, v43
	v_cvt_f16_f32_e32 v10, v44
	;; [unrolled: 1-line block ×4, first 2 shown]
	s_waitcnt lgkmcnt(7)
	v_perm_b32 v15, v15, v14, s0
	v_perm_b32 v14, v18, v13, s0
	v_cvt_f16_f32_e32 v0, v0
	v_cvt_f16_f32_e32 v1, v1
	;; [unrolled: 1-line block ×4, first 2 shown]
	v_cvt_f32_f16_e32 v0, v0
	v_cvt_f32_f16_e32 v1, v1
	;; [unrolled: 1-line block ×4, first 2 shown]
	v_cvt_f16_f32_e32 v5, v47
	v_cvt_f16_f32_e32 v6, v48
	v_pack_b32_f16 v30, v10, v9
	v_pack_b32_f16 v31, v32, v11
	v_pk_mul_f16 v4, v22, v142 op_sel_hi:[0,1]
	ds_read_u16 v134, v12 offset:7712
	ds_read_u16 v135, v12 offset:4032
	v_mfma_f32_16x16x16f16 v[0:3], v[14:15], v[30:31], v[0:3]
	ds_read_u16 v9, v16 offset:12000
	ds_read_u16 v14, v16 offset:12032
	;; [unrolled: 1-line block ×12, first 2 shown]
	s_waitcnt lgkmcnt(8)
	v_perm_b32 v11, v10, v9, s0
	ds_read_u16 v9, v16 offset:11760
	ds_read_u16 v143, v16 offset:11792
	;; [unrolled: 1-line block ×7, first 2 shown]
	s_waitcnt lgkmcnt(4)
	v_perm_b32 v10, v9, v10, s0
	v_pk_mul_f16 v9, v22, v33 op_sel_hi:[0,1]
	v_pack_b32_f16 v32, v6, v5
	v_cvt_f32_f16_e32 v58, v4
	v_cvt_f32_f16_sdwa v59, v4 dst_sel:DWORD dst_unused:UNUSED_PAD src0_sel:WORD_1
	v_perm_b32 v5, v8, v57, s0
	v_perm_b32 v4, v96, v99, s0
	v_cvt_f16_f32_e32 v7, v50
	v_cvt_f16_f32_e32 v13, v51
	v_cvt_f32_f16_e32 v60, v9
	v_cvt_f32_f16_sdwa v61, v9 dst_sel:DWORD dst_unused:UNUSED_PAD src0_sel:WORD_1
	v_perm_b32 v9, v17, v110, s0
	v_pack_b32_f16 v33, v13, v7
	v_mfma_f32_16x16x16f16 v[4:7], v[4:5], v[24:25], v[58:61]
	ds_read_u16 v8, v12 offset:3872
	ds_read_u16 v13, v12 offset:3904
	;; [unrolled: 1-line block ×5, first 2 shown]
	s_waitcnt lgkmcnt(4)
	v_perm_b32 v8, v117, v8, s0
	v_cvt_f16_f32_e32 v0, v0
	v_cvt_f16_f32_e32 v1, v1
	;; [unrolled: 1-line block ×4, first 2 shown]
	v_cvt_f32_f16_e32 v0, v0
	v_cvt_f16_f32_e32 v4, v4
	v_cvt_f16_f32_e32 v5, v5
	;; [unrolled: 1-line block ×4, first 2 shown]
	v_cvt_f32_f16_e32 v4, v4
	v_cvt_f32_f16_e32 v5, v5
	;; [unrolled: 1-line block ×6, first 2 shown]
	v_mfma_f32_16x16x16f16 v[4:7], v[8:9], v[26:27], v[4:7]
	v_cvt_f32_f16_e32 v3, v3
	v_perm_b32 v8, v19, v134, s0
	v_pk_mul_f16 v84, v22, v84 op_sel_hi:[0,1]
	v_add_f32_e32 v20, v21, v20
	v_add_f32_e32 v38, v38, v20
	;; [unrolled: 1-line block ×4, first 2 shown]
	s_nop 3
	v_cvt_f16_f32_e32 v4, v4
	v_cvt_f16_f32_e32 v5, v5
	;; [unrolled: 1-line block ×4, first 2 shown]
	v_mfma_f32_16x16x16f16 v[0:3], v[10:11], v[32:33], v[0:3]
	ds_read_u16 v10, v16 offset:8192
	ds_read_u16 v17, v16 offset:8224
	;; [unrolled: 1-line block ×5, first 2 shown]
	s_waitcnt lgkmcnt(4)
	v_perm_b32 v9, v127, v10, s0
	v_cvt_f32_f16_e32 v4, v4
	v_cvt_f32_f16_e32 v5, v5
	;; [unrolled: 1-line block ×4, first 2 shown]
	v_pk_mul_f16 v10, v22, v91 op_sel_hi:[0,1]
	v_pk_mul_f16 v11, v22, v90 op_sel_hi:[0,1]
	v_mfma_f32_16x16x16f16 v[4:7], v[8:9], v[30:31], v[4:7]
	v_perm_b32 v9, v15, v14, s0
	v_perm_b32 v8, v143, v144, s0
	;; [unrolled: 1-line block ×4, first 2 shown]
	s_waitcnt lgkmcnt(2)
	v_perm_b32 v19, v129, v110, s0
	v_add_f32_e32 v37, v39, v37
	v_pk_mul_f16 v41, v22, v23 op_sel_hi:[0,1]
	s_nop 2
	v_cvt_f16_f32_e32 v4, v4
	v_cvt_f16_f32_e32 v5, v5
	;; [unrolled: 1-line block ×4, first 2 shown]
	v_cvt_f32_f16_e32 v4, v4
	v_cvt_f32_f16_e32 v5, v5
	v_cvt_f32_f16_e32 v6, v6
	v_cvt_f32_f16_e32 v7, v7
	v_add_f32_e32 v37, v42, v37
	v_add_f32_e32 v37, v40, v37
	v_mfma_f32_16x16x16f16 v[4:7], v[8:9], v[32:33], v[4:7]
	v_cvt_f32_f16_e32 v8, v10
	v_cvt_f32_f16_sdwa v9, v10 dst_sel:DWORD dst_unused:UNUSED_PAD src0_sel:WORD_1
	v_cvt_f32_f16_e32 v10, v11
	v_cvt_f32_f16_sdwa v11, v11 dst_sel:DWORD dst_unused:UNUSED_PAD src0_sel:WORD_1
	v_add_f32_e32 v37, v44, v37
	v_add_f32_e32 v37, v43, v37
	v_add_f32_e32 v37, v46, v37
	v_mfma_f32_16x16x16f16 v[8:11], v[14:15], v[24:25], v[8:11]
	v_perm_b32 v15, v106, v111, s0
	v_perm_b32 v14, v118, v13, s0
	ds_read_u16 v13, v12 offset:7744
	ds_read_u16 v53, v12 offset:7776
	;; [unrolled: 1-line block ×4, first 2 shown]
	v_add_f32_e32 v37, v45, v37
	v_add_f32_e32 v37, v48, v37
	;; [unrolled: 1-line block ×4, first 2 shown]
	s_nop 0
	v_cvt_f16_f32_e32 v8, v8
	v_cvt_f16_f32_e32 v9, v9
	;; [unrolled: 1-line block ×4, first 2 shown]
	v_cvt_f32_f16_e32 v8, v8
	v_cvt_f32_f16_e32 v9, v9
	;; [unrolled: 1-line block ×4, first 2 shown]
	v_add_f32_e32 v37, v50, v37
	v_fmac_f32_e32 v37, v54, v49
	v_mfma_f32_16x16x16f16 v[8:11], v[14:15], v[26:27], v[8:11]
	v_perm_b32 v15, v128, v17, s0
	s_waitcnt lgkmcnt(3)
	v_perm_b32 v14, v123, v13, s0
	ds_read_u16 v13, v16 offset:11824
	ds_read_u16 v17, v16 offset:11856
	;; [unrolled: 1-line block ×4, first 2 shown]
	ds_bpermute_b32 v29, v29, v37
	s_mov_b32 s1, 0
	v_cmp_gt_u32_e32 vcc, 16, v70
	s_nop 0
	v_cvt_f16_f32_e32 v8, v8
	v_cvt_f16_f32_e32 v9, v9
	;; [unrolled: 1-line block ×4, first 2 shown]
	v_cvt_f32_f16_e32 v8, v8
	v_cvt_f32_f16_e32 v9, v9
	;; [unrolled: 1-line block ×4, first 2 shown]
	s_waitcnt lgkmcnt(0)
	v_add_f32_e32 v29, v37, v29
	v_mfma_f32_16x16x16f16 v[8:11], v[14:15], v[30:31], v[8:11]
	v_perm_b32 v15, v136, v18, s0
	v_perm_b32 v14, v13, v145, s0
	v_pk_mul_f16 v13, v22, v89 op_sel_hi:[0,1]
	v_pk_mul_f16 v18, v22, v88 op_sel_hi:[0,1]
	v_cvt_f32_f16_e32 v58, v13
	v_cvt_f32_f16_sdwa v59, v13 dst_sel:DWORD dst_unused:UNUSED_PAD src0_sel:WORD_1
	v_cvt_f32_f16_e32 v60, v18
	s_nop 3
	v_cvt_f16_f32_e32 v8, v8
	v_cvt_f16_f32_e32 v9, v9
	;; [unrolled: 1-line block ×4, first 2 shown]
	v_cvt_f32_f16_e32 v8, v8
	v_cvt_f32_f16_e32 v9, v9
	;; [unrolled: 1-line block ×4, first 2 shown]
	v_cvt_f32_f16_sdwa v61, v18 dst_sel:DWORD dst_unused:UNUSED_PAD src0_sel:WORD_1
	s_nop 0
	v_mfma_f32_16x16x16f16 v[8:11], v[14:15], v[32:33], v[8:11]
	v_perm_b32 v15, v55, v56, s0
	v_perm_b32 v14, v98, v101, s0
	ds_read_u16 v55, v16 offset:368
	ds_read_u16 v88, v16 offset:400
	v_mfma_f32_16x16x16f16 v[56:59], v[14:15], v[24:25], v[58:61]
	s_nop 6
	ds_read_u16 v60, v12 offset:11616
	ds_read_u16 v61, v12 offset:11648
	;; [unrolled: 1-line block ×3, first 2 shown]
	s_nop 0
	v_cvt_f16_f32_e32 v14, v57
	v_cvt_f16_f32_e32 v15, v58
	;; [unrolled: 1-line block ×4, first 2 shown]
	v_cvt_f32_f16_e32 v57, v14
	v_cvt_f32_f16_e32 v58, v15
	v_perm_b32 v15, v107, v112, s0
	v_perm_b32 v14, v119, v96, s0
	v_cvt_f32_f16_e32 v56, v13
	v_cvt_f32_f16_e32 v59, v18
	v_perm_b32 v18, v124, v53, s0
	ds_read_u16 v53, v16 offset:12096
	ds_read_u16 v96, v16 offset:12128
	;; [unrolled: 1-line block ×3, first 2 shown]
	v_mfma_f32_16x16x16f16 v[12:15], v[14:15], v[26:27], v[56:59]
	s_nop 6
	v_pk_mul_f16 v57, v22, v87 op_sel_hi:[0,1]
	s_nop 2
	v_cvt_f16_f32_e32 v12, v12
	v_cvt_f16_f32_e32 v13, v13
	;; [unrolled: 1-line block ×4, first 2 shown]
	v_cvt_f32_f16_e32 v12, v12
	v_cvt_f32_f16_e32 v13, v13
	;; [unrolled: 1-line block ×4, first 2 shown]
	v_pk_mul_f16 v59, v22, v86 op_sel_hi:[0,1]
	v_cvt_f32_f16_e32 v56, v57
	v_mfma_f32_16x16x16f16 v[12:15], v[18:19], v[30:31], v[12:15]
	s_waitcnt lgkmcnt(2)
	v_perm_b32 v19, v137, v53, s0
	v_perm_b32 v18, v17, v60, s0
	ds_read_u16 v17, v52 offset:128
	ds_read_u16 v53, v52 offset:160
	v_cvt_f32_f16_sdwa v57, v57 dst_sel:DWORD dst_unused:UNUSED_PAD src0_sel:WORD_1
	v_cvt_f32_f16_e32 v58, v59
	v_cvt_f32_f16_sdwa v59, v59 dst_sel:DWORD dst_unused:UNUSED_PAD src0_sel:WORD_1
	v_pk_mul_f16 v60, v22, v85 op_sel_hi:[0,1]
	s_nop 1
	v_cvt_f16_f32_e32 v12, v12
	v_cvt_f16_f32_e32 v13, v13
	v_cvt_f16_f32_e32 v14, v14
	v_cvt_f16_f32_e32 v15, v15
	v_cvt_f32_f16_e32 v12, v12
	v_cvt_f32_f16_e32 v13, v13
	v_cvt_f32_f16_e32 v14, v14
	v_cvt_f32_f16_e32 v15, v15
	ds_read_u16 v52, v52 offset:4000
	s_nop 0
	v_mfma_f32_16x16x16f16 v[12:15], v[18:19], v[32:33], v[12:15]
	s_waitcnt lgkmcnt(2)
	v_perm_b32 v19, v17, v93, s0
	v_perm_b32 v18, v55, v102, s0
	s_nop 1
	v_mfma_f32_16x16x16f16 v[56:59], v[18:19], v[24:25], v[56:59]
	s_nop 7
	s_nop 2
	v_cvt_f16_f32_e32 v18, v57
	v_cvt_f16_f32_e32 v19, v58
	v_cvt_f16_f32_e32 v17, v56
	v_cvt_f16_f32_e32 v55, v59
	v_cvt_f32_f16_e32 v57, v18
	v_cvt_f32_f16_e32 v58, v19
	v_perm_b32 v19, v108, v113, s0
	v_perm_b32 v18, v120, v99, s0
	v_cvt_f32_f16_e32 v56, v17
	v_cvt_f32_f16_e32 v59, v55
	s_nop 1
	v_mfma_f32_16x16x16f16 v[56:59], v[18:19], v[26:27], v[56:59]
	s_nop 7
	s_nop 2
	v_cvt_f16_f32_e32 v18, v57
	v_cvt_f16_f32_e32 v19, v58
	;; [unrolled: 1-line block ×4, first 2 shown]
	v_cvt_f32_f16_e32 v57, v18
	v_cvt_f32_f16_e32 v58, v19
	v_perm_b32 v19, v130, v117, s0
	v_perm_b32 v18, v125, v90, s0
	v_cvt_f32_f16_e32 v56, v17
	v_cvt_f32_f16_e32 v59, v55
	s_nop 1
	v_mfma_f32_16x16x16f16 v[56:59], v[18:19], v[30:31], v[56:59]
	s_nop 7
	s_nop 2
	v_cvt_f16_f32_e32 v18, v57
	v_cvt_f16_f32_e32 v19, v58
	v_cvt_f16_f32_e32 v55, v59
	v_cvt_f16_f32_e32 v17, v56
	v_cvt_f32_f16_e32 v57, v18
	v_cvt_f32_f16_e32 v58, v19
	v_perm_b32 v19, v138, v96, s0
	v_perm_b32 v18, v92, v61, s0
	v_cvt_f32_f16_e32 v59, v55
	ds_read_u16 v55, v16 offset:640
	v_cvt_f32_f16_e32 v56, v17
	s_waitcnt lgkmcnt(0)
	s_barrier
	v_mfma_f32_16x16x16f16 v[16:19], v[18:19], v[32:33], v[56:59]
	v_perm_b32 v61, v53, v55, s0
	s_barrier
	s_nop 4
	v_cvt_f32_f16_e32 v56, v60
	v_cvt_f32_f16_sdwa v57, v60 dst_sel:DWORD dst_unused:UNUSED_PAD src0_sel:WORD_1
	v_perm_b32 v60, v88, v103, s0
	v_cvt_f32_f16_e32 v58, v84
	v_cvt_f32_f16_sdwa v59, v84 dst_sel:DWORD dst_unused:UNUSED_PAD src0_sel:WORD_1
	s_nop 1
	v_mfma_f32_16x16x16f16 v[56:59], v[60:61], v[24:25], v[56:59]
	s_nop 7
	s_nop 2
	v_cvt_f16_f32_e32 v53, v56
	v_cvt_f16_f32_e32 v55, v57
	;; [unrolled: 1-line block ×4, first 2 shown]
	v_cvt_f32_f16_e32 v56, v53
	v_perm_b32 v53, v52, v114, s0
	v_perm_b32 v52, v121, v148, s0
	v_cvt_f32_f16_e32 v57, v55
	v_cvt_f32_f16_e32 v58, v58
	;; [unrolled: 1-line block ×3, first 2 shown]
	s_nop 1
	v_mfma_f32_16x16x16f16 v[56:59], v[52:53], v[26:27], v[56:59]
	s_nop 7
	s_nop 2
	v_cvt_f16_f32_e32 v20, v56
	v_cvt_f16_f32_e32 v21, v57
	;; [unrolled: 1-line block ×4, first 2 shown]
	v_cvt_f32_f16_e32 v56, v20
	v_cvt_f32_f16_e32 v57, v21
	v_perm_b32 v21, v131, v149, s0
	v_perm_b32 v20, v126, v91, s0
	v_cvt_f32_f16_e32 v58, v52
	v_cvt_f32_f16_e32 v59, v53
	s_nop 1
	v_mfma_f32_16x16x16f16 v[56:59], v[20:21], v[30:31], v[56:59]
	s_nop 7
	s_nop 2
	v_cvt_f16_f32_e32 v20, v56
	v_cvt_f16_f32_e32 v21, v57
	;; [unrolled: 1-line block ×4, first 2 shown]
	v_cvt_f32_f16_e32 v56, v20
	v_cvt_f32_f16_e32 v57, v21
	v_perm_b32 v21, v139, v98, s0
	v_perm_b32 v20, v97, v89, s0
	v_cvt_f32_f16_e32 v58, v38
	v_cvt_f32_f16_e32 v59, v39
	v_pk_mul_f16 v38, v22, v83 op_sel_hi:[0,1]
	v_perm_b32 v39, v109, v122, s0
	v_mfma_f32_16x16x16f16 v[20:23], v[20:21], v[32:33], v[56:59]
	s_nop 6
	v_cvt_f32_f16_e32 v56, v38
	v_cvt_f32_f16_sdwa v57, v38 dst_sel:DWORD dst_unused:UNUSED_PAD src0_sel:WORD_1
	v_perm_b32 v38, v94, v104, s0
	v_cvt_f32_f16_e32 v58, v41
	v_cvt_f32_f16_sdwa v59, v41 dst_sel:DWORD dst_unused:UNUSED_PAD src0_sel:WORD_1
	s_nop 1
	v_mfma_f32_16x16x16f16 v[38:41], v[38:39], v[24:25], v[56:59]
	s_nop 7
	s_nop 2
	v_cvt_f16_f32_e32 v24, v38
	v_cvt_f16_f32_e32 v25, v39
	;; [unrolled: 1-line block ×4, first 2 shown]
	v_cvt_f32_f16_e32 v38, v24
	v_cvt_f32_f16_e32 v39, v25
	v_perm_b32 v25, v132, v115, s0
	v_perm_b32 v24, v116, v135, s0
	v_cvt_f32_f16_e32 v40, v40
	v_cvt_f32_f16_e32 v41, v41
	s_nop 1
	v_mfma_f32_16x16x16f16 v[24:27], v[24:25], v[26:27], v[38:41]
	s_nop 6
	v_perm_b32 v39, v141, v147, s0
	s_nop 2
	v_cvt_f16_f32_e32 v24, v24
	v_cvt_f16_f32_e32 v25, v25
	;; [unrolled: 1-line block ×4, first 2 shown]
	v_perm_b32 v38, v133, v146, s0
	v_cvt_f32_f16_e32 v24, v24
	v_cvt_f32_f16_e32 v25, v25
	;; [unrolled: 1-line block ×4, first 2 shown]
	s_nop 1
	v_mfma_f32_16x16x16f16 v[24:27], v[38:39], v[30:31], v[24:27]
	v_perm_b32 v31, v140, v95, s0
	v_perm_b32 v30, v142, v105, s0
	s_nop 7
	s_nop 0
	v_cvt_f16_f32_e32 v24, v24
	v_cvt_f16_f32_e32 v25, v25
	;; [unrolled: 1-line block ×4, first 2 shown]
	v_cvt_f32_f16_e32 v24, v24
	v_cvt_f32_f16_e32 v25, v25
	;; [unrolled: 1-line block ×4, first 2 shown]
	s_nop 1
	v_mfma_f32_16x16x16f16 v[24:27], v[30:31], v[32:33], v[24:27]
	ds_bpermute_b32 v30, v36, v29
	s_and_saveexec_b64 s[2:3], vcc
	s_cbranch_execz .LBB19_379
; %bb.378:
	v_readlane_b32 s0, v238, 10
	s_add_i32 s0, s0, s10
	s_lshl_b32 s0, s0, 6
	s_lshl_b64 s[4:5], s[0:1], 3
	s_add_u32 s4, s26, s4
	v_or_b32_e32 v31, v63, v70
	s_addc_u32 s5, s27, s5
	v_lshlrev_b32_e32 v31, 3, v31
	s_waitcnt lgkmcnt(0)
	v_add_f32_e32 v29, v29, v30
	global_store_dwordx2 v31, v[28:29], s[4:5]
.LBB19_379:
	s_or_b64 exec, exec, s[2:3]
	v_cvt_f16_f32_e32 v0, v0
	v_cvt_f16_f32_e32 v2, v2
	;; [unrolled: 1-line block ×4, first 2 shown]
	v_readlane_b32 s4, v238, 3
	v_readlane_b32 s5, v238, 4
	s_load_dword s0, s[4:5], 0x0
	s_load_dword s2, s[4:5], 0x10
	v_pack_b32_f16 v2, v2, v3
	v_pack_b32_f16 v0, v0, v1
	v_cvt_f16_f32_e32 v1, v4
	v_cvt_f16_f32_e32 v3, v5
	;; [unrolled: 1-line block ×8, first 2 shown]
	s_waitcnt lgkmcnt(0)
	s_lshr_b32 s2, s2, 16
	v_pack_b32_f16 v4, v4, v5
	v_pack_b32_f16 v1, v1, v3
	;; [unrolled: 1-line block ×4, first 2 shown]
	v_cvt_f16_f32_e32 v6, v12
	v_cvt_f16_f32_e32 v7, v13
	;; [unrolled: 1-line block ×8, first 2 shown]
	s_cmp_lg_u32 s2, 0
	s_cselect_b64 s[2:3], -1, 0
	s_cmp_lg_u64 s[2:3], 0
	s_addc_u32 s0, s0, 0
	v_pack_b32_f16 v8, v8, v9
	v_pack_b32_f16 v6, v6, v7
	;; [unrolled: 1-line block ×4, first 2 shown]
	v_cvt_f16_f32_e32 v10, v20
	v_cvt_f16_f32_e32 v11, v21
	;; [unrolled: 1-line block ×8, first 2 shown]
	s_lshl_b32 s0, s0, 7
	s_lshl_b64 s[2:3], s[0:1], 3
	s_add_u32 s2, s26, s2
	s_mul_i32 s0, s10, 0xe00
	s_addc_u32 s3, s27, s3
	s_lshl_b64 s[0:1], s[0:1], 3
	v_pack_b32_f16 v12, v12, v13
	v_pack_b32_f16 v10, v10, v11
	;; [unrolled: 1-line block ×4, first 2 shown]
	s_add_u32 s0, s2, s0
	ds_write2_b32 v82, v0, v2 offset1:1
	ds_write2_b32 v82, v1, v4 offset0:8 offset1:9
	ds_write2_b32 v82, v5, v3 offset0:16 offset1:17
	ds_write2_b32 v82, v6, v8 offset0:24 offset1:25
	ds_write2_b32 v82, v9, v7 offset0:32 offset1:33
	ds_write2_b32 v82, v10, v12 offset0:40 offset1:41
	ds_write2_b32 v82, v13, v11 offset0:48 offset1:49
	v_and_b32_e32 v4, 15, v67
	s_movk_i32 s2, 0x1ff0
	v_and_or_b32 v5, v69, s2, v4
	v_and_or_b32 v7, v72, s2, v4
	;; [unrolled: 1-line block ×3, first 2 shown]
	v_and_b32_e32 v9, 15, v74
	s_movk_i32 s2, 0x3ff0
	v_and_or_b32 v11, v77, s2, v9
	v_and_or_b32 v12, v80, s2, v9
	v_mul_u32_u24_e32 v0, 60, v67
	v_mul_u32_u24_e32 v5, 60, v5
	;; [unrolled: 1-line block ×3, first 2 shown]
	v_mad_u32_u24 v11, v11, 60, v73
	v_mad_u32_u24 v12, v12, 60, v73
	v_and_or_b32 v9, v81, s2, v9
	v_lshl_add_u32 v6, v0, 2, v35
	v_lshl_add_u32 v5, v5, 2, v35
	v_mul_u32_u24_e32 v7, 60, v7
	v_lshl_add_u32 v4, v4, 2, v35
	v_lshl_add_u32 v11, v11, 2, 0
	;; [unrolled: 1-line block ×3, first 2 shown]
	v_mad_u32_u24 v9, v9, 60, v73
	s_waitcnt lgkmcnt(0)
	s_barrier
	v_lshlrev_b32_e32 v0, 2, v67
	v_lshl_add_u32 v7, v7, 2, v35
	v_lshl_add_u32 v8, v76, 2, 0
	;; [unrolled: 1-line block ×3, first 2 shown]
	ds_read_b32 v13, v6
	ds_read_b32 v14, v5
	;; [unrolled: 1-line block ×4, first 2 shown]
	ds_read_b32 v17, v8 offset:128
	ds_read_b32 v11, v11 offset:128
	;; [unrolled: 1-line block ×4, first 2 shown]
	s_waitcnt lgkmcnt(7)
	v_cvt_f32_f16_e32 v4, v13
	v_cvt_f32_f16_sdwa v5, v13 dst_sel:DWORD dst_unused:UNUSED_PAD src0_sel:WORD_1
	v_sub_u32_e32 v0, v62, v0
	v_mov_b32_e32 v1, 0
	s_addc_u32 s1, s3, s1
	v_lshlrev_b64 v[2:3], 3, v[0:1]
	v_mov_b32_e32 v0, s1
	v_add_co_u32_e32 v2, vcc, s0, v2
	v_addc_co_u32_e32 v3, vcc, v0, v3, vcc
	v_pk_add_f32 v[4:5], v[4:5], 0 op_sel_hi:[1,0]
	v_add_u32_e32 v19, 0x80, v6
	global_store_dwordx2 v[2:3], v[4:5], off
	ds_read2st64_b32 v[2:3], v19 offset0:7 offset1:22
	v_add_u32_e32 v13, 0x1e0, v62
	v_lshlrev_b32_e32 v0, 2, v65
	v_sub_u32_e32 v0, v13, v0
	s_waitcnt lgkmcnt(7)
	v_cvt_f32_f16_e32 v8, v14
	s_waitcnt lgkmcnt(0)
	v_cvt_f32_f16_e32 v6, v2
	v_cvt_f32_f16_sdwa v7, v2 dst_sel:DWORD dst_unused:UNUSED_PAD src0_sel:WORD_1
	v_cvt_f32_f16_sdwa v9, v14 dst_sel:DWORD dst_unused:UNUSED_PAD src0_sel:WORD_1
	v_lshlrev_b64 v[4:5], 3, v[0:1]
	v_mul_u32_u24_e32 v10, 56, v67
	v_mov_b32_e32 v0, s1
	v_add_co_u32_e32 v4, vcc, s0, v4
	v_addc_co_u32_e32 v5, vcc, v0, v5, vcc
	v_pk_add_f32 v[6:7], v[6:7], 0 op_sel_hi:[1,0]
	v_add_lshl_u32 v10, v10, v64, 3
	global_store_dwordx2 v[4:5], v[6:7], off
	v_add_u32_e32 v0, 0x1c00, v10
	v_pk_add_f32 v[4:5], v[8:9], 0 op_sel_hi:[1,0]
	global_store_dwordx2 v0, v[4:5], s[0:1]
	v_lshlrev_b32_e32 v0, 2, v66
	v_sub_u32_e32 v0, v13, v0
	v_cvt_f32_f16_e32 v2, v3
	v_cvt_f32_f16_sdwa v3, v3 dst_sel:DWORD dst_unused:UNUSED_PAD src0_sel:WORD_1
	v_add_u32_e32 v0, 0x3c0, v0
	v_cvt_f32_f16_e32 v6, v15
	v_cvt_f32_f16_sdwa v7, v15 dst_sel:DWORD dst_unused:UNUSED_PAD src0_sel:WORD_1
	v_lshlrev_b64 v[4:5], 3, v[0:1]
	v_mov_b32_e32 v0, s1
	v_add_co_u32_e32 v4, vcc, s0, v4
	v_addc_co_u32_e32 v5, vcc, v0, v5, vcc
	v_pk_add_f32 v[2:3], v[2:3], 0 op_sel_hi:[1,0]
	global_store_dwordx2 v[4:5], v[2:3], off
	v_add_u32_e32 v0, 0x3800, v10
	v_pk_add_f32 v[2:3], v[6:7], 0 op_sel_hi:[1,0]
	global_store_dwordx2 v0, v[2:3], s[0:1]
	ds_read2st64_b32 v[2:3], v19 offset0:37 offset1:52
	v_add_u32_e32 v13, 0x960, v62
	v_lshlrev_b32_e32 v0, 2, v68
	v_sub_u32_e32 v0, v13, v0
	v_cvt_f32_f16_e32 v8, v16
	s_waitcnt lgkmcnt(0)
	v_cvt_f32_f16_e32 v6, v2
	v_cvt_f32_f16_sdwa v7, v2 dst_sel:DWORD dst_unused:UNUSED_PAD src0_sel:WORD_1
	v_cvt_f32_f16_sdwa v9, v16 dst_sel:DWORD dst_unused:UNUSED_PAD src0_sel:WORD_1
	v_lshlrev_b64 v[4:5], 3, v[0:1]
	v_mov_b32_e32 v0, s1
	v_add_co_u32_e32 v4, vcc, s0, v4
	v_addc_co_u32_e32 v5, vcc, v0, v5, vcc
	v_pk_add_f32 v[6:7], v[6:7], 0 op_sel_hi:[1,0]
	global_store_dwordx2 v[4:5], v[6:7], off
	v_add_u32_e32 v0, 0x5400, v10
	v_pk_add_f32 v[4:5], v[8:9], 0 op_sel_hi:[1,0]
	global_store_dwordx2 v0, v[4:5], s[0:1]
	v_lshlrev_b32_e32 v0, 2, v71
	v_sub_u32_e32 v0, v13, v0
	v_add_u32_e32 v0, 0x3c0, v0
	v_lshlrev_b64 v[0:1], 3, v[0:1]
	v_cvt_f32_f16_e32 v2, v3
	v_cvt_f32_f16_sdwa v3, v3 dst_sel:DWORD dst_unused:UNUSED_PAD src0_sel:WORD_1
	v_mov_b32_e32 v4, s1
	v_add_co_u32_e32 v0, vcc, s0, v0
	v_addc_co_u32_e32 v1, vcc, v4, v1, vcc
	v_cvt_f32_f16_e32 v4, v17
	v_cvt_f32_f16_sdwa v5, v17 dst_sel:DWORD dst_unused:UNUSED_PAD src0_sel:WORD_1
	v_pk_add_f32 v[2:3], v[2:3], 0 op_sel_hi:[1,0]
	global_store_dwordx2 v[0:1], v[2:3], off
	v_mul_u32_u24_e32 v0, 56, v74
	v_add_lshl_u32 v6, v0, v73, 3
	v_pk_add_f32 v[0:1], v[4:5], 0 op_sel_hi:[1,0]
	global_store_dwordx2 v6, v[0:1], s[0:1] offset:256
	v_cvt_f32_f16_e32 v0, v11
	v_cvt_f32_f16_sdwa v1, v11 dst_sel:DWORD dst_unused:UNUSED_PAD src0_sel:WORD_1
	v_cvt_f32_f16_e32 v2, v12
	v_cvt_f32_f16_sdwa v3, v12 dst_sel:DWORD dst_unused:UNUSED_PAD src0_sel:WORD_1
	v_add_u32_e32 v4, 0x1c00, v6
	v_pk_add_f32 v[0:1], v[0:1], 0 op_sel_hi:[1,0]
	global_store_dwordx2 v4, v[0:1], s[0:1] offset:256
	v_add_u32_e32 v4, 0x3800, v6
	v_pk_add_f32 v[0:1], v[2:3], 0 op_sel_hi:[1,0]
	v_lshl_add_u32 v2, v78, 2, v34
	global_store_dwordx2 v4, v[0:1], s[0:1] offset:256
	v_cvt_f32_f16_e32 v0, v18
	v_cvt_f32_f16_sdwa v1, v18 dst_sel:DWORD dst_unused:UNUSED_PAD src0_sel:WORD_1
	v_add_u32_e32 v2, 0xc0, v2
	ds_read2st64_b32 v[2:3], v2 offset1:30
	v_add_u32_e32 v4, 0x5400, v6
	v_pk_add_f32 v[0:1], v[0:1], 0 op_sel_hi:[1,0]
	global_store_dwordx2 v4, v[0:1], s[0:1] offset:256
	v_mul_u32_u24_e32 v0, 56, v79
	v_or_b32_e32 v4, v0, v78
	s_waitcnt lgkmcnt(0)
	v_cvt_f32_f16_e32 v0, v2
	v_cvt_f32_f16_sdwa v1, v2 dst_sel:DWORD dst_unused:UNUSED_PAD src0_sel:WORD_1
	v_cvt_f32_f16_e32 v2, v3
	v_cvt_f32_f16_sdwa v3, v3 dst_sel:DWORD dst_unused:UNUSED_PAD src0_sel:WORD_1
	v_lshlrev_b32_e32 v4, 3, v4
	v_pk_add_f32 v[0:1], v[0:1], 0 op_sel_hi:[1,0]
	global_store_dwordx2 v4, v[0:1], s[0:1] offset:384
	v_add_u32_e32 v4, 0x3800, v4
	v_pk_add_f32 v[0:1], v[2:3], 0 op_sel_hi:[1,0]
	global_store_dwordx2 v4, v[0:1], s[0:1] offset:384
	s_endpgm
	.section	.rodata,"a",@progbits
	.p2align	6, 0x0
	.amdhsa_kernel _ZL18flash_attn_ext_f16ILi112ELi112ELi16ELi4ELb0ELb0EEvPKcS1_S1_S1_S1_PKiPfP15HIP_vector_typeIfLj2EEffffjfiS5_IjLj3EEiiiiiiiiiiiliiliiiiil
		.amdhsa_group_segment_fixed_size 0
		.amdhsa_private_segment_fixed_size 0
		.amdhsa_kernarg_size 464
		.amdhsa_user_sgpr_count 6
		.amdhsa_user_sgpr_private_segment_buffer 1
		.amdhsa_user_sgpr_dispatch_ptr 0
		.amdhsa_user_sgpr_queue_ptr 0
		.amdhsa_user_sgpr_kernarg_segment_ptr 1
		.amdhsa_user_sgpr_dispatch_id 0
		.amdhsa_user_sgpr_flat_scratch_init 0
		.amdhsa_user_sgpr_kernarg_preload_length 0
		.amdhsa_user_sgpr_kernarg_preload_offset 0
		.amdhsa_user_sgpr_private_segment_size 0
		.amdhsa_uses_dynamic_stack 0
		.amdhsa_system_sgpr_private_segment_wavefront_offset 0
		.amdhsa_system_sgpr_workgroup_id_x 1
		.amdhsa_system_sgpr_workgroup_id_y 0
		.amdhsa_system_sgpr_workgroup_id_z 0
		.amdhsa_system_sgpr_workgroup_info 0
		.amdhsa_system_vgpr_workitem_id 1
		.amdhsa_next_free_vgpr 239
		.amdhsa_next_free_sgpr 96
		.amdhsa_accum_offset 240
		.amdhsa_reserve_vcc 1
		.amdhsa_reserve_flat_scratch 0
		.amdhsa_float_round_mode_32 0
		.amdhsa_float_round_mode_16_64 0
		.amdhsa_float_denorm_mode_32 3
		.amdhsa_float_denorm_mode_16_64 3
		.amdhsa_dx10_clamp 1
		.amdhsa_ieee_mode 1
		.amdhsa_fp16_overflow 0
		.amdhsa_tg_split 0
		.amdhsa_exception_fp_ieee_invalid_op 0
		.amdhsa_exception_fp_denorm_src 0
		.amdhsa_exception_fp_ieee_div_zero 0
		.amdhsa_exception_fp_ieee_overflow 0
		.amdhsa_exception_fp_ieee_underflow 0
		.amdhsa_exception_fp_ieee_inexact 0
		.amdhsa_exception_int_div_zero 0
	.end_amdhsa_kernel
	.section	.text._ZL18flash_attn_ext_f16ILi112ELi112ELi16ELi4ELb0ELb0EEvPKcS1_S1_S1_S1_PKiPfP15HIP_vector_typeIfLj2EEffffjfiS5_IjLj3EEiiiiiiiiiiiliiliiiiil,"axG",@progbits,_ZL18flash_attn_ext_f16ILi112ELi112ELi16ELi4ELb0ELb0EEvPKcS1_S1_S1_S1_PKiPfP15HIP_vector_typeIfLj2EEffffjfiS5_IjLj3EEiiiiiiiiiiiliiliiiiil,comdat
.Lfunc_end19:
	.size	_ZL18flash_attn_ext_f16ILi112ELi112ELi16ELi4ELb0ELb0EEvPKcS1_S1_S1_S1_PKiPfP15HIP_vector_typeIfLj2EEffffjfiS5_IjLj3EEiiiiiiiiiiiliiliiiiil, .Lfunc_end19-_ZL18flash_attn_ext_f16ILi112ELi112ELi16ELi4ELb0ELb0EEvPKcS1_S1_S1_S1_PKiPfP15HIP_vector_typeIfLj2EEffffjfiS5_IjLj3EEiiiiiiiiiiiliiliiiiil
                                        ; -- End function
	.section	.AMDGPU.csdata,"",@progbits
; Kernel info:
; codeLenInByte = 59820
; NumSgprs: 100
; NumVgprs: 239
; NumAgprs: 0
; TotalNumVgprs: 239
; ScratchSize: 0
; MemoryBound: 0
; FloatMode: 240
; IeeeMode: 1
; LDSByteSize: 0 bytes/workgroup (compile time only)
; SGPRBlocks: 12
; VGPRBlocks: 29
; NumSGPRsForWavesPerEU: 100
; NumVGPRsForWavesPerEU: 239
; AccumOffset: 240
; Occupancy: 2
; WaveLimiterHint : 0
; COMPUTE_PGM_RSRC2:SCRATCH_EN: 0
; COMPUTE_PGM_RSRC2:USER_SGPR: 6
; COMPUTE_PGM_RSRC2:TRAP_HANDLER: 0
; COMPUTE_PGM_RSRC2:TGID_X_EN: 1
; COMPUTE_PGM_RSRC2:TGID_Y_EN: 0
; COMPUTE_PGM_RSRC2:TGID_Z_EN: 0
; COMPUTE_PGM_RSRC2:TIDIG_COMP_CNT: 1
; COMPUTE_PGM_RSRC3_GFX90A:ACCUM_OFFSET: 59
; COMPUTE_PGM_RSRC3_GFX90A:TG_SPLIT: 0
	.section	.text._ZL18flash_attn_ext_f16ILi112ELi112ELi16ELi4ELb1ELb0EEvPKcS1_S1_S1_S1_PKiPfP15HIP_vector_typeIfLj2EEffffjfiS5_IjLj3EEiiiiiiiiiiiliiliiiiil,"axG",@progbits,_ZL18flash_attn_ext_f16ILi112ELi112ELi16ELi4ELb1ELb0EEvPKcS1_S1_S1_S1_PKiPfP15HIP_vector_typeIfLj2EEffffjfiS5_IjLj3EEiiiiiiiiiiiliiliiiiil,comdat
	.globl	_ZL18flash_attn_ext_f16ILi112ELi112ELi16ELi4ELb1ELb0EEvPKcS1_S1_S1_S1_PKiPfP15HIP_vector_typeIfLj2EEffffjfiS5_IjLj3EEiiiiiiiiiiiliiliiiiil ; -- Begin function _ZL18flash_attn_ext_f16ILi112ELi112ELi16ELi4ELb1ELb0EEvPKcS1_S1_S1_S1_PKiPfP15HIP_vector_typeIfLj2EEffffjfiS5_IjLj3EEiiiiiiiiiiiliiliiiiil
	.p2align	8
	.type	_ZL18flash_attn_ext_f16ILi112ELi112ELi16ELi4ELb1ELb0EEvPKcS1_S1_S1_S1_PKiPfP15HIP_vector_typeIfLj2EEffffjfiS5_IjLj3EEiiiiiiiiiiiliiliiiiil,@function
_ZL18flash_attn_ext_f16ILi112ELi112ELi16ELi4ELb1ELb0EEvPKcS1_S1_S1_S1_PKiPfP15HIP_vector_typeIfLj2EEffffjfiS5_IjLj3EEiiiiiiiiiiiliiliiiiil: ; @_ZL18flash_attn_ext_f16ILi112ELi112ELi16ELi4ELb1ELb0EEvPKcS1_S1_S1_S1_PKiPfP15HIP_vector_typeIfLj2EEffffjfiS5_IjLj3EEiiiiiiiiiiiliiliiiiil
; %bb.0:
	s_add_u32 flat_scratch_lo, s6, s9
	s_addc_u32 flat_scratch_hi, s7, 0
	s_add_u32 s0, s0, s9
	s_addc_u32 s1, s1, 0
	s_add_u32 s8, s4, 0xd0
	s_addc_u32 s9, s5, 0
	v_mov_b32_e32 v0, 0x6cc
	s_mov_b32 s32, 0
	s_getpc_b64 s[4:5]
	s_add_u32 s4, s4, _ZL14no_device_codePKciS0_iS0_@rel32@lo+4
	s_addc_u32 s5, s5, _ZL14no_device_codePKciS0_iS0_@rel32@hi+12
	s_swappc_b64 s[30:31], s[4:5]
	.section	.rodata,"a",@progbits
	.p2align	6, 0x0
	.amdhsa_kernel _ZL18flash_attn_ext_f16ILi112ELi112ELi16ELi4ELb1ELb0EEvPKcS1_S1_S1_S1_PKiPfP15HIP_vector_typeIfLj2EEffffjfiS5_IjLj3EEiiiiiiiiiiiliiliiiiil
		.amdhsa_group_segment_fixed_size 0
		.amdhsa_private_segment_fixed_size 16
		.amdhsa_kernarg_size 464
		.amdhsa_user_sgpr_count 8
		.amdhsa_user_sgpr_private_segment_buffer 1
		.amdhsa_user_sgpr_dispatch_ptr 0
		.amdhsa_user_sgpr_queue_ptr 0
		.amdhsa_user_sgpr_kernarg_segment_ptr 1
		.amdhsa_user_sgpr_dispatch_id 0
		.amdhsa_user_sgpr_flat_scratch_init 1
		.amdhsa_user_sgpr_kernarg_preload_length 0
		.amdhsa_user_sgpr_kernarg_preload_offset 0
		.amdhsa_user_sgpr_private_segment_size 0
		.amdhsa_uses_dynamic_stack 0
		.amdhsa_system_sgpr_private_segment_wavefront_offset 1
		.amdhsa_system_sgpr_workgroup_id_x 1
		.amdhsa_system_sgpr_workgroup_id_y 0
		.amdhsa_system_sgpr_workgroup_id_z 0
		.amdhsa_system_sgpr_workgroup_info 0
		.amdhsa_system_vgpr_workitem_id 0
		.amdhsa_next_free_vgpr 39
		.amdhsa_next_free_sgpr 34
		.amdhsa_accum_offset 40
		.amdhsa_reserve_vcc 1
		.amdhsa_reserve_flat_scratch 1
		.amdhsa_float_round_mode_32 0
		.amdhsa_float_round_mode_16_64 0
		.amdhsa_float_denorm_mode_32 3
		.amdhsa_float_denorm_mode_16_64 3
		.amdhsa_dx10_clamp 1
		.amdhsa_ieee_mode 1
		.amdhsa_fp16_overflow 0
		.amdhsa_tg_split 0
		.amdhsa_exception_fp_ieee_invalid_op 0
		.amdhsa_exception_fp_denorm_src 0
		.amdhsa_exception_fp_ieee_div_zero 0
		.amdhsa_exception_fp_ieee_overflow 0
		.amdhsa_exception_fp_ieee_underflow 0
		.amdhsa_exception_fp_ieee_inexact 0
		.amdhsa_exception_int_div_zero 0
	.end_amdhsa_kernel
	.section	.text._ZL18flash_attn_ext_f16ILi112ELi112ELi16ELi4ELb1ELb0EEvPKcS1_S1_S1_S1_PKiPfP15HIP_vector_typeIfLj2EEffffjfiS5_IjLj3EEiiiiiiiiiiiliiliiiiil,"axG",@progbits,_ZL18flash_attn_ext_f16ILi112ELi112ELi16ELi4ELb1ELb0EEvPKcS1_S1_S1_S1_PKiPfP15HIP_vector_typeIfLj2EEffffjfiS5_IjLj3EEiiiiiiiiiiiliiliiiiil,comdat
.Lfunc_end20:
	.size	_ZL18flash_attn_ext_f16ILi112ELi112ELi16ELi4ELb1ELb0EEvPKcS1_S1_S1_S1_PKiPfP15HIP_vector_typeIfLj2EEffffjfiS5_IjLj3EEiiiiiiiiiiiliiliiiiil, .Lfunc_end20-_ZL18flash_attn_ext_f16ILi112ELi112ELi16ELi4ELb1ELb0EEvPKcS1_S1_S1_S1_PKiPfP15HIP_vector_typeIfLj2EEffffjfiS5_IjLj3EEiiiiiiiiiiiliiliiiiil
                                        ; -- End function
	.section	.AMDGPU.csdata,"",@progbits
; Kernel info:
; codeLenInByte = 64
; NumSgprs: 40
; NumVgprs: 39
; NumAgprs: 0
; TotalNumVgprs: 39
; ScratchSize: 16
; MemoryBound: 0
; FloatMode: 240
; IeeeMode: 1
; LDSByteSize: 0 bytes/workgroup (compile time only)
; SGPRBlocks: 4
; VGPRBlocks: 4
; NumSGPRsForWavesPerEU: 40
; NumVGPRsForWavesPerEU: 39
; AccumOffset: 40
; Occupancy: 8
; WaveLimiterHint : 1
; COMPUTE_PGM_RSRC2:SCRATCH_EN: 1
; COMPUTE_PGM_RSRC2:USER_SGPR: 8
; COMPUTE_PGM_RSRC2:TRAP_HANDLER: 0
; COMPUTE_PGM_RSRC2:TGID_X_EN: 1
; COMPUTE_PGM_RSRC2:TGID_Y_EN: 0
; COMPUTE_PGM_RSRC2:TGID_Z_EN: 0
; COMPUTE_PGM_RSRC2:TIDIG_COMP_CNT: 0
; COMPUTE_PGM_RSRC3_GFX90A:ACCUM_OFFSET: 9
; COMPUTE_PGM_RSRC3_GFX90A:TG_SPLIT: 0
	.section	.text._ZL33flash_attn_stream_k_fixup_uniformILi112ELi16ELi4EEvPfPK15HIP_vector_typeIfLj2EEiiiiiiS1_IjLj3EES5_S5_,"axG",@progbits,_ZL33flash_attn_stream_k_fixup_uniformILi112ELi16ELi4EEvPfPK15HIP_vector_typeIfLj2EEiiiiiiS1_IjLj3EES5_S5_,comdat
	.globl	_ZL33flash_attn_stream_k_fixup_uniformILi112ELi16ELi4EEvPfPK15HIP_vector_typeIfLj2EEiiiiiiS1_IjLj3EES5_S5_ ; -- Begin function _ZL33flash_attn_stream_k_fixup_uniformILi112ELi16ELi4EEvPfPK15HIP_vector_typeIfLj2EEiiiiiiS1_IjLj3EES5_S5_
	.p2align	8
	.type	_ZL33flash_attn_stream_k_fixup_uniformILi112ELi16ELi4EEvPfPK15HIP_vector_typeIfLj2EEiiiiiiS1_IjLj3EES5_S5_,@function
_ZL33flash_attn_stream_k_fixup_uniformILi112ELi16ELi4EEvPfPK15HIP_vector_typeIfLj2EEiiiiiiS1_IjLj3EES5_S5_: ; @_ZL33flash_attn_stream_k_fixup_uniformILi112ELi16ELi4EEvPfPK15HIP_vector_typeIfLj2EEiiiiiiS1_IjLj3EES5_S5_
; %bb.0:
	s_load_dwordx8 s[12:19], s[4:5], 0x1c
	s_load_dwordx2 s[10:11], s[4:5], 0x10
	s_load_dwordx4 s[0:3], s[4:5], 0x3c
	s_waitcnt lgkmcnt(0)
	s_mul_hi_u32 s9, s15, s6
	s_add_i32 s9, s6, s9
	s_lshr_b32 s9, s9, s16
	s_mul_i32 s15, s9, s17
	s_sub_i32 s16, s6, s15
	s_mul_hi_u32 s15, s16, s18
	s_add_i32 s15, s16, s15
	s_lshr_b32 s15, s15, s19
	s_mul_i32 s0, s15, s0
	s_sub_i32 s0, s16, s0
	s_mul_hi_u32 s1, s0, s1
	s_add_i32 s1, s0, s1
	s_lshr_b32 s1, s1, s2
	s_mul_i32 s2, s1, s3
	s_sub_i32 s16, s0, s2
	s_lshl_b32 s0, s16, 4
	s_lshl_b32 s17, s1, 2
	s_add_i32 s0, s0, s7
	s_cmp_lt_i32 s0, s10
	s_cselect_b64 s[0:1], -1, 0
	s_add_i32 s17, s17, s8
	s_cmp_lt_i32 s17, s13
	s_cselect_b64 s[2:3], -1, 0
	s_and_b64 s[0:1], s[0:1], s[2:3]
	s_andn2_b64 vcc, exec, s[0:1]
	s_cbranch_vccnz .LBB21_6
; %bb.1:
	s_load_dwordx4 s[0:3], s[4:5], 0x0
	s_mul_i32 s4, s9, s10
	s_mul_i32 s15, s15, s13
	s_add_i32 s4, s4, s7
	s_mul_i32 s4, s4, s11
	s_add_i32 s9, s17, s15
	;; [unrolled: 2-line block ×3, first 2 shown]
	s_mulk_i32 s5, 0x700
	s_mulk_i32 s4, 0x70
	s_add_i32 s4, s4, s5
	v_add_u32_e32 v2, s4, v0
	v_ashrrev_i32_e32 v3, 31, v2
	v_lshlrev_b64 v[2:3], 2, v[2:3]
	s_waitcnt lgkmcnt(0)
	v_mov_b32_e32 v1, s1
	v_add_co_u32_e32 v2, vcc, s0, v2
	v_addc_co_u32_e32 v3, vcc, v1, v3, vcc
	global_load_dword v8, v[2:3], off
	s_mul_i32 s9, s6, s14
	s_lshl_b32 s4, s7, 2
	s_add_i32 s11, s9, s14
	s_add_i32 s0, s4, s8
	s_lshl_b32 s1, s11, 6
	s_add_i32 s0, s0, s1
	s_sub_i32 s0, s0, 64
	s_ashr_i32 s1, s0, 31
	s_lshl_b64 s[0:1], s[0:1], 3
	s_add_u32 s0, s2, s0
	s_addc_u32 s1, s3, s1
	s_load_dword s5, s[0:1], 0x4
	s_add_i32 s10, s11, -2
	s_cmp_lt_i32 s10, s9
	s_cbranch_scc1 .LBB21_4
; %bb.2:
	s_lshl_b32 s16, s12, 8
	s_ashr_i32 s17, s16, 31
	s_lshl_b64 s[16:17], s[16:17], 2
	s_add_u32 s10, s2, s16
	s_addc_u32 s13, s3, s17
	s_add_i32 s6, s6, 1
	s_load_dword s0, s[0:1], 0x0
	s_mul_i32 s1, s14, s6
	s_lshl_b32 s6, s1, 6
	s_add_i32 s6, s8, s6
	s_lshl_b32 s12, s12, 6
	s_add_i32 s6, s6, s12
	s_add_i32 s4, s6, s4
	s_mulk_i32 s7, 0x1c0
	s_mul_i32 s6, s8, 0x70
	s_mulk_i32 s1, 0x1c00
	s_add_i32 s6, s6, s7
	s_add_i32 s6, s6, s1
	v_add_u32_e32 v0, s6, v0
	s_add_i32 s11, s11, -1
	s_addk_i32 s4, 0xff80
	v_add_u32_e32 v0, 0xffffc800, v0
	s_waitcnt lgkmcnt(0)
	v_mov_b32_e32 v7, s5
	v_mov_b32_e32 v6, s0
	;; [unrolled: 1-line block ×3, first 2 shown]
	s_mov_b32 s6, 0x3fb8aa3b
	s_mov_b32 s7, 0xc2ce8ed0
	;; [unrolled: 1-line block ×3, first 2 shown]
	v_mov_b32_e32 v5, 0x7f800000
	s_mov_b32 s12, 0xc1a00000
.LBB21_3:                               ; =>This Inner Loop Header: Depth=1
	v_ashrrev_i32_e32 v1, 31, v0
	v_lshlrev_b64 v[10:11], 2, v[0:1]
	v_add_co_u32_e32 v10, vcc, s10, v10
	v_addc_co_u32_e32 v11, vcc, v4, v11, vcc
	global_load_dword v1, v[10:11], off
	s_ashr_i32 s5, s4, 31
	s_lshl_b64 s[0:1], s[4:5], 3
	s_add_u32 s0, s2, s0
	s_addc_u32 s1, s3, s1
	s_load_dwordx2 s[14:15], s[0:1], 0x0
	s_waitcnt vmcnt(1)
	v_mov_b32_e32 v9, v8
	v_max_f32_e32 v8, v6, v6
	v_mov_b32_e32 v10, v7
	s_add_i32 s11, s11, -1
	s_waitcnt lgkmcnt(0)
	v_max_f32_e64 v7, s14, s14
	v_max_f32_e32 v7, v8, v7
	v_sub_f32_e32 v11, s14, v7
	v_sub_f32_e32 v8, v6, v7
	v_mul_f32_e32 v12, 0x3fb8aa3b, v11
	v_mov_b32_e32 v6, v7
	v_mul_f32_e32 v7, 0x3fb8aa3b, v8
	v_fma_f32 v15, v11, s6, -v12
	v_rndne_f32_e32 v16, v12
	v_fma_f32 v13, v8, s6, -v7
	v_rndne_f32_e32 v14, v7
	v_fmac_f32_e32 v15, 0x32a5705f, v11
	v_sub_f32_e32 v12, v12, v16
	v_fmac_f32_e32 v13, 0x32a5705f, v8
	v_sub_f32_e32 v7, v7, v14
	v_add_f32_e32 v12, v12, v15
	v_cvt_i32_f32_e32 v16, v16
	v_add_f32_e32 v7, v7, v13
	v_exp_f32_e32 v12, v12
	v_cvt_i32_f32_e32 v14, v14
	v_exp_f32_e32 v7, v7
	v_cmp_ngt_f32_e32 vcc, s7, v11
	v_ldexp_f32 v12, v12, v16
	v_cmp_ngt_f32_e64 s[0:1], s7, v8
	v_ldexp_f32 v7, v7, v14
	v_cndmask_b32_e32 v12, 0, v12, vcc
	v_cmp_nlt_f32_e32 vcc, s8, v11
	v_cndmask_b32_e64 v7, 0, v7, s[0:1]
	v_cmp_nlt_f32_e64 s[0:1], s8, v8
	v_cndmask_b32_e32 v12, v5, v12, vcc
	v_cmp_le_f32_e32 vcc, s12, v11
	v_cndmask_b32_e64 v7, v5, v7, s[0:1]
	v_cmp_le_f32_e64 s[0:1], s12, v8
	v_cndmask_b32_e32 v8, 0, v12, vcc
	s_sub_i32 s4, s4, 64
	v_cndmask_b32_e64 v11, 0, v7, s[0:1]
	v_mul_f32_e32 v7, s15, v8
	v_add_u32_e32 v0, 0xffffe400, v0
	s_cmp_le_i32 s11, s9
	v_fmac_f32_e32 v7, v10, v11
	s_waitcnt vmcnt(0)
	v_mul_f32_e32 v8, v1, v8
	v_fmac_f32_e32 v8, v9, v11
	s_cbranch_scc0 .LBB21_3
	s_branch .LBB21_5
.LBB21_4:
	s_waitcnt lgkmcnt(0)
	v_mov_b32_e32 v7, s5
.LBB21_5:
	s_waitcnt vmcnt(0)
	v_div_scale_f32 v0, s[0:1], v7, v7, v8
	v_rcp_f32_e32 v1, v0
	v_div_scale_f32 v4, vcc, v8, v7, v8
	v_fma_f32 v5, -v0, v1, 1.0
	v_fmac_f32_e32 v1, v5, v1
	v_mul_f32_e32 v5, v4, v1
	v_fma_f32 v6, -v0, v5, v4
	v_fmac_f32_e32 v5, v6, v1
	v_fma_f32 v0, -v0, v5, v4
	v_div_fmas_f32 v0, v0, v1, v5
	v_div_fixup_f32 v0, v0, v7, v8
	global_store_dword v[2:3], v0, off
.LBB21_6:
	s_endpgm
	.section	.rodata,"a",@progbits
	.p2align	6, 0x0
	.amdhsa_kernel _ZL33flash_attn_stream_k_fixup_uniformILi112ELi16ELi4EEvPfPK15HIP_vector_typeIfLj2EEiiiiiiS1_IjLj3EES5_S5_
		.amdhsa_group_segment_fixed_size 0
		.amdhsa_private_segment_fixed_size 0
		.amdhsa_kernarg_size 76
		.amdhsa_user_sgpr_count 6
		.amdhsa_user_sgpr_private_segment_buffer 1
		.amdhsa_user_sgpr_dispatch_ptr 0
		.amdhsa_user_sgpr_queue_ptr 0
		.amdhsa_user_sgpr_kernarg_segment_ptr 1
		.amdhsa_user_sgpr_dispatch_id 0
		.amdhsa_user_sgpr_flat_scratch_init 0
		.amdhsa_user_sgpr_kernarg_preload_length 0
		.amdhsa_user_sgpr_kernarg_preload_offset 0
		.amdhsa_user_sgpr_private_segment_size 0
		.amdhsa_uses_dynamic_stack 0
		.amdhsa_system_sgpr_private_segment_wavefront_offset 0
		.amdhsa_system_sgpr_workgroup_id_x 1
		.amdhsa_system_sgpr_workgroup_id_y 1
		.amdhsa_system_sgpr_workgroup_id_z 1
		.amdhsa_system_sgpr_workgroup_info 0
		.amdhsa_system_vgpr_workitem_id 0
		.amdhsa_next_free_vgpr 17
		.amdhsa_next_free_sgpr 20
		.amdhsa_accum_offset 20
		.amdhsa_reserve_vcc 1
		.amdhsa_reserve_flat_scratch 0
		.amdhsa_float_round_mode_32 0
		.amdhsa_float_round_mode_16_64 0
		.amdhsa_float_denorm_mode_32 3
		.amdhsa_float_denorm_mode_16_64 3
		.amdhsa_dx10_clamp 1
		.amdhsa_ieee_mode 1
		.amdhsa_fp16_overflow 0
		.amdhsa_tg_split 0
		.amdhsa_exception_fp_ieee_invalid_op 0
		.amdhsa_exception_fp_denorm_src 0
		.amdhsa_exception_fp_ieee_div_zero 0
		.amdhsa_exception_fp_ieee_overflow 0
		.amdhsa_exception_fp_ieee_underflow 0
		.amdhsa_exception_fp_ieee_inexact 0
		.amdhsa_exception_int_div_zero 0
	.end_amdhsa_kernel
	.section	.text._ZL33flash_attn_stream_k_fixup_uniformILi112ELi16ELi4EEvPfPK15HIP_vector_typeIfLj2EEiiiiiiS1_IjLj3EES5_S5_,"axG",@progbits,_ZL33flash_attn_stream_k_fixup_uniformILi112ELi16ELi4EEvPfPK15HIP_vector_typeIfLj2EEiiiiiiS1_IjLj3EES5_S5_,comdat
.Lfunc_end21:
	.size	_ZL33flash_attn_stream_k_fixup_uniformILi112ELi16ELi4EEvPfPK15HIP_vector_typeIfLj2EEiiiiiiS1_IjLj3EES5_S5_, .Lfunc_end21-_ZL33flash_attn_stream_k_fixup_uniformILi112ELi16ELi4EEvPfPK15HIP_vector_typeIfLj2EEiiiiiiS1_IjLj3EES5_S5_
                                        ; -- End function
	.section	.AMDGPU.csdata,"",@progbits
; Kernel info:
; codeLenInByte = 856
; NumSgprs: 24
; NumVgprs: 17
; NumAgprs: 0
; TotalNumVgprs: 17
; ScratchSize: 0
; MemoryBound: 0
; FloatMode: 240
; IeeeMode: 1
; LDSByteSize: 0 bytes/workgroup (compile time only)
; SGPRBlocks: 2
; VGPRBlocks: 2
; NumSGPRsForWavesPerEU: 24
; NumVGPRsForWavesPerEU: 17
; AccumOffset: 20
; Occupancy: 8
; WaveLimiterHint : 0
; COMPUTE_PGM_RSRC2:SCRATCH_EN: 0
; COMPUTE_PGM_RSRC2:USER_SGPR: 6
; COMPUTE_PGM_RSRC2:TRAP_HANDLER: 0
; COMPUTE_PGM_RSRC2:TGID_X_EN: 1
; COMPUTE_PGM_RSRC2:TGID_Y_EN: 1
; COMPUTE_PGM_RSRC2:TGID_Z_EN: 1
; COMPUTE_PGM_RSRC2:TIDIG_COMP_CNT: 0
; COMPUTE_PGM_RSRC3_GFX90A:ACCUM_OFFSET: 4
; COMPUTE_PGM_RSRC3_GFX90A:TG_SPLIT: 0
	.section	.text._ZL33flash_attn_stream_k_fixup_generalILi112ELi16ELi4EEvPfPK15HIP_vector_typeIfLj2EEiiiiS1_IjLj3EES5_S5_S5_,"axG",@progbits,_ZL33flash_attn_stream_k_fixup_generalILi112ELi16ELi4EEvPfPK15HIP_vector_typeIfLj2EEiiiiS1_IjLj3EES5_S5_S5_,comdat
	.globl	_ZL33flash_attn_stream_k_fixup_generalILi112ELi16ELi4EEvPfPK15HIP_vector_typeIfLj2EEiiiiS1_IjLj3EES5_S5_S5_ ; -- Begin function _ZL33flash_attn_stream_k_fixup_generalILi112ELi16ELi4EEvPfPK15HIP_vector_typeIfLj2EEiiiiS1_IjLj3EES5_S5_S5_
	.p2align	8
	.type	_ZL33flash_attn_stream_k_fixup_generalILi112ELi16ELi4EEvPfPK15HIP_vector_typeIfLj2EEiiiiS1_IjLj3EES5_S5_S5_,@function
_ZL33flash_attn_stream_k_fixup_generalILi112ELi16ELi4EEvPfPK15HIP_vector_typeIfLj2EEiiiiS1_IjLj3EES5_S5_S5_: ; @_ZL33flash_attn_stream_k_fixup_generalILi112ELi16ELi4EEvPfPK15HIP_vector_typeIfLj2EEiiiiS1_IjLj3EES5_S5_S5_
; %bb.0:
	s_load_dwordx4 s[12:15], s[4:5], 0x10
	s_load_dword s9, s[4:5], 0x50
	s_mov_b32 s2, 0
	s_waitcnt lgkmcnt(0)
	s_mul_hi_i32 s3, s15, s6
	s_cmp_lg_u64 s[2:3], 0
	s_mul_i32 s2, s15, s6
	s_cbranch_scc0 .LBB22_21
; %bb.1:
	v_cvt_f32_u32_e32 v1, s9
	v_cvt_f32_ubyte0_e32 v2, 0
	s_sub_u32 s10, 0, s9
	s_subb_u32 s11, 0, 0
	v_madmk_f32 v1, v2, 0x4f800000, v1
	v_rcp_f32_e32 v1, v1
	v_mul_f32_e32 v1, 0x5f7ffffc, v1
	v_mul_f32_e32 v2, 0x2f800000, v1
	v_trunc_f32_e32 v2, v2
	v_madmk_f32 v1, v2, 0xcf800000, v1
	v_cvt_u32_f32_e32 v2, v2
	v_cvt_u32_f32_e32 v1, v1
	v_readfirstlane_b32 s16, v2
	v_readfirstlane_b32 s17, v1
	s_mul_i32 s18, s10, s16
	s_mul_hi_u32 s20, s10, s17
	s_mul_i32 s19, s11, s17
	s_add_i32 s18, s20, s18
	s_add_i32 s18, s18, s19
	s_mul_i32 s21, s10, s17
	s_mul_hi_u32 s19, s17, s18
	s_mul_i32 s20, s17, s18
	s_mul_hi_u32 s17, s17, s21
	s_add_u32 s17, s17, s20
	s_addc_u32 s19, 0, s19
	s_mul_hi_u32 s22, s16, s21
	s_mul_i32 s21, s16, s21
	s_add_u32 s17, s17, s21
	s_mul_hi_u32 s20, s16, s18
	s_addc_u32 s17, s19, s22
	s_addc_u32 s19, s20, 0
	s_mul_i32 s18, s16, s18
	s_add_u32 s17, s17, s18
	s_addc_u32 s18, 0, s19
	v_add_co_u32_e32 v1, vcc, s17, v1
	s_cmp_lg_u64 vcc, 0
	s_addc_u32 s16, s16, s18
	v_readfirstlane_b32 s18, v1
	s_mul_i32 s17, s10, s16
	s_mul_hi_u32 s19, s10, s18
	s_add_i32 s17, s19, s17
	s_mul_i32 s11, s11, s18
	s_add_i32 s17, s17, s11
	s_mul_i32 s10, s10, s18
	s_mul_hi_u32 s19, s16, s10
	s_mul_i32 s20, s16, s10
	s_mul_i32 s22, s18, s17
	s_mul_hi_u32 s10, s18, s10
	s_mul_hi_u32 s21, s18, s17
	s_add_u32 s10, s10, s22
	s_addc_u32 s18, 0, s21
	s_add_u32 s10, s10, s20
	s_mul_hi_u32 s11, s16, s17
	s_addc_u32 s10, s18, s19
	s_addc_u32 s11, s11, 0
	s_mul_i32 s17, s16, s17
	s_add_u32 s10, s10, s17
	s_addc_u32 s11, 0, s11
	v_add_co_u32_e32 v1, vcc, s10, v1
	s_cmp_lg_u64 vcc, 0
	s_addc_u32 s18, s16, s11
	s_ashr_i32 s10, s3, 31
	s_add_u32 s16, s2, s10
	s_mov_b32 s11, s10
	s_addc_u32 s17, s3, s10
	s_xor_b64 s[16:17], s[16:17], s[10:11]
	v_readfirstlane_b32 s20, v1
	s_mul_i32 s19, s16, s18
	s_mul_hi_u32 s21, s16, s20
	s_mul_hi_u32 s3, s16, s18
	s_add_u32 s19, s21, s19
	s_addc_u32 s3, 0, s3
	s_mul_hi_u32 s22, s17, s20
	s_mul_i32 s20, s17, s20
	s_add_u32 s19, s19, s20
	s_mul_hi_u32 s21, s17, s18
	s_addc_u32 s3, s3, s22
	s_addc_u32 s19, s21, 0
	s_mul_i32 s18, s17, s18
	s_add_u32 s3, s3, s18
	s_addc_u32 s18, 0, s19
	s_add_u32 s19, s3, 1
	s_addc_u32 s20, s18, 0
	s_add_u32 s21, s3, 2
	s_mul_i32 s23, s9, s18
	s_mul_hi_u32 s24, s9, s3
	s_addc_u32 s22, s18, 0
	s_add_i32 s24, s24, s23
	s_mul_i32 s23, s9, s3
	v_mov_b32_e32 v1, s23
	v_sub_co_u32_e32 v1, vcc, s16, v1
	s_cmp_lg_u64 vcc, 0
	s_subb_u32 s16, s17, s24
	v_subrev_co_u32_e32 v2, vcc, s9, v1
	s_cmp_lg_u64 vcc, 0
	s_subb_u32 s17, s16, 0
	v_readfirstlane_b32 s23, v2
	s_cmp_ge_u32 s23, s9
	s_cselect_b32 s23, -1, 0
	s_cmp_eq_u32 s17, 0
	s_cselect_b32 s17, s23, -1
	s_cmp_lg_u32 s17, 0
	s_cselect_b32 s17, s22, s20
	v_readfirstlane_b32 s20, v1
	s_cselect_b32 s19, s21, s19
	s_cmp_ge_u32 s20, s9
	s_cselect_b32 s20, -1, 0
	s_cmp_eq_u32 s16, 0
	s_cselect_b32 s16, s20, -1
	s_cmp_lg_u32 s16, 0
	s_cselect_b32 s17, s17, s18
	s_cselect_b32 s16, s19, s3
	s_xor_b64 s[16:17], s[16:17], s[10:11]
	s_sub_u32 s20, s16, s10
	s_load_dwordx4 s[16:19], s[4:5], 0x44
	s_cbranch_execnz .LBB22_3
.LBB22_2:
	v_cvt_f32_u32_e32 v1, s9
	s_sub_i32 s0, 0, s9
	v_rcp_iflag_f32_e32 v1, v1
	v_mul_f32_e32 v1, 0x4f7ffffe, v1
	v_cvt_u32_f32_e32 v1, v1
	v_readfirstlane_b32 s1, v1
	s_mul_i32 s0, s0, s1
	s_mul_hi_u32 s0, s1, s0
	s_add_i32 s1, s1, s0
	s_mul_hi_u32 s0, s2, s1
	s_mul_i32 s3, s0, s9
	s_sub_i32 s2, s2, s3
	s_add_i32 s1, s0, 1
	s_sub_i32 s3, s2, s9
	s_cmp_ge_u32 s2, s9
	s_cselect_b32 s0, s1, s0
	s_cselect_b32 s2, s3, s2
	s_add_i32 s1, s0, 1
	s_cmp_ge_u32 s2, s9
	s_cselect_b32 s20, s1, s0
.LBB22_3:
	s_add_i32 s0, s6, 1
	s_mul_hi_i32 s3, s15, s0
	s_mov_b32 s2, 0
	s_cmp_lg_u64 s[2:3], 0
	s_mul_i32 s2, s15, s0
	s_cbranch_scc0 .LBB22_22
; %bb.4:
	v_cvt_f32_u32_e32 v1, s9
	v_cvt_f32_ubyte0_e32 v2, 0
	s_sub_u32 s10, 0, s9
	s_subb_u32 s11, 0, 0
	v_madmk_f32 v1, v2, 0x4f800000, v1
	v_rcp_f32_e32 v1, v1
	v_mul_f32_e32 v1, 0x5f7ffffc, v1
	v_mul_f32_e32 v2, 0x2f800000, v1
	v_trunc_f32_e32 v2, v2
	v_madmk_f32 v1, v2, 0xcf800000, v1
	v_cvt_u32_f32_e32 v2, v2
	v_cvt_u32_f32_e32 v1, v1
	s_waitcnt lgkmcnt(0)
	v_readfirstlane_b32 s19, v2
	v_readfirstlane_b32 s21, v1
	s_mul_i32 s22, s10, s19
	s_mul_hi_u32 s24, s10, s21
	s_mul_i32 s23, s11, s21
	s_add_i32 s22, s24, s22
	s_add_i32 s22, s22, s23
	s_mul_i32 s25, s10, s21
	s_mul_hi_u32 s23, s21, s22
	s_mul_i32 s24, s21, s22
	s_mul_hi_u32 s21, s21, s25
	s_add_u32 s21, s21, s24
	s_addc_u32 s23, 0, s23
	s_mul_hi_u32 s26, s19, s25
	s_mul_i32 s25, s19, s25
	s_add_u32 s21, s21, s25
	s_mul_hi_u32 s24, s19, s22
	s_addc_u32 s21, s23, s26
	s_addc_u32 s23, s24, 0
	s_mul_i32 s22, s19, s22
	s_add_u32 s21, s21, s22
	s_addc_u32 s22, 0, s23
	v_add_co_u32_e32 v1, vcc, s21, v1
	s_cmp_lg_u64 vcc, 0
	s_addc_u32 s19, s19, s22
	v_readfirstlane_b32 s22, v1
	s_mul_i32 s21, s10, s19
	s_mul_hi_u32 s23, s10, s22
	s_add_i32 s21, s23, s21
	s_mul_i32 s11, s11, s22
	s_add_i32 s21, s21, s11
	s_mul_i32 s10, s10, s22
	s_mul_hi_u32 s23, s19, s10
	s_mul_i32 s24, s19, s10
	s_mul_i32 s26, s22, s21
	s_mul_hi_u32 s10, s22, s10
	s_mul_hi_u32 s25, s22, s21
	s_add_u32 s10, s10, s26
	s_addc_u32 s22, 0, s25
	s_add_u32 s10, s10, s24
	s_mul_hi_u32 s11, s19, s21
	s_addc_u32 s10, s22, s23
	s_addc_u32 s11, s11, 0
	s_mul_i32 s21, s19, s21
	s_add_u32 s10, s10, s21
	s_addc_u32 s11, 0, s11
	v_add_co_u32_e32 v1, vcc, s10, v1
	s_cmp_lg_u64 vcc, 0
	s_addc_u32 s19, s19, s11
	s_ashr_i32 s10, s3, 31
	s_add_u32 s22, s2, s10
	s_mov_b32 s11, s10
	s_addc_u32 s23, s3, s10
	s_xor_b64 s[22:23], s[22:23], s[10:11]
	v_readfirstlane_b32 s21, v1
	s_mul_i32 s11, s22, s19
	s_mul_hi_u32 s24, s22, s21
	s_mul_hi_u32 s3, s22, s19
	s_add_u32 s11, s24, s11
	s_addc_u32 s3, 0, s3
	s_mul_hi_u32 s25, s23, s21
	s_mul_i32 s21, s23, s21
	s_add_u32 s11, s11, s21
	s_mul_hi_u32 s24, s23, s19
	s_addc_u32 s3, s3, s25
	s_addc_u32 s11, s24, 0
	s_mul_i32 s19, s23, s19
	s_add_u32 s3, s3, s19
	s_addc_u32 s11, 0, s11
	s_mul_i32 s11, s9, s11
	s_mul_hi_u32 s24, s9, s3
	s_add_i32 s24, s24, s11
	s_mul_i32 s11, s9, s3
	v_mov_b32_e32 v1, s11
	s_add_u32 s19, s3, 1
	s_add_u32 s21, s3, 2
	v_sub_co_u32_e32 v1, vcc, s22, v1
	s_cmp_lg_u64 vcc, 0
	s_subb_u32 s11, s23, s24
	v_subrev_co_u32_e32 v2, vcc, s9, v1
	s_cmp_lg_u64 vcc, 0
	s_subb_u32 s22, s11, 0
	v_cmp_le_u32_e32 vcc, s9, v2
	s_cmp_eq_u32 s22, 0
	v_cndmask_b32_e64 v2, 0, -1, vcc
	s_cselect_b64 vcc, -1, 0
	v_cndmask_b32_e32 v2, -1, v2, vcc
	v_mov_b32_e32 v3, s19
	v_mov_b32_e32 v4, s21
	v_cmp_ne_u32_e32 vcc, 0, v2
	v_cndmask_b32_e32 v2, v3, v4, vcc
	v_cmp_le_u32_e32 vcc, s9, v1
	s_cmp_eq_u32 s11, 0
	v_cndmask_b32_e64 v1, 0, -1, vcc
	s_cselect_b64 vcc, -1, 0
	v_cndmask_b32_e32 v1, -1, v1, vcc
	v_mov_b32_e32 v3, s3
	v_cmp_ne_u32_e32 vcc, 0, v1
	v_cndmask_b32_e32 v1, v3, v2, vcc
	v_xor_b32_e32 v1, s10, v1
	v_subrev_co_u32_e32 v2, vcc, s10, v1
	s_cbranch_execnz .LBB22_6
.LBB22_5:
	v_cvt_f32_u32_e32 v1, s9
	s_sub_i32 s0, 0, s9
	s_mov_b32 s1, 0
	v_rcp_iflag_f32_e32 v1, v1
	v_mul_f32_e32 v1, 0x4f7ffffe, v1
	v_cvt_u32_f32_e32 v1, v1
	v_readfirstlane_b32 s3, v1
	s_mul_i32 s0, s0, s3
	s_mul_hi_u32 s0, s3, s0
	s_add_i32 s3, s3, s0
	s_mul_hi_u32 s0, s2, s3
	s_mul_i32 s10, s0, s9
	s_sub_i32 s2, s2, s10
	s_add_i32 s3, s0, 1
	s_sub_i32 s10, s2, s9
	s_cmp_ge_u32 s2, s9
	s_cselect_b32 s0, s3, s0
	s_cselect_b32 s2, s10, s2
	s_add_i32 s3, s0, 1
	s_cmp_ge_u32 s2, s9
	s_cselect_b32 s0, s3, s0
	v_pk_mov_b32 v[2:3], s[0:1], s[0:1] op_sel:[0,1]
.LBB22_6:
	s_waitcnt lgkmcnt(0)
	s_mul_hi_u32 s0, s20, s16
	s_add_i32 s0, s0, s20
	v_mul_hi_u32 v1, v2, s16
	s_lshr_b32 s19, s0, s17
	v_add_u32_e32 v1, v1, v2
	s_mul_i32 s0, s19, s18
	v_lshrrev_b32_e32 v1, s17, v1
	s_cmp_eq_u32 s0, s20
	v_cmp_eq_u32_e64 s[0:1], s19, v1
	v_mul_lo_u32 v1, v1, s18
	v_cmp_eq_u32_e32 vcc, s20, v2
	s_cselect_b64 s[10:11], -1, 0
	v_cmp_ne_u32_e64 s[2:3], v1, v2
	s_and_b64 s[0:1], s[0:1], s[2:3]
	s_or_b64 s[2:3], vcc, s[10:11]
	s_or_b64 s[0:1], s[2:3], s[0:1]
	s_and_b64 vcc, exec, s[0:1]
	s_cbranch_vccnz .LBB22_24
; %bb.7:
	s_load_dwordx8 s[24:31], s[4:5], 0x20
	s_load_dword s0, s[4:5], 0x40
	s_mov_b32 s10, 0
	s_waitcnt lgkmcnt(0)
	s_mul_hi_u32 s1, s20, s24
	s_add_i32 s1, s1, s20
	s_lshr_b32 s11, s1, s25
	s_mul_i32 s1, s11, s26
	s_sub_i32 s1, s20, s1
	s_mul_hi_u32 s2, s1, s27
	s_add_i32 s2, s1, s2
	s_lshr_b32 s23, s2, s28
	s_mul_i32 s2, s23, s29
	s_sub_i32 s1, s1, s2
	;; [unrolled: 5-line block ×3, first 2 shown]
	s_mul_hi_u32 s1, s0, s16
	s_add_i32 s0, s0, s1
	s_lshr_b32 s24, s0, s17
	s_lshl_b32 s0, s24, 4
	s_lshl_b32 s25, s2, 2
	s_add_i32 s0, s0, s7
	s_cmp_lt_i32 s0, s12
	s_cselect_b64 s[0:1], -1, 0
	s_add_i32 s25, s25, s8
	s_cmp_lt_i32 s25, s14
	s_cselect_b64 s[2:3], -1, 0
	s_and_b64 s[0:1], s[0:1], s[2:3]
	s_andn2_b64 vcc, exec, s[0:1]
	s_cbranch_vccnz .LBB22_24
; %bb.8:
	s_load_dwordx4 s[0:3], s[4:5], 0x0
	s_lshl_b32 s4, s7, 2
	s_add_i32 s8, s4, s8
	s_lshl_b32 s4, s9, 8
	s_mov_b32 s5, s10
	s_lshl_b64 s[4:5], s[4:5], 2
	s_waitcnt lgkmcnt(0)
	s_add_u32 s21, s2, s4
	s_mul_i32 s4, s11, s12
	s_addc_u32 s22, s3, s5
	s_mul_i32 s23, s23, s14
	s_add_i32 s4, s4, s7
	s_mul_i32 s4, s4, s13
	s_add_i32 s7, s25, s23
	;; [unrolled: 2-line block ×3, first 2 shown]
	s_mulk_i32 s5, 0x700
	s_mulk_i32 s4, 0x70
	s_add_i32 s5, s5, s4
	v_add_u32_e32 v2, s5, v0
	v_ashrrev_i32_e32 v3, 31, v2
	v_lshlrev_b64 v[2:3], 2, v[2:3]
	v_mov_b32_e32 v1, s1
	v_add_co_u32_e32 v2, vcc, s0, v2
	v_addc_co_u32_e32 v3, vcc, v1, v3, vcc
	global_load_dword v5, v[2:3], off
	s_mul_i32 s4, s8, 0x70
	v_add_u32_e32 v4, s4, v0
	v_cvt_f32_u32_e32 v0, s9
	v_cvt_f32_ubyte0_e32 v1, 0
	s_lshl_b32 s0, s6, 6
	s_add_i32 s0, s8, s0
	v_mac_f32_e32 v0, 0x4f800000, v1
	v_rcp_f32_e32 v0, v0
	v_cvt_f32_u32_e32 v1, s9
	s_ashr_i32 s1, s0, 31
	s_lshl_b64 s[0:1], s[0:1], 3
	v_mul_f32_e32 v0, 0x5f7ffffc, v0
	v_rcp_iflag_f32_e32 v1, v1
	s_add_u32 s0, s2, s0
	v_mul_f32_e32 v9, 0x2f800000, v0
	s_addc_u32 s1, s3, s1
	v_trunc_f32_e32 v10, v9
	s_load_dwordx2 s[0:1], s[0:1], 0x0
	v_mac_f32_e32 v0, 0xcf800000, v10
	v_cvt_u32_f32_e32 v9, v0
	v_mul_f32_e32 v0, 0x4f7ffffe, v1
	v_cvt_u32_f32_e32 v10, v10
	v_cvt_u32_f32_e32 v11, v0
	s_add_i32 s12, s6, -1
	s_waitcnt lgkmcnt(0)
	v_mov_b32_e32 v6, s1
	v_mov_b32_e32 v7, s0
	;; [unrolled: 1-line block ×3, first 2 shown]
	s_mov_b32 s6, 0x3fb8aa3b
	s_mov_b32 s7, 0xc2ce8ed0
	;; [unrolled: 1-line block ×4, first 2 shown]
	v_mov_b32_e32 v12, 0x7f800000
	s_mul_hi_i32 s11, s12, s15
	s_cmp_lg_u64 s[10:11], 0
	s_mul_i32 s4, s12, s15
	s_cbranch_scc0 .LBB22_15
.LBB22_9:
	s_sub_u32 s0, 0, s9
	v_readfirstlane_b32 s5, v9
	v_readfirstlane_b32 s24, v10
	s_subb_u32 s1, 0, 0
	s_mul_hi_u32 s23, s0, s5
	s_mul_i32 s25, s0, s24
	s_mul_i32 s20, s1, s5
	s_add_i32 s23, s23, s25
	s_add_i32 s23, s23, s20
	s_mul_i32 s26, s0, s5
	s_mul_hi_u32 s20, s5, s23
	s_mul_i32 s25, s5, s23
	s_mul_hi_u32 s5, s5, s26
	s_add_u32 s5, s5, s25
	s_addc_u32 s20, 0, s20
	s_mul_hi_u32 s27, s24, s26
	s_mul_i32 s26, s24, s26
	s_add_u32 s5, s5, s26
	s_mul_hi_u32 s25, s24, s23
	s_addc_u32 s5, s20, s27
	s_addc_u32 s20, s25, 0
	s_mul_i32 s23, s24, s23
	s_add_u32 s5, s5, s23
	s_addc_u32 s20, 0, s20
	v_add_co_u32_e32 v0, vcc, s5, v9
	s_cmp_lg_u64 vcc, 0
	s_addc_u32 s5, s24, s20
	v_readfirstlane_b32 s23, v0
	s_mul_i32 s20, s0, s5
	s_mul_hi_u32 s24, s0, s23
	s_add_i32 s20, s24, s20
	s_mul_i32 s1, s1, s23
	s_add_i32 s20, s20, s1
	s_mul_i32 s0, s0, s23
	s_mul_hi_u32 s24, s5, s0
	s_mul_i32 s25, s5, s0
	s_mul_i32 s27, s23, s20
	s_mul_hi_u32 s0, s23, s0
	s_mul_hi_u32 s26, s23, s20
	s_add_u32 s0, s0, s27
	s_addc_u32 s23, 0, s26
	s_add_u32 s0, s0, s25
	s_mul_hi_u32 s1, s5, s20
	s_addc_u32 s0, s23, s24
	s_addc_u32 s1, s1, 0
	s_mul_i32 s20, s5, s20
	s_add_u32 s0, s0, s20
	s_addc_u32 s1, 0, s1
	v_add_co_u32_e32 v0, vcc, s0, v0
	s_cmp_lg_u64 vcc, 0
	s_addc_u32 s5, s5, s1
	s_ashr_i32 s0, s11, 31
	s_add_u32 s24, s4, s0
	s_mov_b32 s1, s0
	s_addc_u32 s25, s11, s0
	s_xor_b64 s[24:25], s[24:25], s[0:1]
	v_readfirstlane_b32 s20, v0
	s_mul_i32 s11, s24, s5
	s_mul_hi_u32 s23, s24, s20
	s_mul_hi_u32 s1, s24, s5
	s_add_u32 s11, s23, s11
	s_addc_u32 s1, 0, s1
	s_mul_hi_u32 s26, s25, s20
	s_mul_i32 s20, s25, s20
	s_add_u32 s11, s11, s20
	s_mul_hi_u32 s23, s25, s5
	s_addc_u32 s1, s1, s26
	s_addc_u32 s11, s23, 0
	s_mul_i32 s5, s25, s5
	s_add_u32 s1, s1, s5
	s_addc_u32 s5, 0, s11
	s_mul_i32 s5, s9, s5
	s_mul_hi_u32 s23, s9, s1
	s_add_i32 s23, s23, s5
	s_mul_i32 s5, s9, s1
	v_mov_b32_e32 v0, s5
	s_add_u32 s11, s1, 1
	s_add_u32 s20, s1, 2
	v_sub_co_u32_e32 v0, vcc, s24, v0
	s_cmp_lg_u64 vcc, 0
	s_subb_u32 s5, s25, s23
	v_subrev_co_u32_e32 v1, vcc, s9, v0
	s_cmp_lg_u64 vcc, 0
	s_subb_u32 s23, s5, 0
	v_cmp_le_u32_e32 vcc, s9, v1
	s_cmp_eq_u32 s23, 0
	v_cndmask_b32_e64 v1, 0, -1, vcc
	s_cselect_b64 vcc, -1, 0
	v_cndmask_b32_e32 v1, -1, v1, vcc
	v_mov_b32_e32 v13, s11
	v_mov_b32_e32 v14, s20
	v_cmp_ne_u32_e32 vcc, 0, v1
	v_cndmask_b32_e32 v1, v13, v14, vcc
	v_cmp_le_u32_e32 vcc, s9, v0
	s_cmp_eq_u32 s5, 0
	v_cndmask_b32_e64 v0, 0, -1, vcc
	s_cselect_b64 vcc, -1, 0
	v_cndmask_b32_e32 v0, -1, v0, vcc
	v_mov_b32_e32 v13, s1
	v_cmp_ne_u32_e32 vcc, 0, v0
	v_cndmask_b32_e32 v0, v13, v1, vcc
	v_xor_b32_e32 v0, s0, v0
	v_subrev_co_u32_e32 v0, vcc, s0, v0
	s_cbranch_execnz .LBB22_11
.LBB22_10:
	s_sub_i32 s0, 0, s9
	v_mul_lo_u32 v0, s0, v11
	v_mul_hi_u32 v0, v11, v0
	v_add_u32_e32 v0, v11, v0
	v_mul_hi_u32 v0, s4, v0
	v_mul_lo_u32 v13, v0, s9
	v_sub_u32_e32 v13, s4, v13
	v_add_u32_e32 v1, 1, v0
	v_subrev_u32_e32 v14, s9, v13
	v_cmp_le_u32_e32 vcc, s9, v13
	v_cndmask_b32_e32 v13, v13, v14, vcc
	v_cndmask_b32_e32 v0, v0, v1, vcc
	v_add_u32_e32 v1, 1, v0
	v_cmp_le_u32_e32 vcc, s9, v13
	v_cndmask_b32_e32 v0, v0, v1, vcc
.LBB22_11:
	v_cmp_ne_u32_e32 vcc, v8, v0
	s_cbranch_vccz .LBB22_14
; %bb.12:
	s_add_i32 s0, s12, s9
	s_lshl_b32 s0, s0, 6
	v_mul_hi_u32 v1, v0, s16
	s_add_i32 s0, s0, s8
	s_mov_b32 s1, s10
	v_add_u32_e32 v1, v1, v0
	s_lshl_b64 s[0:1], s[0:1], 3
	v_lshrrev_b32_e32 v1, s17, v1
	s_add_u32 s4, s2, s0
	v_mul_lo_u32 v13, v1, s18
	s_addc_u32 s5, s3, s1
	v_cmp_eq_u32_e32 vcc, v13, v0
	v_cmp_gt_u32_e64 s[0:1], s19, v1
	s_or_b64 s[0:1], s[0:1], vcc
	s_and_b64 vcc, exec, s[0:1]
	s_cbranch_vccnz .LBB22_16
; %bb.13:
	s_add_i32 s11, s12, -1
	s_mov_b64 s[0:1], 0
	s_branch .LBB22_17
.LBB22_14:
                                        ; implicit-def: $sgpr0_sgpr1
                                        ; implicit-def: $vgpr14
                                        ; implicit-def: $vgpr1
                                        ; implicit-def: $vgpr13
                                        ; implicit-def: $sgpr11
                                        ; implicit-def: $vgpr0
	s_branch .LBB22_18
.LBB22_15:
                                        ; implicit-def: $vgpr0_vgpr1
	s_branch .LBB22_10
.LBB22_16:
	s_mov_b64 s[0:1], -1
	s_mov_b32 s11, s12
	v_mov_b32_e32 v0, v8
.LBB22_17:
	s_mul_i32 s20, s12, 0x1c00
	v_add_u32_e32 v14, s20, v4
	v_ashrrev_i32_e32 v15, 31, v14
	v_lshlrev_b64 v[14:15], 2, v[14:15]
	v_mov_b32_e32 v1, s22
	v_add_co_u32_e32 v14, vcc, s21, v14
	v_addc_co_u32_e32 v15, vcc, v1, v15, vcc
	global_load_dword v14, v[14:15], off
	s_load_dwordx2 s[4:5], s[4:5], 0x0
	v_max_f32_e32 v1, v7, v7
	s_waitcnt lgkmcnt(0)
	v_max_f32_e64 v13, s4, s4
	v_max_f32_e32 v1, v1, v13
	v_sub_f32_e32 v13, v7, v1
	v_sub_f32_e32 v15, s4, v1
	v_mul_f32_e32 v16, 0x3fb8aa3b, v13
	v_mul_f32_e32 v17, 0x3fb8aa3b, v15
	v_fma_f32 v18, v13, s6, -v16
	v_rndne_f32_e32 v19, v16
	v_fma_f32 v20, v15, s6, -v17
	v_rndne_f32_e32 v21, v17
	v_fmac_f32_e32 v18, 0x32a5705f, v13
	v_sub_f32_e32 v16, v16, v19
	v_fmac_f32_e32 v20, 0x32a5705f, v15
	v_sub_f32_e32 v17, v17, v21
	v_add_f32_e32 v16, v16, v18
	v_cvt_i32_f32_e32 v19, v19
	v_add_f32_e32 v17, v17, v20
	v_exp_f32_e32 v16, v16
	v_cvt_i32_f32_e32 v21, v21
	v_exp_f32_e32 v17, v17
	v_cmp_ngt_f32_e32 vcc, s7, v13
	v_ldexp_f32 v16, v16, v19
	v_cndmask_b32_e32 v16, 0, v16, vcc
	v_ldexp_f32 v17, v17, v21
	v_cmp_ngt_f32_e32 vcc, s7, v15
	v_cndmask_b32_e32 v17, 0, v17, vcc
	v_cmp_nlt_f32_e32 vcc, s13, v13
	v_cndmask_b32_e32 v16, v12, v16, vcc
	v_cmp_nlt_f32_e32 vcc, s13, v15
	v_cndmask_b32_e32 v17, v12, v17, vcc
	v_cmp_le_f32_e32 vcc, s14, v13
	v_cndmask_b32_e32 v16, 0, v16, vcc
	v_cmp_le_f32_e32 vcc, s14, v15
	v_cndmask_b32_e32 v15, 0, v17, vcc
	v_mul_f32_e32 v13, s5, v15
	v_fmac_f32_e32 v13, v6, v16
	s_waitcnt vmcnt(0)
	v_mul_f32_e32 v14, v14, v15
	v_fmac_f32_e32 v14, v5, v16
	s_cbranch_execnz .LBB22_19
.LBB22_18:
	s_add_i32 s11, s12, -1
	s_mov_b64 s[0:1], 0
	v_mov_b32_e32 v0, v8
	v_mov_b32_e32 v13, v6
	;; [unrolled: 1-line block ×3, first 2 shown]
	s_waitcnt vmcnt(0)
	v_mov_b32_e32 v14, v5
.LBB22_19:
	s_andn2_b64 vcc, exec, s[0:1]
	s_cbranch_vccz .LBB22_23
; %bb.20:
	v_mov_b32_e32 v8, v0
	s_mov_b32 s12, s11
	v_mov_b32_e32 v6, v13
	v_mov_b32_e32 v7, v1
	s_waitcnt vmcnt(0)
	v_mov_b32_e32 v5, v14
	s_mul_hi_i32 s11, s12, s15
	s_cmp_lg_u64 s[10:11], 0
	s_mul_i32 s4, s12, s15
	s_cbranch_scc1 .LBB22_9
	s_branch .LBB22_15
.LBB22_21:
                                        ; implicit-def: $sgpr20_sgpr21
	s_load_dwordx4 s[16:19], s[4:5], 0x44
	s_branch .LBB22_2
.LBB22_22:
                                        ; implicit-def: $vgpr2_vgpr3
	s_branch .LBB22_5
.LBB22_23:
	v_div_scale_f32 v0, s[0:1], v13, v13, v14
	v_rcp_f32_e32 v1, v0
	v_div_scale_f32 v4, vcc, v14, v13, v14
	s_waitcnt vmcnt(0)
	v_fma_f32 v5, -v0, v1, 1.0
	v_fmac_f32_e32 v1, v5, v1
	v_mul_f32_e32 v5, v4, v1
	v_fma_f32 v6, -v0, v5, v4
	v_fmac_f32_e32 v5, v6, v1
	v_fma_f32 v0, -v0, v5, v4
	v_div_fmas_f32 v0, v0, v1, v5
	v_div_fixup_f32 v0, v0, v13, v14
	global_store_dword v[2:3], v0, off
.LBB22_24:
	s_endpgm
	.section	.rodata,"a",@progbits
	.p2align	6, 0x0
	.amdhsa_kernel _ZL33flash_attn_stream_k_fixup_generalILi112ELi16ELi4EEvPfPK15HIP_vector_typeIfLj2EEiiiiS1_IjLj3EES5_S5_S5_
		.amdhsa_group_segment_fixed_size 0
		.amdhsa_private_segment_fixed_size 0
		.amdhsa_kernarg_size 336
		.amdhsa_user_sgpr_count 6
		.amdhsa_user_sgpr_private_segment_buffer 1
		.amdhsa_user_sgpr_dispatch_ptr 0
		.amdhsa_user_sgpr_queue_ptr 0
		.amdhsa_user_sgpr_kernarg_segment_ptr 1
		.amdhsa_user_sgpr_dispatch_id 0
		.amdhsa_user_sgpr_flat_scratch_init 0
		.amdhsa_user_sgpr_kernarg_preload_length 0
		.amdhsa_user_sgpr_kernarg_preload_offset 0
		.amdhsa_user_sgpr_private_segment_size 0
		.amdhsa_uses_dynamic_stack 0
		.amdhsa_system_sgpr_private_segment_wavefront_offset 0
		.amdhsa_system_sgpr_workgroup_id_x 1
		.amdhsa_system_sgpr_workgroup_id_y 1
		.amdhsa_system_sgpr_workgroup_id_z 1
		.amdhsa_system_sgpr_workgroup_info 0
		.amdhsa_system_vgpr_workitem_id 0
		.amdhsa_next_free_vgpr 22
		.amdhsa_next_free_sgpr 32
		.amdhsa_accum_offset 24
		.amdhsa_reserve_vcc 1
		.amdhsa_reserve_flat_scratch 0
		.amdhsa_float_round_mode_32 0
		.amdhsa_float_round_mode_16_64 0
		.amdhsa_float_denorm_mode_32 3
		.amdhsa_float_denorm_mode_16_64 3
		.amdhsa_dx10_clamp 1
		.amdhsa_ieee_mode 1
		.amdhsa_fp16_overflow 0
		.amdhsa_tg_split 0
		.amdhsa_exception_fp_ieee_invalid_op 0
		.amdhsa_exception_fp_denorm_src 0
		.amdhsa_exception_fp_ieee_div_zero 0
		.amdhsa_exception_fp_ieee_overflow 0
		.amdhsa_exception_fp_ieee_underflow 0
		.amdhsa_exception_fp_ieee_inexact 0
		.amdhsa_exception_int_div_zero 0
	.end_amdhsa_kernel
	.section	.text._ZL33flash_attn_stream_k_fixup_generalILi112ELi16ELi4EEvPfPK15HIP_vector_typeIfLj2EEiiiiS1_IjLj3EES5_S5_S5_,"axG",@progbits,_ZL33flash_attn_stream_k_fixup_generalILi112ELi16ELi4EEvPfPK15HIP_vector_typeIfLj2EEiiiiS1_IjLj3EES5_S5_S5_,comdat
.Lfunc_end22:
	.size	_ZL33flash_attn_stream_k_fixup_generalILi112ELi16ELi4EEvPfPK15HIP_vector_typeIfLj2EEiiiiS1_IjLj3EES5_S5_S5_, .Lfunc_end22-_ZL33flash_attn_stream_k_fixup_generalILi112ELi16ELi4EEvPfPK15HIP_vector_typeIfLj2EEiiiiS1_IjLj3EES5_S5_S5_
                                        ; -- End function
	.section	.AMDGPU.csdata,"",@progbits
; Kernel info:
; codeLenInByte = 2828
; NumSgprs: 36
; NumVgprs: 22
; NumAgprs: 0
; TotalNumVgprs: 22
; ScratchSize: 0
; MemoryBound: 0
; FloatMode: 240
; IeeeMode: 1
; LDSByteSize: 0 bytes/workgroup (compile time only)
; SGPRBlocks: 4
; VGPRBlocks: 2
; NumSGPRsForWavesPerEU: 36
; NumVGPRsForWavesPerEU: 22
; AccumOffset: 24
; Occupancy: 8
; WaveLimiterHint : 0
; COMPUTE_PGM_RSRC2:SCRATCH_EN: 0
; COMPUTE_PGM_RSRC2:USER_SGPR: 6
; COMPUTE_PGM_RSRC2:TRAP_HANDLER: 0
; COMPUTE_PGM_RSRC2:TGID_X_EN: 1
; COMPUTE_PGM_RSRC2:TGID_Y_EN: 1
; COMPUTE_PGM_RSRC2:TGID_Z_EN: 1
; COMPUTE_PGM_RSRC2:TIDIG_COMP_CNT: 0
; COMPUTE_PGM_RSRC3_GFX90A:ACCUM_OFFSET: 5
; COMPUTE_PGM_RSRC3_GFX90A:TG_SPLIT: 0
	.section	.text._ZL26flash_attn_combine_resultsILi112EEvPKfPK15HIP_vector_typeIfLj2EEPfi,"axG",@progbits,_ZL26flash_attn_combine_resultsILi112EEvPKfPK15HIP_vector_typeIfLj2EEPfi,comdat
	.globl	_ZL26flash_attn_combine_resultsILi112EEvPKfPK15HIP_vector_typeIfLj2EEPfi ; -- Begin function _ZL26flash_attn_combine_resultsILi112EEvPKfPK15HIP_vector_typeIfLj2EEPfi
	.p2align	8
	.type	_ZL26flash_attn_combine_resultsILi112EEvPKfPK15HIP_vector_typeIfLj2EEPfi,@function
_ZL26flash_attn_combine_resultsILi112EEvPKfPK15HIP_vector_typeIfLj2EEPfi: ; @_ZL26flash_attn_combine_resultsILi112EEvPKfPK15HIP_vector_typeIfLj2EEPfi
; %bb.0:
	s_load_dwordx2 s[0:1], s[4:5], 0x20
	s_load_dword s21, s[4:5], 0x18
	s_load_dwordx4 s[16:19], s[4:5], 0x0
	s_load_dwordx2 s[14:15], s[4:5], 0x10
	s_waitcnt lgkmcnt(0)
	s_mul_i32 s0, s0, s8
	s_add_i32 s0, s0, s6
	s_mul_i32 s20, s0, s1
	s_add_i32 s20, s20, s7
	s_lshl_b32 s10, s21, 1
	s_mul_i32 s0, s20, s21
	v_cmp_gt_i32_e32 vcc, s10, v0
	s_and_saveexec_b64 s[2:3], vcc
	s_cbranch_execz .LBB23_13
; %bb.1:
	v_xad_u32 v1, v0, -1, s10
	s_movk_i32 s4, 0x6f
	s_ashr_i32 s1, s0, 31
	v_cmp_lt_u32_e32 vcc, s4, v1
	s_mov_b64 s[6:7], -1
	v_mov_b32_e32 v2, v0
	s_and_saveexec_b64 s[4:5], vcc
	s_cbranch_execz .LBB23_10
; %bb.2:
	v_lshrrev_b32_e32 v1, 4, v1
	s_mov_b32 s6, 0x24924925
	v_mul_hi_u32 v6, v1, s6
	s_lshl_b64 s[6:7], s[0:1], 3
	v_add_u32_e32 v2, -1, v6
	s_add_u32 s11, s18, s6
	v_add_u32_e32 v1, 0x70, v0
	v_lshrrev_b32_e32 v3, 1, v2
	s_addc_u32 s12, s19, s7
	v_add_u32_e32 v7, 1, v3
	v_cmp_lt_u32_e32 vcc, 13, v2
	v_mov_b32_e32 v4, 0
	v_pk_mov_b32 v[2:3], v[0:1], v[0:1] op_sel:[0,1]
	s_and_saveexec_b64 s[6:7], vcc
	s_cbranch_execz .LBB23_6
; %bb.3:
	v_and_b32_e32 v8, -8, v7
	s_mov_b32 s13, 0
	v_lshl_add_u32 v9, v0, 2, 0
	s_mov_b64 s[8:9], 0
	v_mov_b32_e32 v10, s12
	v_mov_b32_e32 v5, 0
	v_pk_mov_b32 v[2:3], v[0:1], v[0:1] op_sel:[0,1]
.LBB23_4:                               ; =>This Inner Loop Header: Depth=1
	v_mov_b32_e32 v4, v2
	v_lshlrev_b64 v[26:27], 2, v[4:5]
	v_add_u32_e32 v12, 0xe0, v3
	v_mov_b32_e32 v13, v5
	v_add_co_u32_e32 v26, vcc, s11, v26
	v_lshlrev_b64 v[12:13], 2, v[12:13]
	v_addc_co_u32_e32 v27, vcc, v10, v27, vcc
	v_add_u32_e32 v14, 0x1c0, v3
	v_mov_b32_e32 v15, v5
	v_add_co_u32_e32 v12, vcc, s11, v12
	v_lshlrev_b64 v[14:15], 2, v[14:15]
	v_addc_co_u32_e32 v13, vcc, v10, v13, vcc
	;; [unrolled: 5-line block ×7, first 2 shown]
	v_mov_b32_e32 v4, v3
	v_add_co_u32_e32 v24, vcc, s11, v24
	v_lshlrev_b64 v[28:29], 2, v[4:5]
	v_addc_co_u32_e32 v25, vcc, v10, v25, vcc
	v_add_u32_e32 v4, 0xe0, v2
	v_add_co_u32_e32 v28, vcc, s11, v28
	v_addc_co_u32_e32 v29, vcc, v10, v29, vcc
	global_load_dword v1, v[26:27], off
	v_lshlrev_b64 v[26:27], 2, v[4:5]
	v_add_u32_e32 v4, 0x1c0, v2
	v_add_co_u32_e32 v26, vcc, s11, v26
	v_addc_co_u32_e32 v27, vcc, v10, v27, vcc
	v_lshlrev_b64 v[30:31], 2, v[4:5]
	v_add_u32_e32 v4, 0x2a0, v2
	global_load_dword v11, v[28:29], off
	global_load_dword v32, v[26:27], off
	;; [unrolled: 1-line block ×3, first 2 shown]
	v_add_co_u32_e32 v12, vcc, s11, v30
	v_addc_co_u32_e32 v13, vcc, v10, v31, vcc
	v_lshlrev_b64 v[26:27], 2, v[4:5]
	v_add_u32_e32 v4, 0x380, v2
	v_add_co_u32_e32 v26, vcc, s11, v26
	v_addc_co_u32_e32 v27, vcc, v10, v27, vcc
	v_lshlrev_b64 v[28:29], 2, v[4:5]
	v_add_u32_e32 v4, 0x460, v2
	global_load_dword v30, v[12:13], off
	global_load_dword v31, v[14:15], off
	global_load_dword v34, v[26:27], off
	global_load_dword v35, v[16:17], off
	v_add_co_u32_e32 v12, vcc, s11, v28
	v_addc_co_u32_e32 v13, vcc, v10, v29, vcc
	v_lshlrev_b64 v[14:15], 2, v[4:5]
	v_add_u32_e32 v4, 0x540, v2
	v_add_co_u32_e32 v14, vcc, s11, v14
	v_addc_co_u32_e32 v15, vcc, v10, v15, vcc
	v_lshlrev_b64 v[16:17], 2, v[4:5]
	v_add_u32_e32 v4, 0x620, v2
	global_load_dword v26, v[12:13], off
	global_load_dword v27, v[18:19], off
	;; [unrolled: 1-line block ×4, first 2 shown]
	v_add_co_u32_e32 v12, vcc, s11, v16
	v_addc_co_u32_e32 v13, vcc, v10, v17, vcc
	v_lshlrev_b64 v[14:15], 2, v[4:5]
	v_add_co_u32_e32 v14, vcc, s11, v14
	v_addc_co_u32_e32 v15, vcc, v10, v15, vcc
	global_load_dword v16, v[12:13], off
	global_load_dword v17, v[22:23], off
	;; [unrolled: 1-line block ×4, first 2 shown]
	v_add_u32_e32 v8, -8, v8
	s_add_i32 s13, s13, 16
	v_cmp_eq_u32_e32 vcc, 0, v8
	v_add_u32_e32 v12, 0x200, v9
	v_add_u32_e32 v13, 0x600, v9
	;; [unrolled: 1-line block ×8, first 2 shown]
	v_mov_b32_e32 v4, s13
	s_or_b64 s[8:9], vcc, s[8:9]
	v_add_u32_e32 v2, 0x700, v2
	s_waitcnt vmcnt(14)
	ds_write2_b32 v9, v1, v11 offset1:112
	v_add_u32_e32 v9, 0x1c00, v9
	s_waitcnt vmcnt(12)
	ds_write2_b32 v12, v32, v33 offset0:96 offset1:208
	s_waitcnt vmcnt(10)
	ds_write2_b32 v13, v30, v31 offset0:64 offset1:176
	;; [unrolled: 2-line block ×7, first 2 shown]
	s_andn2_b64 exec, exec, s[8:9]
	s_cbranch_execnz .LBB23_4
; %bb.5:
	s_or_b64 exec, exec, s[8:9]
.LBB23_6:
	s_or_b64 exec, exec, s[6:7]
	v_and_b32_e32 v1, 7, v7
	v_cmp_ne_u32_e32 vcc, 0, v1
	s_and_saveexec_b64 s[6:7], vcc
	s_cbranch_execz .LBB23_9
; %bb.7:
	s_movk_i32 s8, 0x1c0
	v_mul_lo_u32 v4, v4, s8
	v_lshlrev_b32_e32 v5, 2, v0
	v_add3_u32 v7, v4, v5, 0
	s_mov_b64 s[8:9], 0
	v_mov_b32_e32 v8, s12
	v_mov_b32_e32 v5, 0
.LBB23_8:                               ; =>This Inner Loop Header: Depth=1
	v_mov_b32_e32 v4, v2
	v_lshlrev_b64 v[10:11], 2, v[4:5]
	v_mov_b32_e32 v4, v3
	v_add_co_u32_e32 v10, vcc, s11, v10
	v_addc_co_u32_e32 v11, vcc, v8, v11, vcc
	v_lshlrev_b64 v[12:13], 2, v[4:5]
	v_add_co_u32_e32 v12, vcc, s11, v12
	v_addc_co_u32_e32 v13, vcc, v8, v13, vcc
	global_load_dword v4, v[10:11], off
	global_load_dword v9, v[12:13], off
	v_add_u32_e32 v1, -1, v1
	v_cmp_eq_u32_e32 vcc, 0, v1
	v_add_u32_e32 v2, 0xe0, v2
	v_add_u32_e32 v3, 0xe0, v3
	s_or_b64 s[8:9], vcc, s[8:9]
	s_waitcnt vmcnt(0)
	ds_write2_b32 v7, v4, v9 offset1:112
	v_add_u32_e32 v7, 0x380, v7
	s_andn2_b64 exec, exec, s[8:9]
	s_cbranch_execnz .LBB23_8
.LBB23_9:
	s_or_b64 exec, exec, s[6:7]
	v_add_u32_e32 v1, 1, v6
	v_and_b32_e32 v4, 0x7fffffe, v1
	s_movk_i32 s6, 0x70
	v_mad_u64_u32 v[2:3], s[6:7], v4, s6, v[0:1]
	v_cmp_ne_u32_e32 vcc, v1, v4
	s_orn2_b64 s[6:7], vcc, exec
.LBB23_10:
	s_or_b64 exec, exec, s[4:5]
	s_and_b64 exec, exec, s[6:7]
	s_cbranch_execz .LBB23_13
; %bb.11:
	s_lshl_b64 s[4:5], s[0:1], 3
	v_mov_b32_e32 v3, 0
	s_add_u32 s1, s18, s4
	v_lshlrev_b64 v[4:5], 2, v[2:3]
	s_addc_u32 s4, s19, s5
	v_mov_b32_e32 v1, s4
	v_add_co_u32_e32 v4, vcc, s1, v4
	v_addc_co_u32_e32 v5, vcc, v1, v5, vcc
	v_lshl_add_u32 v1, v2, 2, 0
	s_mov_b64 s[4:5], 0
.LBB23_12:                              ; =>This Inner Loop Header: Depth=1
	global_load_dword v3, v[4:5], off
	v_add_co_u32_e32 v4, vcc, 0x1c0, v4
	v_add_u32_e32 v2, 0x70, v2
	v_addc_co_u32_e32 v5, vcc, 0, v5, vcc
	v_cmp_le_i32_e32 vcc, s10, v2
	s_or_b64 s[4:5], vcc, s[4:5]
	s_waitcnt vmcnt(0)
	ds_write_b32 v1, v3
	v_add_u32_e32 v1, 0x1c0, v1
	s_andn2_b64 exec, exec, s[4:5]
	s_cbranch_execnz .LBB23_12
.LBB23_13:
	s_or_b64 exec, exec, s[2:3]
	v_mov_b32_e32 v1, 0
	s_waitcnt lgkmcnt(0)
	s_barrier
	ds_read_b32 v1, v1
	s_cmp_lt_i32 s21, 2
	s_cbranch_scc1 .LBB23_21
; %bb.14:
	s_add_i32 s1, s21, -1
	s_add_i32 s2, s21, -2
	s_cmp_lt_u32 s2, 7
	s_cbranch_scc1 .LBB23_18
; %bb.15:
	s_mov_b32 s4, 0
	s_add_i32 s2, 0, 8
	s_and_b32 s3, s1, -8
.LBB23_16:                              ; =>This Inner Loop Header: Depth=1
	v_mov_b32_e32 v8, s2
	ds_read2_b32 v[2:3], v8 offset1:2
	ds_read2_b32 v[4:5], v8 offset0:4 offset1:6
	ds_read2_b32 v[6:7], v8 offset0:8 offset1:10
	;; [unrolled: 1-line block ×3, first 2 shown]
	s_mov_b32 s5, s4
	s_waitcnt lgkmcnt(3)
	v_max3_f32 v1, v1, v2, v3
	s_waitcnt lgkmcnt(2)
	v_max3_f32 v1, v1, v4, v5
	s_add_i32 s2, s2, 64
	s_add_i32 s4, s4, 8
	s_waitcnt lgkmcnt(1)
	v_max3_f32 v1, v1, v6, v7
	s_cmp_eq_u32 s3, s4
	s_waitcnt lgkmcnt(0)
	v_max3_f32 v1, v1, v8, v9
	s_cbranch_scc0 .LBB23_16
; %bb.17:
	s_add_i32 s2, s5, 9
	s_and_b32 s1, s1, 7
	s_cmp_eq_u32 s1, 0
	s_cbranch_scc0 .LBB23_19
	s_branch .LBB23_21
.LBB23_18:
	s_mov_b32 s2, 1
	s_and_b32 s1, s1, 7
	s_cmp_eq_u32 s1, 0
	s_cbranch_scc1 .LBB23_21
.LBB23_19:
	s_lshl_b32 s2, s2, 3
	s_add_i32 s2, s2, 0
.LBB23_20:                              ; =>This Inner Loop Header: Depth=1
	v_mov_b32_e32 v2, s2
	ds_read_b32 v2, v2
	s_waitcnt lgkmcnt(1)
	v_max_f32_e32 v1, v1, v1
	s_add_i32 s2, s2, 8
	s_add_i32 s1, s1, -1
	s_cmp_lg_u32 s1, 0
	s_waitcnt lgkmcnt(0)
	v_max_f32_e32 v2, v2, v2
	v_max_f32_e32 v1, v1, v2
	s_cbranch_scc1 .LBB23_20
.LBB23_21:
	s_cmp_lt_i32 s21, 1
	s_cbranch_scc1 .LBB23_26
; %bb.22:
	s_mul_i32 s18, s0, 0x70
	s_ashr_i32 s19, s18, 31
	s_cmp_lt_u32 s21, 8
	v_mov_b32_e32 v8, 0
	s_cbranch_scc1 .LBB23_27
; %bb.23:
	s_lshl_b64 s[0:1], s[18:19], 2
	s_add_u32 s23, s16, s0
	s_addc_u32 s0, s17, s1
	v_lshlrev_b32_e32 v2, 2, v0
	v_mov_b32_e32 v10, s0
	v_add_co_u32_e32 v2, vcc, s23, v2
	v_addc_co_u32_e32 v3, vcc, 0, v10, vcc
	v_add_co_u32_e32 v2, vcc, 0x1c0, v2
	s_and_b32 s22, s21, 0x7ffffff8
	v_addc_co_u32_e32 v3, vcc, 0, v3, vcc
	v_add_u32_e32 v4, 0x1c0, v0
	s_mov_b32 s24, 0
	v_mov_b32_e32 v7, 0
	s_mov_b32 s25, 0x3fb8aa3b
	s_mov_b32 s26, 0xc2ce8ed0
	;; [unrolled: 1-line block ×3, first 2 shown]
	v_mov_b32_e32 v11, 0x7f800000
	s_mov_b32 s28, 0
	v_mov_b32_e32 v9, 0
	v_mov_b32_e32 v8, 0
.LBB23_24:                              ; =>This Inner Loop Header: Depth=1
	v_add_u32_e32 v6, 0xfffffe40, v4
	global_load_dword v36, v[2:3], off
	global_load_dword v37, v[2:3], off offset:448
	v_add_co_u32_e32 v2, vcc, 0xe00, v2
	v_lshlrev_b64 v[28:29], 2, v[6:7]
	v_addc_co_u32_e32 v3, vcc, 0, v3, vcc
	v_mov_b32_e32 v5, v7
	v_add_co_u32_e32 v28, vcc, s23, v28
	v_lshlrev_b64 v[30:31], 2, v[4:5]
	v_addc_co_u32_e32 v29, vcc, v10, v29, vcc
	v_add_u32_e32 v6, 0xffffff90, v4
	v_add_co_u32_e32 v30, vcc, s23, v30
	v_mov_b32_e32 v24, s24
	v_lshlrev_b64 v[32:33], 2, v[6:7]
	v_addc_co_u32_e32 v31, vcc, v10, v31, vcc
	ds_read2_b64 v[12:15], v24 offset1:1
	ds_read2_b64 v[16:19], v24 offset0:2 offset1:3
	ds_read2_b64 v[20:23], v24 offset0:4 offset1:5
	;; [unrolled: 1-line block ×3, first 2 shown]
	v_add_u32_e32 v6, 0x70, v4
	global_load_dword v5, v[28:29], off
	v_add_co_u32_e32 v28, vcc, s23, v32
	v_addc_co_u32_e32 v29, vcc, v10, v33, vcc
	v_lshlrev_b64 v[32:33], 2, v[6:7]
	v_add_u32_e32 v6, 0xe0, v4
	v_add_co_u32_e32 v32, vcc, s23, v32
	v_addc_co_u32_e32 v33, vcc, v10, v33, vcc
	v_lshlrev_b64 v[34:35], 2, v[6:7]
	v_add_u32_e32 v6, 0x150, v4
	global_load_dword v38, v[28:29], off
	global_load_dword v39, v[30:31], off
	;; [unrolled: 1-line block ×3, first 2 shown]
	v_add_co_u32_e32 v28, vcc, s23, v34
	v_addc_co_u32_e32 v29, vcc, v10, v35, vcc
	v_lshlrev_b64 v[30:31], 2, v[6:7]
	v_add_co_u32_e32 v30, vcc, s23, v30
	s_waitcnt lgkmcnt(3)
	v_sub_f32_e32 v6, v12, v1
	v_sub_f32_e32 v12, v14, v1
	s_waitcnt lgkmcnt(2)
	v_sub_f32_e32 v14, v16, v1
	v_sub_f32_e32 v16, v18, v1
	;; [unrolled: 3-line block ×4, first 2 shown]
	v_addc_co_u32_e32 v31, vcc, v10, v31, vcc
	global_load_dword v26, v[28:29], off
	v_mul_f32_e32 v32, 0x3fb8aa3b, v14
	global_load_dword v30, v[30:31], off
	v_mul_f32_e32 v28, 0x3fb8aa3b, v6
	v_fma_f32 v31, v6, s25, -v28
	v_rndne_f32_e32 v43, v28
	v_mul_f32_e32 v29, 0x3fb8aa3b, v12
	v_mul_f32_e32 v33, 0x3fb8aa3b, v16
	;; [unrolled: 1-line block ×3, first 2 shown]
	v_fmac_f32_e32 v31, 0x32a5705f, v6
	v_sub_f32_e32 v28, v28, v43
	v_fma_f32 v44, v12, s25, -v29
	v_rndne_f32_e32 v45, v29
	v_fma_f32 v46, v14, s25, -v32
	v_rndne_f32_e32 v47, v32
	;; [unrolled: 2-line block ×3, first 2 shown]
	v_fma_f32 v50, v18, s25, -v34
	v_add_f32_e32 v28, v28, v31
	v_rndne_f32_e32 v31, v34
	v_mul_f32_e32 v35, 0x3fb8aa3b, v20
	v_mul_f32_e32 v41, 0x3fb8aa3b, v22
	v_fmac_f32_e32 v44, 0x32a5705f, v12
	v_sub_f32_e32 v29, v29, v45
	v_fmac_f32_e32 v46, 0x32a5705f, v14
	v_sub_f32_e32 v32, v32, v47
	;; [unrolled: 2-line block ×4, first 2 shown]
	v_add_f32_e32 v29, v29, v44
	v_fma_f32 v44, v20, s25, -v35
	v_add_f32_e32 v32, v32, v46
	v_rndne_f32_e32 v46, v35
	v_add_f32_e32 v33, v33, v48
	v_fma_f32 v48, v22, s25, -v41
	v_add_f32_e32 v34, v34, v50
	v_rndne_f32_e32 v50, v41
	v_mul_f32_e32 v42, 0x3fb8aa3b, v24
	v_fmac_f32_e32 v44, 0x32a5705f, v20
	v_sub_f32_e32 v35, v35, v46
	v_fmac_f32_e32 v48, 0x32a5705f, v22
	v_sub_f32_e32 v41, v41, v50
	v_add_f32_e32 v35, v35, v44
	v_fma_f32 v44, v24, s25, -v42
	v_add_f32_e32 v41, v41, v48
	v_rndne_f32_e32 v48, v42
	v_cvt_i32_f32_e32 v43, v43
	v_fmac_f32_e32 v44, 0x32a5705f, v24
	v_sub_f32_e32 v42, v42, v48
	v_exp_f32_e32 v28, v28
	v_cvt_i32_f32_e32 v45, v45
	v_add_f32_e32 v42, v42, v44
	v_exp_f32_e32 v29, v29
	v_cvt_i32_f32_e32 v47, v47
	v_cvt_i32_f32_e32 v49, v49
	v_cvt_i32_f32_e32 v31, v31
	v_cvt_i32_f32_e32 v46, v46
	v_cvt_i32_f32_e32 v50, v50
	v_cvt_i32_f32_e32 v48, v48
	v_exp_f32_e32 v32, v32
	v_exp_f32_e32 v33, v33
	;; [unrolled: 1-line block ×6, first 2 shown]
	v_ldexp_f32 v28, v28, v43
	v_cmp_ngt_f32_e64 s[12:13], s26, v6
	v_ldexp_f32 v29, v29, v45
	v_cmp_ngt_f32_e32 vcc, s26, v12
	v_cndmask_b32_e64 v28, 0, v28, s[12:13]
	v_cmp_nlt_f32_e64 s[12:13], s27, v6
	v_ldexp_f32 v32, v32, v47
	v_cmp_ngt_f32_e64 s[0:1], s26, v14
	v_ldexp_f32 v33, v33, v49
	v_cmp_ngt_f32_e64 s[2:3], s26, v16
	;; [unrolled: 2-line block ×6, first 2 shown]
	v_cndmask_b32_e32 v29, 0, v29, vcc
	v_cmp_nlt_f32_e32 vcc, s27, v12
	v_cndmask_b32_e64 v6, v11, v28, s[12:13]
	v_cndmask_b32_e64 v12, 0, v32, s[0:1]
	v_cmp_nlt_f32_e64 s[0:1], s27, v14
	v_cndmask_b32_e64 v14, 0, v33, s[2:3]
	v_cmp_nlt_f32_e64 s[2:3], s27, v16
	;; [unrolled: 2-line block ×6, first 2 shown]
	v_cndmask_b32_e32 v24, v11, v29, vcc
	v_fmac_f32_e32 v9, v6, v13
	s_waitcnt vmcnt(5)
	v_fmac_f32_e32 v8, v5, v6
	v_cndmask_b32_e64 v12, v11, v12, s[0:1]
	v_fmac_f32_e32 v9, v24, v15
	v_fmac_f32_e32 v8, v36, v24
	v_cndmask_b32_e64 v14, v11, v14, s[2:3]
	v_fmac_f32_e32 v9, v12, v17
	;; [unrolled: 3-line block ×3, first 2 shown]
	s_waitcnt vmcnt(4)
	v_fmac_f32_e32 v8, v38, v14
	v_cndmask_b32_e64 v18, v11, v18, s[6:7]
	v_fmac_f32_e32 v9, v16, v21
	s_waitcnt vmcnt(3)
	v_fmac_f32_e32 v8, v39, v16
	v_cndmask_b32_e64 v20, v11, v20, s[8:9]
	v_fmac_f32_e32 v9, v18, v23
	s_waitcnt vmcnt(2)
	v_fmac_f32_e32 v8, v40, v18
	s_add_i32 s28, s28, 8
	s_add_i32 s24, s24, 64
	v_cndmask_b32_e64 v22, v11, v22, s[10:11]
	v_fmac_f32_e32 v9, v20, v25
	s_waitcnt vmcnt(1)
	v_fmac_f32_e32 v8, v26, v20
	s_cmp_eq_u32 s22, s28
	v_add_u32_e32 v4, 0x380, v4
	v_fmac_f32_e32 v9, v22, v27
	s_waitcnt vmcnt(0)
	v_fmac_f32_e32 v8, v30, v22
	s_cbranch_scc0 .LBB23_24
; %bb.25:
	s_and_b32 s0, s21, 7
	s_cmp_eq_u32 s0, 0
	s_cbranch_scc0 .LBB23_28
	s_branch .LBB23_30
.LBB23_26:
	s_waitcnt lgkmcnt(0)
	v_mov_b32_e32 v1, 0x7fc00000
	s_branch .LBB23_31
.LBB23_27:
	s_mov_b32 s22, 0
	v_mov_b32_e32 v9, 0
	s_and_b32 s0, s21, 7
	s_cmp_eq_u32 s0, 0
	s_cbranch_scc1 .LBB23_30
.LBB23_28:
	s_lshl_b64 s[2:3], s[18:19], 2
	s_mul_i32 s1, s22, 0x70
	v_add_u32_e32 v2, s1, v0
	v_mov_b32_e32 v3, 0
	s_add_u32 s1, s16, s2
	v_lshlrev_b64 v[2:3], 2, v[2:3]
	s_addc_u32 s2, s17, s3
	v_mov_b32_e32 v4, s2
	v_add_co_u32_e32 v2, vcc, s1, v2
	s_lshl_b32 s1, s22, 3
	v_addc_co_u32_e32 v3, vcc, v4, v3, vcc
	s_add_i32 s1, s1, 0
	s_mov_b32 s2, 0x3fb8aa3b
	s_mov_b32 s3, 0xc2ce8ed0
	;; [unrolled: 1-line block ×3, first 2 shown]
	v_mov_b32_e32 v4, 0x7f800000
.LBB23_29:                              ; =>This Inner Loop Header: Depth=1
	global_load_dword v5, v[2:3], off
	v_mov_b32_e32 v6, s1
	ds_read_b64 v[6:7], v6
	v_add_co_u32_e32 v2, vcc, 0x1c0, v2
	v_addc_co_u32_e32 v3, vcc, 0, v3, vcc
	s_waitcnt lgkmcnt(0)
	v_sub_f32_e32 v6, v6, v1
	v_mul_f32_e32 v10, 0x3fb8aa3b, v6
	v_fma_f32 v11, v6, s2, -v10
	v_rndne_f32_e32 v12, v10
	v_fmac_f32_e32 v11, 0x32a5705f, v6
	v_sub_f32_e32 v10, v10, v12
	v_add_f32_e32 v10, v10, v11
	v_cvt_i32_f32_e32 v12, v12
	v_exp_f32_e32 v10, v10
	v_cmp_ngt_f32_e32 vcc, s3, v6
	s_add_i32 s1, s1, 8
	s_add_i32 s0, s0, -1
	v_ldexp_f32 v10, v10, v12
	v_cndmask_b32_e32 v10, 0, v10, vcc
	v_cmp_nlt_f32_e32 vcc, s4, v6
	v_cndmask_b32_e32 v6, v4, v10, vcc
	s_cmp_lg_u32 s0, 0
	v_fmac_f32_e32 v9, v6, v7
	s_waitcnt vmcnt(0)
	v_fmac_f32_e32 v8, v5, v6
	s_cbranch_scc1 .LBB23_29
.LBB23_30:
	s_waitcnt lgkmcnt(0)
	v_div_scale_f32 v1, s[0:1], v9, v9, v8
	v_rcp_f32_e32 v2, v1
	v_div_scale_f32 v3, vcc, v8, v9, v8
	v_fma_f32 v4, -v1, v2, 1.0
	v_fmac_f32_e32 v2, v4, v2
	v_mul_f32_e32 v4, v3, v2
	v_fma_f32 v5, -v1, v4, v3
	v_fmac_f32_e32 v4, v5, v2
	v_fma_f32 v1, -v1, v4, v3
	v_div_fmas_f32 v1, v1, v2, v4
	v_div_fixup_f32 v1, v1, v9, v8
.LBB23_31:
	s_mul_i32 s0, s20, 0x70
	s_ashr_i32 s1, s0, 31
	s_lshl_b64 s[0:1], s[0:1], 2
	s_add_u32 s0, s14, s0
	s_addc_u32 s1, s15, s1
	v_lshlrev_b32_e32 v0, 2, v0
	global_store_dword v0, v1, s[0:1]
	s_endpgm
	.section	.rodata,"a",@progbits
	.p2align	6, 0x0
	.amdhsa_kernel _ZL26flash_attn_combine_resultsILi112EEvPKfPK15HIP_vector_typeIfLj2EEPfi
		.amdhsa_group_segment_fixed_size 0
		.amdhsa_private_segment_fixed_size 0
		.amdhsa_kernarg_size 288
		.amdhsa_user_sgpr_count 6
		.amdhsa_user_sgpr_private_segment_buffer 1
		.amdhsa_user_sgpr_dispatch_ptr 0
		.amdhsa_user_sgpr_queue_ptr 0
		.amdhsa_user_sgpr_kernarg_segment_ptr 1
		.amdhsa_user_sgpr_dispatch_id 0
		.amdhsa_user_sgpr_flat_scratch_init 0
		.amdhsa_user_sgpr_kernarg_preload_length 0
		.amdhsa_user_sgpr_kernarg_preload_offset 0
		.amdhsa_user_sgpr_private_segment_size 0
		.amdhsa_uses_dynamic_stack 0
		.amdhsa_system_sgpr_private_segment_wavefront_offset 0
		.amdhsa_system_sgpr_workgroup_id_x 1
		.amdhsa_system_sgpr_workgroup_id_y 1
		.amdhsa_system_sgpr_workgroup_id_z 1
		.amdhsa_system_sgpr_workgroup_info 0
		.amdhsa_system_vgpr_workitem_id 0
		.amdhsa_next_free_vgpr 51
		.amdhsa_next_free_sgpr 29
		.amdhsa_accum_offset 52
		.amdhsa_reserve_vcc 1
		.amdhsa_reserve_flat_scratch 0
		.amdhsa_float_round_mode_32 0
		.amdhsa_float_round_mode_16_64 0
		.amdhsa_float_denorm_mode_32 3
		.amdhsa_float_denorm_mode_16_64 3
		.amdhsa_dx10_clamp 1
		.amdhsa_ieee_mode 1
		.amdhsa_fp16_overflow 0
		.amdhsa_tg_split 0
		.amdhsa_exception_fp_ieee_invalid_op 0
		.amdhsa_exception_fp_denorm_src 0
		.amdhsa_exception_fp_ieee_div_zero 0
		.amdhsa_exception_fp_ieee_overflow 0
		.amdhsa_exception_fp_ieee_underflow 0
		.amdhsa_exception_fp_ieee_inexact 0
		.amdhsa_exception_int_div_zero 0
	.end_amdhsa_kernel
	.section	.text._ZL26flash_attn_combine_resultsILi112EEvPKfPK15HIP_vector_typeIfLj2EEPfi,"axG",@progbits,_ZL26flash_attn_combine_resultsILi112EEvPKfPK15HIP_vector_typeIfLj2EEPfi,comdat
.Lfunc_end23:
	.size	_ZL26flash_attn_combine_resultsILi112EEvPKfPK15HIP_vector_typeIfLj2EEPfi, .Lfunc_end23-_ZL26flash_attn_combine_resultsILi112EEvPKfPK15HIP_vector_typeIfLj2EEPfi
                                        ; -- End function
	.section	.AMDGPU.csdata,"",@progbits
; Kernel info:
; codeLenInByte = 3144
; NumSgprs: 33
; NumVgprs: 51
; NumAgprs: 0
; TotalNumVgprs: 51
; ScratchSize: 0
; MemoryBound: 0
; FloatMode: 240
; IeeeMode: 1
; LDSByteSize: 0 bytes/workgroup (compile time only)
; SGPRBlocks: 4
; VGPRBlocks: 6
; NumSGPRsForWavesPerEU: 33
; NumVGPRsForWavesPerEU: 51
; AccumOffset: 52
; Occupancy: 8
; WaveLimiterHint : 1
; COMPUTE_PGM_RSRC2:SCRATCH_EN: 0
; COMPUTE_PGM_RSRC2:USER_SGPR: 6
; COMPUTE_PGM_RSRC2:TRAP_HANDLER: 0
; COMPUTE_PGM_RSRC2:TGID_X_EN: 1
; COMPUTE_PGM_RSRC2:TGID_Y_EN: 1
; COMPUTE_PGM_RSRC2:TGID_Z_EN: 1
; COMPUTE_PGM_RSRC2:TIDIG_COMP_CNT: 0
; COMPUTE_PGM_RSRC3_GFX90A:ACCUM_OFFSET: 12
; COMPUTE_PGM_RSRC3_GFX90A:TG_SPLIT: 0
	.section	.text._ZL18flash_attn_ext_f16ILi128ELi128ELi16ELi4ELb0ELb0EEvPKcS1_S1_S1_S1_PKiPfP15HIP_vector_typeIfLj2EEffffjfiS5_IjLj3EEiiiiiiiiiiiliiliiiiil,"axG",@progbits,_ZL18flash_attn_ext_f16ILi128ELi128ELi16ELi4ELb0ELb0EEvPKcS1_S1_S1_S1_PKiPfP15HIP_vector_typeIfLj2EEffffjfiS5_IjLj3EEiiiiiiiiiiiliiliiiiil,comdat
	.globl	_ZL18flash_attn_ext_f16ILi128ELi128ELi16ELi4ELb0ELb0EEvPKcS1_S1_S1_S1_PKiPfP15HIP_vector_typeIfLj2EEffffjfiS5_IjLj3EEiiiiiiiiiiiliiliiiiil ; -- Begin function _ZL18flash_attn_ext_f16ILi128ELi128ELi16ELi4ELb0ELb0EEvPKcS1_S1_S1_S1_PKiPfP15HIP_vector_typeIfLj2EEffffjfiS5_IjLj3EEiiiiiiiiiiiliiliiiiil
	.p2align	8
	.type	_ZL18flash_attn_ext_f16ILi128ELi128ELi16ELi4ELb0ELb0EEvPKcS1_S1_S1_S1_PKiPfP15HIP_vector_typeIfLj2EEffffjfiS5_IjLj3EEiiiiiiiiiiiliiliiiiil,@function
_ZL18flash_attn_ext_f16ILi128ELi128ELi16ELi4ELb0ELb0EEvPKcS1_S1_S1_S1_PKiPfP15HIP_vector_typeIfLj2EEffffjfiS5_IjLj3EEiiiiiiiiiiiliiliiiiil: ; @_ZL18flash_attn_ext_f16ILi128ELi128ELi16ELi4ELb0ELb0EEvPKcS1_S1_S1_S1_PKiPfP15HIP_vector_typeIfLj2EEffffjfiS5_IjLj3EEiiiiiiiiiiiliiliiiiil
; %bb.0:
	s_mov_b64 s[98:99], s[2:3]
	s_mov_b64 s[96:97], s[0:1]
	s_load_dwordx2 s[2:3], s[4:5], 0x80
	s_load_dwordx4 s[24:27], s[4:5], 0x64
	s_add_u32 s96, s96, s7
	s_addc_u32 s97, s97, 0
	s_mov_b32 s20, s6
	s_waitcnt lgkmcnt(0)
	s_abs_i32 s1, s3
	v_cvt_f32_u32_e32 v1, s1
	s_sub_i32 s8, 0, s1
	s_abs_i32 s7, s25
	s_xor_b32 s6, s25, s3
	v_rcp_iflag_f32_e32 v1, v1
	s_ashr_i32 s6, s6, 31
                                        ; implicit-def: $vgpr255 : SGPR spill to VGPR lane
	s_load_dword s21, s[4:5], 0xd0
	s_mov_b32 s0, 0
	v_mul_f32_e32 v1, 0x4f7ffffe, v1
	v_cvt_u32_f32_e32 v1, v1
	v_cvt_f32_ubyte0_e32 v3, 0
	v_readfirstlane_b32 s9, v1
	s_mul_i32 s8, s8, s9
	s_mul_hi_u32 s8, s9, s8
	s_add_i32 s9, s9, s8
	s_mul_hi_u32 s8, s7, s9
	s_mul_i32 s9, s8, s1
	s_sub_i32 s7, s7, s9
	s_add_i32 s10, s8, 1
	s_sub_i32 s9, s7, s1
	s_cmp_ge_u32 s7, s1
	s_cselect_b32 s8, s10, s8
	s_cselect_b32 s7, s9, s7
	s_add_i32 s9, s8, 1
	s_cmp_ge_u32 s7, s1
	s_cselect_b32 s1, s9, s8
	s_add_i32 s2, s2, 63
	s_xor_b32 s1, s1, s6
	s_ashr_i32 s7, s2, 31
	s_sub_i32 s33, s1, s6
	s_lshr_b32 s1, s7, 26
	s_add_i32 s2, s2, s1
	s_add_i32 s1, s24, 15
	s_lshr_b32 s6, s1, 4
	s_add_i32 s1, s33, 3
	s_ashr_i32 s7, s2, 6
	s_ashr_i32 s2, s1, 31
	s_lshr_b32 s2, s2, 30
	s_add_i32 s1, s1, s2
	s_ashr_i32 s1, s1, 2
	v_writelane_b32 v255, s6, 0
	s_mul_i32 s2, s6, s7
	v_writelane_b32 v255, s2, 1
	s_mul_i32 s1, s2, s1
	v_writelane_b32 v255, s1, 2
	s_mul_i32 s1, s1, s3
	s_mul_i32 s6, s1, s26
	s_ashr_i32 s8, s6, 31
	v_writelane_b32 v255, s1, 3
	s_mul_i32 s1, s8, s20
	s_mul_hi_u32 s2, s6, s20
	s_add_i32 s1, s2, s1
	s_add_u32 s2, s4, 0xd0
	s_waitcnt lgkmcnt(0)
	v_cvt_f32_u32_e32 v1, s21
	s_addc_u32 s3, s5, 0
	v_writelane_b32 v255, s2, 4
	s_mul_i32 s9, s6, s20
	v_writelane_b32 v255, s3, 5
	s_cmp_lg_u64 s[0:1], 0
	s_cbranch_scc0 .LBB24_2
; %bb.1:
	v_madmk_f32 v2, v3, 0x4f800000, v1
	v_rcp_f32_e32 v2, v2
	s_sub_u32 s0, 0, s21
	s_subb_u32 s10, 0, 0
	s_mov_b64 s[2:3], 0
	v_mul_f32_e32 v2, 0x5f7ffffc, v2
	v_mul_f32_e32 v4, 0x2f800000, v2
	v_trunc_f32_e32 v4, v4
	v_madmk_f32 v2, v4, 0xcf800000, v2
	v_cvt_u32_f32_e32 v4, v4
	v_cvt_u32_f32_e32 v2, v2
	v_readfirstlane_b32 s11, v4
	v_readfirstlane_b32 s12, v2
	s_mul_hi_u32 s14, s0, s12
	s_mul_i32 s15, s0, s11
	s_mul_i32 s13, s10, s12
	s_add_i32 s14, s14, s15
	s_add_i32 s14, s14, s13
	s_mul_i32 s16, s0, s12
	s_mul_hi_u32 s13, s12, s14
	s_mul_i32 s15, s12, s14
	s_mul_hi_u32 s12, s12, s16
	s_add_u32 s12, s12, s15
	s_addc_u32 s13, 0, s13
	s_mul_hi_u32 s17, s11, s16
	s_mul_i32 s16, s11, s16
	s_add_u32 s12, s12, s16
	s_mul_hi_u32 s15, s11, s14
	s_addc_u32 s12, s13, s17
	s_addc_u32 s13, s15, 0
	s_mul_i32 s14, s11, s14
	s_add_u32 s12, s12, s14
	s_addc_u32 s13, 0, s13
	v_add_co_u32_e32 v2, vcc, s12, v2
	s_cmp_lg_u64 vcc, 0
	s_addc_u32 s11, s11, s13
	v_readfirstlane_b32 s13, v2
	s_mul_i32 s12, s0, s11
	s_mul_hi_u32 s14, s0, s13
	s_add_i32 s12, s14, s12
	s_mul_i32 s10, s10, s13
	s_add_i32 s12, s12, s10
	s_mul_i32 s0, s0, s13
	s_mul_hi_u32 s14, s11, s0
	s_mul_i32 s15, s11, s0
	s_mul_i32 s17, s13, s12
	s_mul_hi_u32 s0, s13, s0
	s_mul_hi_u32 s16, s13, s12
	s_add_u32 s0, s0, s17
	s_addc_u32 s13, 0, s16
	s_add_u32 s0, s0, s15
	s_mul_hi_u32 s10, s11, s12
	s_addc_u32 s0, s13, s14
	s_addc_u32 s10, s10, 0
	s_mul_i32 s12, s11, s12
	s_add_u32 s0, s0, s12
	s_addc_u32 s10, 0, s10
	v_add_co_u32_e32 v2, vcc, s0, v2
	s_cmp_lg_u64 vcc, 0
	s_addc_u32 s12, s11, s10
	s_ashr_i32 s10, s1, 31
	s_add_u32 s0, s9, s10
	s_mov_b32 s11, s10
	s_addc_u32 s1, s1, s10
	s_xor_b64 s[0:1], s[0:1], s[10:11]
	v_readfirstlane_b32 s15, v2
	s_mul_i32 s14, s0, s12
	s_mul_hi_u32 s16, s0, s15
	s_mul_hi_u32 s13, s0, s12
	s_add_u32 s14, s16, s14
	s_addc_u32 s13, 0, s13
	s_mul_hi_u32 s17, s1, s15
	s_mul_i32 s15, s1, s15
	s_add_u32 s14, s14, s15
	s_mul_hi_u32 s16, s1, s12
	s_addc_u32 s13, s13, s17
	s_addc_u32 s14, s16, 0
	s_mul_i32 s12, s1, s12
	s_add_u32 s12, s13, s12
	s_addc_u32 s13, 0, s14
	s_add_u32 s14, s12, 1
	s_addc_u32 s15, s13, 0
	s_add_u32 s16, s12, 2
	s_mul_i32 s18, s21, s13
	s_mul_hi_u32 s19, s21, s12
	s_addc_u32 s17, s13, 0
	s_add_i32 s19, s19, s18
	s_mul_i32 s18, s21, s12
	v_mov_b32_e32 v2, s18
	v_sub_co_u32_e32 v2, vcc, s0, v2
	s_cmp_lg_u64 vcc, 0
	s_subb_u32 s0, s1, s19
	v_subrev_co_u32_e32 v4, vcc, s21, v2
	s_cmp_lg_u64 vcc, 0
	s_subb_u32 s1, s0, 0
	v_readfirstlane_b32 s18, v4
	s_cmp_ge_u32 s18, s21
	s_cselect_b32 s18, -1, 0
	s_cmp_eq_u32 s1, 0
	s_cselect_b32 s1, s18, -1
	s_cmp_lg_u32 s1, 0
	s_cselect_b32 s1, s17, s15
	v_readfirstlane_b32 s15, v2
	s_cselect_b32 s14, s16, s14
	s_cmp_ge_u32 s15, s21
	s_cselect_b32 s15, -1, 0
	s_cmp_eq_u32 s0, 0
	s_cselect_b32 s0, s15, -1
	s_cmp_lg_u32 s0, 0
	s_cselect_b32 s1, s1, s13
	s_cselect_b32 s0, s14, s12
	s_xor_b64 s[0:1], s[0:1], s[10:11]
	s_sub_u32 s50, s0, s10
	s_branch .LBB24_3
.LBB24_2:
	s_mov_b64 s[2:3], -1
                                        ; implicit-def: $sgpr50_sgpr51
.LBB24_3:
	s_load_dwordx2 s[0:1], s[4:5], 0x74
	v_cvt_f32_u32_e32 v2, s21
	s_andn2_b64 vcc, exec, s[2:3]
	s_waitcnt lgkmcnt(0)
	v_writelane_b32 v255, s0, 6
	v_writelane_b32 v255, s1, 7
	s_cbranch_vccnz .LBB24_5
; %bb.4:
	v_rcp_iflag_f32_e32 v4, v2
	s_sub_i32 s0, 0, s21
	v_mul_f32_e32 v4, 0x4f7ffffe, v4
	v_cvt_u32_f32_e32 v4, v4
	v_readfirstlane_b32 s1, v4
	s_mul_i32 s0, s0, s1
	s_mul_hi_u32 s0, s1, s0
	s_add_i32 s1, s1, s0
	s_mul_hi_u32 s0, s9, s1
	s_mul_i32 s2, s0, s21
	s_sub_i32 s2, s9, s2
	s_add_i32 s1, s0, 1
	s_sub_i32 s3, s2, s21
	s_cmp_ge_u32 s2, s21
	s_cselect_b32 s0, s1, s0
	s_cselect_b32 s2, s3, s2
	s_add_i32 s1, s0, 1
	s_cmp_ge_u32 s2, s21
	s_cselect_b32 s50, s1, s0
.LBB24_5:
	s_add_i32 s0, s20, 1
	s_mul_i32 s1, s8, s0
	s_mul_hi_u32 s2, s6, s0
	s_add_i32 s3, s2, s1
	s_mov_b32 s2, 0
	s_cmp_lg_u64 s[2:3], 0
	s_mul_i32 s2, s6, s0
	s_cbranch_scc0 .LBB24_7
; %bb.6:
	v_madmk_f32 v1, v3, 0x4f800000, v1
	v_rcp_f32_e32 v1, v1
	s_sub_u32 s6, 0, s21
	s_subb_u32 s8, 0, 0
	s_mov_b64 s[0:1], 0
	v_mul_f32_e32 v1, 0x5f7ffffc, v1
	v_mul_f32_e32 v3, 0x2f800000, v1
	v_trunc_f32_e32 v3, v3
	v_madmk_f32 v1, v3, 0xcf800000, v1
	v_cvt_u32_f32_e32 v3, v3
	v_cvt_u32_f32_e32 v1, v1
	v_readfirstlane_b32 s9, v3
	v_readfirstlane_b32 s10, v1
	s_mul_hi_u32 s12, s6, s10
	s_mul_i32 s13, s6, s9
	s_mul_i32 s11, s8, s10
	s_add_i32 s12, s12, s13
	s_add_i32 s12, s12, s11
	s_mul_i32 s14, s6, s10
	s_mul_hi_u32 s11, s10, s12
	s_mul_i32 s13, s10, s12
	s_mul_hi_u32 s10, s10, s14
	s_add_u32 s10, s10, s13
	s_addc_u32 s11, 0, s11
	s_mul_hi_u32 s15, s9, s14
	s_mul_i32 s14, s9, s14
	s_add_u32 s10, s10, s14
	s_mul_hi_u32 s13, s9, s12
	s_addc_u32 s10, s11, s15
	s_addc_u32 s11, s13, 0
	s_mul_i32 s12, s9, s12
	s_add_u32 s10, s10, s12
	s_addc_u32 s11, 0, s11
	v_add_co_u32_e32 v1, vcc, s10, v1
	s_cmp_lg_u64 vcc, 0
	s_addc_u32 s9, s9, s11
	v_readfirstlane_b32 s11, v1
	s_mul_i32 s10, s6, s9
	s_mul_hi_u32 s12, s6, s11
	s_add_i32 s10, s12, s10
	s_mul_i32 s8, s8, s11
	s_add_i32 s10, s10, s8
	s_mul_i32 s6, s6, s11
	s_mul_hi_u32 s12, s9, s6
	s_mul_i32 s13, s9, s6
	s_mul_i32 s15, s11, s10
	s_mul_hi_u32 s6, s11, s6
	s_mul_hi_u32 s14, s11, s10
	s_add_u32 s6, s6, s15
	s_addc_u32 s11, 0, s14
	s_add_u32 s6, s6, s13
	s_mul_hi_u32 s8, s9, s10
	s_addc_u32 s6, s11, s12
	s_addc_u32 s8, s8, 0
	s_mul_i32 s10, s9, s10
	s_add_u32 s6, s6, s10
	s_addc_u32 s8, 0, s8
	v_add_co_u32_e32 v1, vcc, s6, v1
	s_cmp_lg_u64 vcc, 0
	s_addc_u32 s6, s9, s8
	s_ashr_i32 s8, s3, 31
	s_add_u32 s10, s2, s8
	s_mov_b32 s9, s8
	s_addc_u32 s11, s3, s8
	s_xor_b64 s[10:11], s[10:11], s[8:9]
	v_readfirstlane_b32 s13, v1
	s_mul_i32 s12, s10, s6
	s_mul_hi_u32 s14, s10, s13
	s_mul_hi_u32 s3, s10, s6
	s_add_u32 s12, s14, s12
	s_addc_u32 s3, 0, s3
	s_mul_hi_u32 s15, s11, s13
	s_mul_i32 s13, s11, s13
	s_add_u32 s12, s12, s13
	s_mul_hi_u32 s14, s11, s6
	s_addc_u32 s3, s3, s15
	s_addc_u32 s12, s14, 0
	s_mul_i32 s6, s11, s6
	s_add_u32 s3, s3, s6
	s_addc_u32 s6, 0, s12
	s_add_u32 s12, s3, 1
	s_addc_u32 s13, s6, 0
	s_add_u32 s14, s3, 2
	s_mul_i32 s16, s21, s6
	s_mul_hi_u32 s17, s21, s3
	s_addc_u32 s15, s6, 0
	s_add_i32 s17, s17, s16
	s_mul_i32 s16, s21, s3
	v_mov_b32_e32 v1, s16
	v_sub_co_u32_e32 v1, vcc, s10, v1
	s_cmp_lg_u64 vcc, 0
	s_subb_u32 s10, s11, s17
	v_subrev_co_u32_e32 v3, vcc, s21, v1
	s_cmp_lg_u64 vcc, 0
	s_subb_u32 s11, s10, 0
	v_readfirstlane_b32 s16, v3
	s_cmp_ge_u32 s16, s21
	s_cselect_b32 s16, -1, 0
	s_cmp_eq_u32 s11, 0
	s_cselect_b32 s11, s16, -1
	s_cmp_lg_u32 s11, 0
	s_cselect_b32 s11, s15, s13
	v_readfirstlane_b32 s13, v1
	s_cselect_b32 s12, s14, s12
	s_cmp_ge_u32 s13, s21
	s_cselect_b32 s13, -1, 0
	s_cmp_eq_u32 s10, 0
	s_cselect_b32 s10, s13, -1
	s_cmp_lg_u32 s10, 0
	s_cselect_b32 s11, s11, s6
	s_cselect_b32 s10, s12, s3
	s_xor_b64 s[10:11], s[10:11], s[8:9]
	s_sub_u32 s6, s10, s8
	v_writelane_b32 v255, s6, 9
	v_writelane_b32 v255, s7, 10
	s_branch .LBB24_8
.LBB24_7:
	s_mov_b64 s[0:1], -1
                                        ; implicit-def: $sgpr8_sgpr9
                                        ; kill: killed $sgpr8_sgpr9
.LBB24_8:
	s_load_dwordx2 s[42:43], s[4:5], 0x5c
	v_writelane_b32 v255, s20, 8
	s_andn2_b64 vcc, exec, s[0:1]
	s_cbranch_vccnz .LBB24_10
; %bb.9:
	v_rcp_iflag_f32_e32 v1, v2
	s_sub_i32 s0, 0, s21
	v_mul_f32_e32 v1, 0x4f7ffffe, v1
	v_cvt_u32_f32_e32 v1, v1
	v_readfirstlane_b32 s1, v1
	s_mul_i32 s0, s0, s1
	s_mul_hi_u32 s0, s1, s0
	s_add_i32 s1, s1, s0
	s_mul_hi_u32 s0, s2, s1
	s_mul_i32 s3, s0, s21
	s_sub_i32 s2, s2, s3
	s_add_i32 s1, s0, 1
	s_sub_i32 s3, s2, s21
	s_cmp_ge_u32 s2, s21
	s_cselect_b32 s0, s1, s0
	s_cselect_b32 s2, s3, s2
	s_add_i32 s1, s0, 1
	s_cmp_ge_u32 s2, s21
	s_cselect_b32 s0, s1, s0
	v_writelane_b32 v255, s0, 9
	v_writelane_b32 v255, s1, 10
.LBB24_10:
	v_writelane_b32 v255, s21, 11
	s_load_dwordx16 s[8:23], s[4:5], 0x0
	s_load_dword s6, s[4:5], 0x40
	s_load_dwordx2 s[2:3], s[4:5], 0x8c
	s_load_dwordx4 s[28:31], s[4:5], 0x98
	s_load_dwordx2 s[0:1], s[4:5], 0xa8
	s_abs_i32 s55, s7
	v_cvt_f32_u32_e32 v1, s55
	s_waitcnt lgkmcnt(0)
	s_ashr_i32 s36, s2, 2
	s_sub_i32 s2, 0, s55
	v_writelane_b32 v255, s0, 12
	v_writelane_b32 v255, s1, 13
	s_load_dwordx2 s[44:45], s[4:5], 0xb8
	s_load_dwordx2 s[0:1], s[4:5], 0xc8
	v_rcp_iflag_f32_e32 v1, v1
	s_ashr_i32 s51, s27, 3
	s_ashr_i32 s26, s30, 2
	s_waitcnt lgkmcnt(0)
	s_ashr_i32 s40, s45, 1
	v_mul_f32_e32 v1, 0x4f7ffffe, v1
	v_writelane_b32 v255, s0, 14
	v_cvt_u32_f32_e32 v1, v1
	v_writelane_b32 v255, s1, 15
	v_readlane_b32 s0, v255, 6
	v_readlane_b32 s1, v255, 7
	s_mov_b32 s1, s3
	v_readfirstlane_b32 s3, v1
	s_ashr_i32 s72, s0, 3
	v_writelane_b32 v255, s0, 16
	s_mul_i32 s2, s2, s3
	v_writelane_b32 v255, s1, 17
	s_ashr_i32 s1, s7, 31
	s_mul_hi_u32 s2, s3, s2
	v_writelane_b32 v255, s1, 18
	s_abs_i32 s1, s50
	s_add_i32 s54, s3, s2
	s_mul_hi_u32 s2, s1, s54
	s_mul_i32 s2, s2, s55
	s_sub_i32 s1, s1, s2
	s_ashr_i32 s0, s50, 31
	s_sub_i32 s2, s1, s55
	s_cmp_ge_u32 s1, s55
	s_cselect_b32 s1, s2, s1
	s_sub_i32 s2, s1, s55
	s_cmp_ge_u32 s1, s55
	s_cselect_b32 s1, s2, s1
	s_xor_b32 s1, s1, s0
	s_sub_i32 s34, s1, s0
	v_readlane_b32 s0, v255, 9
	s_mov_b32 s30, s0
	s_sub_i32 s0, s0, s50
	s_add_i32 s4, s0, s34
	s_min_i32 s46, s7, s4
	s_cmp_gt_i32 s30, s50
	v_readlane_b32 s1, v255, 10
	s_cselect_b64 s[2:3], -1, 0
	s_cmp_le_i32 s30, s50
	v_cvt_f16_f32_e32 v1, s6
	s_cselect_b64 s[0:1], -1, 0
	s_cmp_gt_i32 s7, s4
	s_cselect_b64 s[4:5], -1, 0
	s_or_b64 s[0:1], s[4:5], s[0:1]
	v_bfe_u32 v92, v0, 10, 10
	s_mov_b32 s63, 0
	s_and_b64 vcc, exec, s[0:1]
	v_pack_b32_f16 v93, v1, v1
	v_and_b32_e32 v30, 3, v92
	v_lshrrev_b32_e32 v94, 2, v92
	v_add_u32_e32 v91, 4, v92
	v_add_u32_e32 v90, 8, v92
	;; [unrolled: 1-line block ×15, first 2 shown]
	v_and_b32_e32 v88, 15, v92
	v_writelane_b32 v255, s72, 19
	s_cbranch_vccnz .LBB24_359
; %bb.11:
	s_cmp_eq_u64 s[16:17], 0
	s_cselect_b64 s[0:1], -1, 0
	v_and_b32_e32 v32, 0x3ff, v0
	v_writelane_b32 v255, s0, 20
	s_cmp_lg_u64 s[18:19], 0
	v_and_b32_e32 v1, 15, v32
	v_lshrrev_b32_e32 v10, 1, v32
	v_writelane_b32 v255, s1, 21
	s_cselect_b64 s[0:1], -1, 0
	v_mul_u32_u24_e32 v2, 0x110, v1
	v_and_b32_e32 v3, 0x78, v10
	v_writelane_b32 v255, s0, 22
	v_add3_u32 v95, 0, v2, v3
	v_lshrrev_b32_e32 v2, 5, v32
	v_writelane_b32 v255, s1, 23
	v_lshl_add_u32 v96, v92, 1, v2
	v_lshrrev_b32_e32 v2, 4, v32
	v_lshl_add_u32 v11, v92, 2, v2
	v_lshlrev_b32_e32 v2, 2, v32
	v_writelane_b32 v255, s42, 24
	v_and_b32_e32 v18, 60, v2
	v_mul_lo_u32 v2, s36, v11
	s_lshl_b32 s2, s36, 4
	v_writelane_b32 v255, s43, 25
	v_add_u32_e32 v4, s2, v2
	v_writelane_b32 v255, s44, 26
	v_add_u32_e32 v6, s2, v4
	v_lshlrev_b32_e32 v22, 4, v92
	v_writelane_b32 v255, s45, 27
	v_add_u32_e32 v8, s2, v6
	v_and_or_b32 v12, v32, 12, v22
	v_or_b32_e32 v24, 4, v10
	v_mul_lo_u32 v10, s26, v11
	s_lshl_b32 s2, s26, 4
	v_writelane_b32 v255, s54, 28
	v_lshrrev_b32_e32 v23, 2, v12
	v_add_u32_e32 v12, s2, v10
	v_readlane_b32 s6, v255, 8
	s_movk_i32 s1, 0x90
	v_mul_u32_u24_e32 v19, 0x110, v11
	v_add_u32_e32 v14, s2, v12
	v_lshlrev_b32_e32 v26, 2, v18
	s_lshl_b32 s62, s6, 6
	s_ashr_i32 s41, s40, 31
	s_ashr_i32 s37, s36, 31
	s_ashr_i32 s27, s26, 31
	v_add_u32_e32 v16, s2, v14
	v_add3_u32 v99, 0, v19, v26
	v_mad_u32_u24 v19, v23, s1, 0
	s_add_i32 s67, 0, 0x1100
	s_add_i32 s68, 0, 0x2200
	;; [unrolled: 1-line block ×29, first 2 shown]
	s_lshl_b64 s[58:59], s[62:63], 3
	v_lshrrev_b32_e32 v20, 2, v32
	s_add_u32 s58, s22, s58
	v_readlane_b32 s75, v255, 3
	s_movk_i32 s3, 0x110
	v_and_b32_e32 v21, 60, v20
	v_lshl_add_u32 v103, v1, 1, 0
	s_addc_u32 s59, s23, s59
	s_abs_i32 s47, s75
	v_mul_u32_u24_e32 v25, 0x88, v21
	v_mul_u32_u24_e32 v97, 0x110, v21
	v_lshl_add_u32 v100, v21, 1, v19
	v_mad_u32_u24 v104, v21, s3, v103
	v_cvt_f32_u32_e32 v21, s47
	v_readlane_b32 s74, v255, 2
	v_and_b32_e32 v23, 0x1fc, v24
	s_abs_i32 s6, s74
	v_rcp_iflag_f32_e32 v21, v21
	v_add_u32_e32 v101, v19, v23
	v_cvt_f32_u32_e32 v23, s6
	v_or_b32_e32 v20, 3, v20
	v_mul_f32_e32 v21, 0x4f7ffffe, v21
	v_cvt_u32_f32_e32 v21, v21
	v_rcp_iflag_f32_e32 v23, v23
	v_mul_u32_u24_e32 v98, 0x110, v20
	v_mad_u32_u24 v105, v20, s3, v103
	v_or_b32_e32 v20, v22, v32
	v_lshlrev_b32_e32 v22, 3, v20
	v_readlane_b32 s73, v255, 1
	v_readlane_b32 s76, v255, 26
	v_mov_b32_e32 v24, s59
	v_add_co_u32_e32 v34, vcc, s58, v22
	s_abs_i32 s58, s73
	s_abs_i32 s59, s76
	v_readfirstlane_b32 s3, v21
	v_mul_f32_e32 v21, 0x4f7ffffe, v23
	v_cvt_f32_u32_e32 v22, s58
	v_cvt_f32_u32_e32 v23, s59
	v_cvt_u32_f32_e32 v21, v21
	v_or_b32_e32 v25, v25, v1
	v_rcp_iflag_f32_e32 v22, v22
	v_rcp_iflag_f32_e32 v23, v23
	v_readfirstlane_b32 s62, v21
	v_lshlrev_b32_e32 v19, 1, v25
	v_mul_f32_e32 v21, 0x4f7ffffe, v22
	v_mul_f32_e32 v22, 0x4f7ffffe, v23
	v_cvt_u32_f32_e32 v21, v21
	v_cvt_u32_f32_e32 v22, v22
	v_add_u32_e32 v112, s1, v19
	s_movk_i32 s1, 0x44
	v_lshlrev_b32_e32 v110, 2, v18
	v_add_u32_e32 v113, s2, v19
	v_mad_u32_u24 v18, v92, s1, v32
	s_movk_i32 s2, 0x1f0
	v_add_u32_e32 v107, s68, v19
	s_sub_i32 s68, 0, s59
	v_lshl_add_u32 v139, v18, 2, 0
	v_and_or_b32 v18, v87, s2, v88
	v_add_u32_e32 v102, 0, v19
	v_add_u32_e32 v106, s67, v19
	v_readfirstlane_b32 s67, v21
	v_mul_lo_u32 v21, s68, v22
	v_add_u32_e32 v109, s69, v19
	v_add3_u32 v111, 0, 32, v19
	v_add_u32_e32 v114, s4, v19
	v_add3_u32 v115, 0, 64, v19
	v_add_u32_e32 v116, s5, v19
	v_add_u32_e32 v117, s30, v19
	;; [unrolled: 1-line block ×23, first 2 shown]
	v_mul_u32_u24_e32 v19, 0x44, v18
	v_mad_u32_u24 v18, v18, s1, v32
	v_mul_hi_u32 v21, v22, v21
	v_lshl_add_u32 v140, v18, 2, 0
	v_and_or_b32 v18, v83, s2, v88
	v_add_u32_e32 v108, v22, v21
	v_mul_u32_u24_e32 v21, 0x44, v18
	v_mad_u32_u24 v18, v18, s1, v32
	v_lshl_add_u32 v18, v18, 2, 0
	buffer_store_dword v18, off, s[96:99], 0 offset:4 ; 4-byte Folded Spill
	v_and_or_b32 v18, v77, s2, v88
	v_lshl_add_u32 v19, v19, 2, 0
	v_mul_u32_u24_e32 v22, 0x44, v18
	buffer_store_dword v19, off, s[96:99], 0 ; 4-byte Folded Spill
	v_lshl_add_u32 v19, v21, 2, 0
	v_mad_u32_u24 v18, v18, s1, v32
	buffer_store_dword v19, off, s[96:99], 0 offset:8 ; 4-byte Folded Spill
	v_lshl_add_u32 v19, v22, 2, 0
	v_lshl_add_u32 v18, v18, 2, 0
	buffer_store_dword v19, off, s[96:99], 0 offset:16 ; 4-byte Folded Spill
	v_and_b32_e32 v19, 31, v32
	v_addc_co_u32_e32 v35, vcc, 0, v24, vcc
	buffer_store_dword v18, off, s[96:99], 0 offset:12 ; 4-byte Folded Spill
	v_mul_u32_u24_e32 v18, 0x110, v20
	v_mul_u32_u24_e32 v20, 0x44, v92
	v_lshlrev_b32_e32 v19, 2, v19
	v_ashrrev_i32_e32 v11, 31, v10
	v_cmp_gt_u32_e64 s[4:5], 16, v32
	v_lshl_add_u32 v143, v20, 2, 0
	v_mov_b32_e32 v20, s15
	v_add_co_u32_e32 v147, vcc, s14, v19
	v_readlane_b32 s77, v255, 27
	v_readlane_b32 s54, v255, 28
	v_writelane_b32 v255, s4, 29
	v_addc_co_u32_e32 v148, vcc, 0, v20, vcc
	v_lshlrev_b64 v[36:37], 2, v[10:11]
	v_ashrrev_i32_e32 v13, 31, v12
	v_writelane_b32 v255, s5, 30
	s_ashr_i32 s1, s75, 31
	v_mov_b32_e32 v10, s13
	v_add_co_u32_e32 v149, vcc, s12, v36
	v_writelane_b32 v255, s1, 31
	s_sub_i32 s1, 0, s47
	v_addc_co_u32_e32 v150, vcc, v10, v37, vcc
	v_lshlrev_b64 v[38:39], 2, v[12:13]
	v_ashrrev_i32_e32 v15, 31, v14
	s_mul_i32 s1, s1, s3
	v_add_co_u32_e32 v151, vcc, s12, v38
	s_mul_hi_u32 s1, s3, s1
	v_addc_co_u32_e32 v152, vcc, v10, v39, vcc
	v_lshlrev_b64 v[40:41], 2, v[14:15]
	v_ashrrev_i32_e32 v17, 31, v16
	s_add_i32 s1, s3, s1
	v_add_co_u32_e32 v153, vcc, s12, v40
	v_writelane_b32 v255, s1, 32
	s_ashr_i32 s1, s74, 31
	v_addc_co_u32_e32 v154, vcc, v10, v41, vcc
	v_lshlrev_b64 v[42:43], 2, v[16:17]
	v_ashrrev_i32_e32 v3, 31, v2
	v_writelane_b32 v255, s1, 33
	s_sub_i32 s1, 0, s6
	v_add_co_u32_e32 v155, vcc, s12, v42
	s_mul_i32 s1, s1, s62
	v_addc_co_u32_e32 v156, vcc, v10, v43, vcc
	v_lshlrev_b64 v[44:45], 2, v[2:3]
	v_ashrrev_i32_e32 v5, 31, v4
	s_mul_hi_u32 s1, s62, s1
	v_mov_b32_e32 v2, s11
	v_add_co_u32_e32 v157, vcc, s10, v44
	s_add_i32 s1, s62, s1
	v_addc_co_u32_e32 v158, vcc, v2, v45, vcc
	v_lshlrev_b64 v[46:47], 2, v[4:5]
	v_ashrrev_i32_e32 v7, 31, v6
	v_writelane_b32 v255, s1, 34
	s_ashr_i32 s1, s73, 31
	v_add_co_u32_e32 v159, vcc, s10, v46
	v_writelane_b32 v255, s1, 35
	s_sub_i32 s1, 0, s58
	v_addc_co_u32_e32 v160, vcc, v2, v47, vcc
	v_lshlrev_b64 v[48:49], 2, v[6:7]
	v_ashrrev_i32_e32 v9, 31, v8
	s_mul_i32 s1, s1, s67
	v_add_co_u32_e32 v161, vcc, s10, v48
	s_mul_hi_u32 s1, s67, s1
	v_addc_co_u32_e32 v162, vcc, v2, v49, vcc
	v_lshlrev_b64 v[50:51], 2, v[8:9]
	s_add_i32 s1, s67, s1
	v_add_co_u32_e32 v163, vcc, s10, v50
	v_writelane_b32 v255, s1, 36
	s_lshl_b64 s[2:3], s[40:41], 1
	v_addc_co_u32_e32 v164, vcc, v2, v51, vcc
	v_lshlrev_b32_e32 v2, 1, v32
	s_movk_i32 s0, 0x1100
	v_writelane_b32 v255, s2, 37
	v_and_b32_e32 v52, 62, v2
	v_mbcnt_lo_u32_b32 v195, -1, 0
	v_writelane_b32 v255, s3, 38
	s_lshl_b64 s[64:65], s[26:27], 8
	s_lshl_b64 s[66:67], s[36:37], 8
	s_mov_b32 s41, 0x3fb8aa3b
	s_mov_b32 s60, 0xc2ce8ed0
	;; [unrolled: 1-line block ×5, first 2 shown]
	v_add_u32_e32 v165, 0, v18
	s_movk_i32 s30, 0x80
	v_mad_u32_u24 v166, v92, s0, v95
	v_mov_b32_e32 v167, 0
	v_mul_u32_u24_e32 v168, 0x90, v96
	v_add_u32_e32 v169, 8, v96
	v_lshl_add_u32 v170, v52, 1, 0
	v_add_u32_e32 v171, 0x1100, v99
	v_add_u32_e32 v172, 0x2200, v99
	;; [unrolled: 1-line block ×6, first 2 shown]
	v_lshrrev_b32_e32 v177, 2, v91
	v_add_u32_e32 v178, 0x440, v139
	v_lshrrev_b32_e32 v179, 2, v90
	v_add_u32_e32 v180, 0x880, v139
	;; [unrolled: 2-line block ×3, first 2 shown]
	v_lshrrev_b32_e32 v183, 2, v87
	v_lshrrev_b32_e32 v184, 2, v86
	;; [unrolled: 1-line block ×12, first 2 shown]
	v_lshlrev_b32_e32 v54, 4, v1
	v_mbcnt_hi_u32_b32 v196, -1, v195
	v_mov_b32_e32 v197, 0x7f800000
	v_and_b32_e32 v56, 3, v32
	v_mad_u64_u32 v[58:59], s[0:1], v30, s72, v[32:33]
	s_branch .LBB24_13
.LBB24_12:                              ;   in Loop: Header=BB24_13 Depth=1
	s_or_b64 exec, exec, s[2:3]
	s_add_i32 s0, s50, s7
	s_abs_i32 s2, s0
	s_mul_hi_u32 s3, s2, s54
	s_mul_i32 s3, s3, s55
	s_sub_i32 s2, s2, s3
	s_ashr_i32 s1, s0, 31
	s_sub_i32 s3, s2, s55
	s_cmp_ge_u32 s2, s55
	s_cselect_b32 s2, s3, s2
	s_sub_i32 s3, s2, s55
	s_cmp_ge_u32 s2, s55
	s_cselect_b32 s2, s3, s2
	s_xor_b32 s2, s2, s1
	s_sub_i32 s1, s1, s2
	s_add_i32 s50, s0, s1
	v_readlane_b32 s0, v255, 9
	s_mov_b32 s2, s0
	s_sub_i32 s0, s0, s50
	s_min_i32 s46, s7, s0
	s_cmp_gt_i32 s2, s50
	v_readlane_b32 s1, v255, 10
	s_cselect_b64 s[2:3], -1, 0
	s_cmp_le_i32 s7, s0
	s_cselect_b64 s[0:1], -1, 0
	s_and_b64 s[0:1], s[0:1], s[2:3]
	s_mov_b32 s34, 0
	s_and_b64 vcc, exec, s[0:1]
	s_cbranch_vccz .LBB24_359
.LBB24_13:                              ; =>This Loop Header: Depth=1
                                        ;     Child Loop BB24_87 Depth 2
                                        ;     Child Loop BB24_255 Depth 2
	s_ashr_i32 s0, s50, 31
	v_readlane_b32 s1, v255, 31
	s_xor_b32 s0, s0, s1
	s_abs_i32 s1, s50
	v_readlane_b32 s2, v255, 32
	s_mul_hi_u32 s2, s1, s2
	s_mul_i32 s3, s2, s47
	s_sub_i32 s1, s1, s3
	s_add_i32 s3, s2, 1
	s_sub_i32 s4, s1, s47
	s_cmp_ge_u32 s1, s47
	s_cselect_b32 s2, s3, s2
	s_cselect_b32 s1, s4, s1
	s_add_i32 s3, s2, 1
	s_cmp_ge_u32 s1, s47
	s_cselect_b32 s1, s3, s2
	s_xor_b32 s1, s1, s0
	s_sub_i32 s2, s1, s0
	v_readlane_b32 s0, v255, 3
	s_mul_i32 s0, s2, s0
	s_sub_i32 s0, s50, s0
	s_ashr_i32 s1, s0, 31
	v_readlane_b32 s3, v255, 33
	s_xor_b32 s1, s1, s3
	s_abs_i32 s3, s0
	v_readlane_b32 s4, v255, 34
	s_mul_hi_u32 s4, s3, s4
	s_mul_i32 s5, s4, s6
	s_sub_i32 s3, s3, s5
	s_add_i32 s5, s4, 1
	s_sub_i32 s35, s3, s6
	s_cmp_ge_u32 s3, s6
	s_cselect_b32 s4, s5, s4
	s_cselect_b32 s3, s35, s3
	s_add_i32 s5, s4, 1
	s_cmp_ge_u32 s3, s6
	s_cselect_b32 s3, s5, s4
	s_xor_b32 s3, s3, s1
	s_sub_i32 s3, s3, s1
	v_readlane_b32 s1, v255, 2
	s_mul_i32 s1, s3, s1
	s_sub_i32 s1, s0, s1
	;; [unrolled: 21-line block ×3, first 2 shown]
	s_ashr_i32 s4, s1, 31
	v_readlane_b32 s5, v255, 18
	s_abs_i32 s1, s1
	s_xor_b32 s4, s4, s5
	s_mul_hi_u32 s5, s1, s54
	s_mul_i32 s35, s5, s55
	s_sub_i32 s1, s1, s35
	s_add_i32 s35, s5, 1
	s_sub_i32 s38, s1, s55
	s_cmp_ge_u32 s1, s55
	s_cselect_b32 s5, s35, s5
	s_cselect_b32 s1, s38, s1
	s_add_i32 s35, s5, 1
	s_cmp_ge_u32 s1, s55
	s_cselect_b32 s1, s35, s5
	v_readlane_b32 s38, v255, 22
	s_xor_b32 s1, s1, s4
	v_readlane_b32 s39, v255, 23
	s_andn2_b64 vcc, exec, s[38:39]
	s_sub_i32 s94, s1, s4
	s_cbranch_vccnz .LBB24_15
; %bb.14:                               ;   in Loop: Header=BB24_13 Depth=1
	v_readlane_b32 s1, v255, 0
	s_mul_i32 s1, s2, s1
	s_add_i32 s4, s94, s1
	s_ashr_i32 s5, s4, 31
	s_lshl_b64 s[4:5], s[4:5], 2
	s_add_u32 s4, s18, s4
	s_addc_u32 s5, s19, s5
	global_load_dword v1, v167, s[4:5]
	s_waitcnt vmcnt(0)
	v_readfirstlane_b32 s1, v1
	s_ashr_i32 s4, s1, 31
	s_lshr_b32 s4, s4, 26
	s_add_i32 s1, s1, s4
	s_ashr_i32 s1, s1, 6
	s_min_i32 s46, s46, s1
.LBB24_15:                              ;   in Loop: Header=BB24_13 Depth=1
	v_readlane_b32 s38, v255, 6
	v_readlane_b32 s39, v255, 7
	s_mul_i32 s1, s3, s33
	s_lshl_b32 s35, s0, 2
	s_mul_i32 s0, s2, s39
	s_add_i32 s4, s35, s1
	s_ashr_i32 s1, s0, 31
	s_add_u32 s0, s8, s0
	s_mul_i32 s5, s4, s38
	s_addc_u32 s1, s9, s1
	s_ashr_i32 s38, s5, 31
	s_add_u32 s88, s0, s5
	s_addc_u32 s89, s1, s38
	s_ashr_i32 s5, s2, 31
	s_mul_i32 s0, s2, s29
	s_mul_hi_u32 s1, s2, s28
	s_add_i32 s0, s1, s0
	s_mul_i32 s1, s5, s28
	s_add_i32 s38, s0, s1
	s_mul_i32 s0, s2, s28
	v_writelane_b32 v255, s0, 39
	v_readlane_b32 s42, v255, 16
	v_readlane_b32 s43, v255, 17
	s_add_u32 s0, s10, s0
	s_mul_i32 s54, s3, s43
	s_addc_u32 s1, s11, s38
	s_ashr_i32 s86, s54, 31
	s_add_u32 s44, s0, s54
	s_addc_u32 s45, s1, s86
	s_abs_i32 s0, s2
	v_mul_hi_u32 v1, s0, v108
	v_mul_lo_u32 v1, v1, s59
	v_sub_u32_e32 v1, s0, v1
	v_subrev_u32_e32 v2, s59, v1
	v_cmp_le_u32_e32 vcc, s59, v1
	v_cndmask_b32_e32 v1, v1, v2, vcc
	v_subrev_u32_e32 v2, s59, v1
	v_cmp_le_u32_e32 vcc, s59, v1
	v_cndmask_b32_e32 v1, v1, v2, vcc
	v_xor_b32_e32 v1, s5, v1
	v_subrev_u32_e32 v1, s5, v1
	v_ashrrev_i32_e32 v2, 31, v1
	v_readlane_b32 s0, v255, 14
	v_mul_hi_u32 v4, v1, s0
	v_mul_lo_u32 v2, v2, s0
	v_mul_lo_u32 v60, v1, s0
	s_mul_i32 s0, s24, s25
	s_mul_i32 s0, s0, s2
	s_add_i32 s0, s4, s0
	v_readlane_b32 s1, v255, 15
	s_lshl_b32 s62, s0, 6
	v_readlane_b32 s52, v255, 12
	v_mul_lo_u32 v3, v1, s1
	s_lshl_b64 s[0:1], s[62:63], 3
	v_readlane_b32 s53, v255, 13
	s_add_u32 s0, s20, s0
	s_mul_i32 s39, s2, s53
	s_mul_hi_u32 s42, s2, s52
	s_addc_u32 s1, s21, s1
	s_add_i32 s39, s42, s39
	s_mul_i32 s5, s5, s52
	s_add_i32 s62, s39, s5
	s_mul_i32 s2, s2, s52
	v_writelane_b32 v255, s2, 40
	s_add_u32 s2, s12, s2
	s_mul_i32 s39, s3, s31
	s_addc_u32 s5, s13, s62
	s_ashr_i32 s87, s39, 31
	s_add_u32 s42, s2, s39
	s_addc_u32 s43, s5, s87
	s_ashr_i32 s5, s4, 31
	s_lshl_b64 s[2:3], s[4:5], 2
	s_add_u32 s4, s16, s2
	v_add_u32_e32 v3, v4, v3
	s_addc_u32 s5, s17, s3
	v_readlane_b32 s2, v255, 20
	v_add_u32_e32 v61, v3, v2
	v_mov_b32_e32 v1, s15
	v_add_co_u32_e32 v199, vcc, s14, v60
	v_readlane_b32 s3, v255, 21
	v_addc_co_u32_e32 v198, vcc, v1, v61, vcc
	s_and_b64 s[2:3], s[2:3], exec
	v_or_b32_e32 v1, s35, v30
	s_cselect_b32 s69, 0, s5
	s_cselect_b32 s68, 0, s4
	s_cmp_lg_u32 s34, 0
	v_cmp_gt_i32_e32 vcc, s33, v1
	s_cbranch_scc0 .LBB24_82
; %bb.16:                               ;   in Loop: Header=BB24_13 Depth=1
	s_lshl_b32 s35, s94, 4
	v_add_u32_e32 v203, s35, v94
	v_cmp_le_i32_e64 s[2:3], s24, v203
	s_xor_b64 s[4:5], vcc, -1
	s_or_b64 s[2:3], s[2:3], s[4:5]
	s_and_saveexec_b64 s[52:53], s[2:3]
	s_xor_b64 s[2:3], exec, s[52:53]
	s_cbranch_execz .LBB24_18
; %bb.17:                               ;   in Loop: Header=BB24_13 Depth=1
	ds_write_b32 v139, v167
.LBB24_18:                              ;   in Loop: Header=BB24_13 Depth=1
	s_andn2_saveexec_b64 s[2:3], s[2:3]
	s_cbranch_execz .LBB24_20
; %bb.19:                               ;   in Loop: Header=BB24_13 Depth=1
	v_mad_u64_u32 v[2:3], s[52:53], v203, s51, v[58:59]
	v_ashrrev_i32_e32 v3, 31, v2
	v_lshlrev_b64 v[2:3], 3, v[2:3]
	v_mov_b32_e32 v4, s89
	v_add_co_u32_e32 v2, vcc, s88, v2
	v_addc_co_u32_e32 v3, vcc, v4, v3, vcc
	global_load_dwordx2 v[2:3], v[2:3], off
	s_waitcnt vmcnt(0)
	v_cvt_f16_f32_e32 v2, v2
	v_cvt_f16_f32_e32 v3, v3
	v_pack_b32_f16 v2, v2, v3
	v_pk_mul_f16 v2, v93, v2
	ds_write_b32 v139, v2
.LBB24_20:                              ;   in Loop: Header=BB24_13 Depth=1
	s_or_b64 exec, exec, s[2:3]
	v_add_u32_e32 v202, s35, v177
	v_cmp_le_i32_e32 vcc, s24, v202
	s_or_b64 s[2:3], vcc, s[4:5]
	s_and_saveexec_b64 s[52:53], s[2:3]
	s_xor_b64 s[2:3], exec, s[52:53]
	s_cbranch_execz .LBB24_22
; %bb.21:                               ;   in Loop: Header=BB24_13 Depth=1
	ds_write_b32 v178, v167
.LBB24_22:                              ;   in Loop: Header=BB24_13 Depth=1
	s_andn2_saveexec_b64 s[2:3], s[2:3]
	s_cbranch_execz .LBB24_24
; %bb.23:                               ;   in Loop: Header=BB24_13 Depth=1
	v_mad_u64_u32 v[2:3], s[52:53], v202, s51, v[58:59]
	v_ashrrev_i32_e32 v3, 31, v2
	v_lshlrev_b64 v[2:3], 3, v[2:3]
	v_mov_b32_e32 v4, s89
	v_add_co_u32_e32 v2, vcc, s88, v2
	v_addc_co_u32_e32 v3, vcc, v4, v3, vcc
	global_load_dwordx2 v[2:3], v[2:3], off
	s_waitcnt vmcnt(0)
	v_cvt_f16_f32_e32 v2, v2
	v_cvt_f16_f32_e32 v3, v3
	v_pack_b32_f16 v2, v2, v3
	v_pk_mul_f16 v2, v93, v2
	ds_write_b32 v178, v2
.LBB24_24:                              ;   in Loop: Header=BB24_13 Depth=1
	s_or_b64 exec, exec, s[2:3]
	v_add_u32_e32 v201, s35, v179
	v_cmp_le_i32_e32 vcc, s24, v201
	s_or_b64 s[2:3], vcc, s[4:5]
	;; [unrolled: 27-line block ×4, first 2 shown]
	s_and_saveexec_b64 s[52:53], s[2:3]
	s_xor_b64 s[2:3], exec, s[52:53]
	s_cbranch_execz .LBB24_34
; %bb.33:                               ;   in Loop: Header=BB24_13 Depth=1
	ds_write_b32 v182, v167 offset:1088
.LBB24_34:                              ;   in Loop: Header=BB24_13 Depth=1
	s_andn2_saveexec_b64 s[2:3], s[2:3]
	s_cbranch_execz .LBB24_36
; %bb.35:                               ;   in Loop: Header=BB24_13 Depth=1
	v_mad_u64_u32 v[2:3], s[52:53], v80, s51, v[58:59]
	v_ashrrev_i32_e32 v3, 31, v2
	v_lshlrev_b64 v[2:3], 3, v[2:3]
	v_mov_b32_e32 v4, s89
	v_add_co_u32_e32 v2, vcc, s88, v2
	v_addc_co_u32_e32 v3, vcc, v4, v3, vcc
	global_load_dwordx2 v[2:3], v[2:3], off
	s_waitcnt vmcnt(0)
	v_cvt_f16_f32_e32 v2, v2
	v_cvt_f16_f32_e32 v3, v3
	v_pack_b32_f16 v2, v2, v3
	v_pk_mul_f16 v2, v93, v2
	ds_write_b32 v182, v2 offset:1088
.LBB24_36:                              ;   in Loop: Header=BB24_13 Depth=1
	s_or_b64 exec, exec, s[2:3]
	v_add_u32_e32 v78, s35, v184
	v_cmp_le_i32_e32 vcc, s24, v78
	s_or_b64 s[2:3], vcc, s[4:5]
	s_and_saveexec_b64 s[52:53], s[2:3]
	s_xor_b64 s[2:3], exec, s[52:53]
	s_cbranch_execz .LBB24_38
; %bb.37:                               ;   in Loop: Header=BB24_13 Depth=1
	ds_write_b32 v182, v167 offset:2176
.LBB24_38:                              ;   in Loop: Header=BB24_13 Depth=1
	s_andn2_saveexec_b64 s[2:3], s[2:3]
	s_cbranch_execz .LBB24_40
; %bb.39:                               ;   in Loop: Header=BB24_13 Depth=1
	v_mad_u64_u32 v[2:3], s[52:53], v78, s51, v[58:59]
	v_ashrrev_i32_e32 v3, 31, v2
	v_lshlrev_b64 v[2:3], 3, v[2:3]
	v_mov_b32_e32 v4, s89
	v_add_co_u32_e32 v2, vcc, s88, v2
	v_addc_co_u32_e32 v3, vcc, v4, v3, vcc
	global_load_dwordx2 v[2:3], v[2:3], off
	s_waitcnt vmcnt(0)
	v_cvt_f16_f32_e32 v2, v2
	v_cvt_f16_f32_e32 v3, v3
	v_pack_b32_f16 v2, v2, v3
	v_pk_mul_f16 v2, v93, v2
	ds_write_b32 v182, v2 offset:2176
.LBB24_40:                              ;   in Loop: Header=BB24_13 Depth=1
	s_or_b64 exec, exec, s[2:3]
	v_add_u32_e32 v76, s35, v185
	v_cmp_le_i32_e32 vcc, s24, v76
	s_or_b64 s[2:3], vcc, s[4:5]
	;; [unrolled: 27-line block ×11, first 2 shown]
	s_and_saveexec_b64 s[4:5], s[2:3]
	s_xor_b64 s[2:3], exec, s[4:5]
	s_cbranch_execz .LBB24_78
; %bb.77:                               ;   in Loop: Header=BB24_13 Depth=1
	ds_write_b32 v182, v167 offset:13056
.LBB24_78:                              ;   in Loop: Header=BB24_13 Depth=1
	s_andn2_saveexec_b64 s[2:3], s[2:3]
	s_cbranch_execz .LBB24_80
; %bb.79:                               ;   in Loop: Header=BB24_13 Depth=1
	v_mad_u64_u32 v[2:3], s[4:5], v59, s51, v[58:59]
	v_ashrrev_i32_e32 v3, 31, v2
	v_lshlrev_b64 v[2:3], 3, v[2:3]
	v_mov_b32_e32 v4, s89
	v_add_co_u32_e32 v2, vcc, s88, v2
	v_addc_co_u32_e32 v3, vcc, v4, v3, vcc
	global_load_dwordx2 v[2:3], v[2:3], off
	s_waitcnt vmcnt(0)
	v_cvt_f16_f32_e32 v2, v2
	v_cvt_f16_f32_e32 v3, v3
	v_pack_b32_f16 v2, v2, v3
	v_pk_mul_f16 v2, v93, v2
	ds_write_b32 v182, v2 offset:13056
.LBB24_80:                              ;   in Loop: Header=BB24_13 Depth=1
	s_or_b64 exec, exec, s[2:3]
	s_waitcnt lgkmcnt(0)
	s_barrier
	ds_read2_b64 v[14:17], v166 offset1:4
	ds_read2_b64 v[10:13], v166 offset0:8 offset1:12
	ds_read2_b64 v[6:9], v166 offset0:16 offset1:20
	;; [unrolled: 1-line block ×3, first 2 shown]
	s_add_i32 s4, s46, -1
	v_add_u32_e32 v19, s35, v96
	v_add_u32_e32 v18, s35, v169
	v_readlane_b32 s52, v255, 24
	s_cmp_gt_i32 s4, s34
	v_readlane_b32 s53, v255, 25
	v_mul_hi_u32 v21, s52, v19
	v_mul_hi_u32 v20, s52, v18
	s_waitcnt lgkmcnt(0)
	s_barrier
	s_cbranch_scc1 .LBB24_84
; %bb.81:                               ;   in Loop: Header=BB24_13 Depth=1
	v_add_u32_e32 v22, v19, v21
	v_lshrrev_b32_e32 v22, s53, v22
	v_mul_lo_u32 v22, v22, s24
	v_sub_u32_e32 v22, v19, v22
	v_mad_i64_i32 v[62:63], s[2:3], v22, s40, 0
	v_add_u32_e32 v22, v18, v20
	v_lshrrev_b32_e32 v22, s53, v22
	v_mul_lo_u32 v22, v22, s24
	v_sub_u32_e32 v22, v18, v22
	v_mad_i64_i32 v[64:65], s[2:3], v22, s40, 0
	v_and_b32_e32 v22, 64, v196
	s_mov_b32 s5, 0
	v_add_u32_e32 v66, 64, v22
	v_xor_b32_e32 v67, 32, v196
	v_xor_b32_e32 v68, 16, v196
	s_mov_b64 s[2:3], 0
	s_mov_b32 s35, 0xfeffffff
	s_branch .LBB24_85
.LBB24_82:                              ;   in Loop: Header=BB24_13 Depth=1
	s_mov_b64 s[4:5], 0
                                        ; implicit-def: $vgpr2_vgpr3
                                        ; implicit-def: $vgpr59
	s_cbranch_execnz .LBB24_186
.LBB24_83:                              ;   in Loop: Header=BB24_13 Depth=1
	v_readlane_b32 s42, v255, 24
	v_readlane_b32 s44, v255, 26
	;; [unrolled: 1-line block ×5, first 2 shown]
	s_and_saveexec_b64 s[2:3], s[4:5]
	s_cbranch_execz .LBB24_12
	s_branch .LBB24_358
.LBB24_84:                              ;   in Loop: Header=BB24_13 Depth=1
	s_mov_b64 s[2:3], -1
                                        ; implicit-def: $sgpr5
                                        ; implicit-def: $sgpr35
                                        ; implicit-def: $vgpr62_vgpr63
                                        ; implicit-def: $vgpr64_vgpr65
                                        ; implicit-def: $vgpr66
                                        ; implicit-def: $vgpr67
                                        ; implicit-def: $vgpr68
.LBB24_85:                              ;   in Loop: Header=BB24_13 Depth=1
	s_andn2_b64 vcc, exec, s[2:3]
	v_mov_b32_e32 v208, s5
	v_mov_b32_e32 v27, s5
	;; [unrolled: 1-line block ×19, first 2 shown]
	s_cbranch_vccnz .LBB24_88
; %bb.86:                               ;   in Loop: Header=BB24_13 Depth=1
	v_readlane_b32 s52, v255, 24
	v_add_u32_e32 v21, v19, v21
	v_readlane_b32 s53, v255, 25
	v_lshrrev_b32_e32 v21, s53, v21
	v_mul_lo_u32 v21, v21, s24
	v_sub_u32_e32 v19, v19, v21
	v_mad_i64_i32 v[62:63], s[2:3], v19, s40, 0
	v_add_u32_e32 v19, v18, v20
	v_lshrrev_b32_e32 v19, s53, v19
	v_mul_lo_u32 v19, v19, s24
	v_lshlrev_b32_e32 v22, 1, v52
	v_sub_u32_e32 v18, v18, v19
	v_mbcnt_hi_u32_b32 v69, -1, v195
	v_add_co_u32_e32 v204, vcc, v199, v22
	v_mad_i64_i32 v[64:65], s[2:3], v18, s40, 0
	v_and_b32_e32 v18, 64, v69
	v_addc_co_u32_e32 v205, vcc, 0, v198, vcc
	v_add_u32_e32 v66, 64, v18
	v_xor_b32_e32 v67, 32, v69
	v_cmp_lt_i32_e32 vcc, v67, v66
	v_xor_b32_e32 v68, 16, v69
	v_cndmask_b32_e32 v18, v69, v67, vcc
	v_cmp_lt_i32_e32 vcc, v68, v66
	v_lshlrev_b32_e32 v206, 2, v18
	v_cndmask_b32_e32 v18, v69, v68, vcc
	v_mov_b32_e32 v222, 0
	v_lshlrev_b32_e32 v207, 2, v18
	s_lshl_b32 s2, s34, 6
	v_mov_b32_e32 v27, 0
	v_mov_b32_e32 v26, 0xfeffffff
	;; [unrolled: 1-line block ×17, first 2 shown]
.LBB24_87:                              ;   Parent Loop BB24_13 Depth=1
                                        ; =>  This Inner Loop Header: Depth=2
	s_ashr_i32 s3, s2, 31
	s_lshl_b64 s[52:53], s[2:3], 1
	s_nop 1
	v_add_co_u32_e32 v20, vcc, s52, v204
	v_mov_b32_e32 v18, s53
	v_addc_co_u32_e32 v21, vcc, v205, v18, vcc
	v_lshlrev_b64 v[18:19], 1, v[62:63]
	v_add_co_u32_e32 v18, vcc, v20, v18
	v_addc_co_u32_e32 v19, vcc, v21, v19, vcc
	global_load_dword v18, v[18:19], off
	v_add_u32_e32 v22, v170, v168
	s_mul_hi_i32 s53, s2, s36
	s_mul_i32 s52, s2, s36
	s_lshl_b64 s[52:53], s[52:53], 2
	s_add_u32 s3, s44, s52
	s_addc_u32 s5, s45, s53
	v_add_u32_e32 v141, 0x1000, v95
	v_mov_b32_e32 v225, v26
	v_mov_b32_e32 v224, v27
	v_add_u32_e32 v144, 0x4400, v174
	s_mul_hi_i32 s53, s2, s26
	s_mul_i32 s52, s2, s26
	s_lshl_b64 s[52:53], s[52:53], 2
	s_waitcnt vmcnt(0)
	ds_write_b32 v22, v18 offset:17408
	v_lshlrev_b64 v[18:19], 1, v[64:65]
	v_add_co_u32_e32 v18, vcc, v20, v18
	v_addc_co_u32_e32 v19, vcc, v21, v19, vcc
	global_load_dword v18, v[18:19], off
	v_mov_b32_e32 v19, s5
	s_waitcnt vmcnt(0)
	ds_write_b32 v22, v18 offset:18560
	v_add_co_u32_e32 v18, vcc, s3, v44
	v_addc_co_u32_e32 v19, vcc, v19, v45, vcc
	v_add_co_u32_e32 v18, vcc, v18, v110
	v_addc_co_u32_e32 v19, vcc, 0, v19, vcc
	global_load_dwordx4 v[18:21], v[18:19], off
	s_waitcnt vmcnt(0)
	ds_write_b128 v99, v[18:21]
	v_add_co_u32_e32 v18, vcc, s3, v46
	v_mov_b32_e32 v19, s5
	v_addc_co_u32_e32 v19, vcc, v19, v47, vcc
	v_add_co_u32_e32 v18, vcc, v18, v110
	v_addc_co_u32_e32 v19, vcc, 0, v19, vcc
	global_load_dwordx4 v[18:21], v[18:19], off
	s_waitcnt vmcnt(0)
	ds_write_b128 v171, v[18:21]
	v_add_co_u32_e32 v18, vcc, s3, v48
	v_mov_b32_e32 v19, s5
	;; [unrolled: 8-line block ×3, first 2 shown]
	v_addc_co_u32_e32 v19, vcc, v19, v51, vcc
	v_add_co_u32_e32 v18, vcc, v18, v110
	v_addc_co_u32_e32 v19, vcc, 0, v19, vcc
	global_load_dwordx4 v[18:21], v[18:19], off
	s_add_u32 s3, s42, s52
	s_addc_u32 s5, s43, s53
	s_add_i32 s34, s34, 1
	s_add_i32 s2, s2, 64
	s_cmp_lt_i32 s34, s4
	s_waitcnt vmcnt(0)
	ds_write_b128 v173, v[18:21]
	s_waitcnt lgkmcnt(0)
	s_barrier
	ds_read2_b64 v[18:21], v95 offset1:4
	s_waitcnt lgkmcnt(0)
	v_mfma_f32_16x16x16f16 v[22:25], v[18:19], v[14:15], 0
	v_mfma_f32_16x16x16f16 v[18:21], v[20:21], v[16:17], v[22:25]
	s_nop 7
	s_nop 1
	ds_read2_b64 v[22:25], v95 offset0:8 offset1:12
	s_waitcnt lgkmcnt(0)
	v_mfma_f32_16x16x16f16 v[18:21], v[22:23], v[10:11], v[18:21]
	v_mfma_f32_16x16x16f16 v[18:21], v[24:25], v[12:13], v[18:21]
	ds_read2_b64 v[22:25], v95 offset0:16 offset1:20
	s_waitcnt lgkmcnt(0)
	v_mfma_f32_16x16x16f16 v[18:21], v[22:23], v[6:7], v[18:21]
	v_mfma_f32_16x16x16f16 v[18:21], v[24:25], v[8:9], v[18:21]
	;; [unrolled: 4-line block ×4, first 2 shown]
	s_nop 7
	s_nop 1
	ds_read2_b64 v[26:29], v141 offset0:40 offset1:44
	s_waitcnt lgkmcnt(0)
	v_mfma_f32_16x16x16f16 v[22:25], v[26:27], v[10:11], v[22:25]
	v_mfma_f32_16x16x16f16 v[22:25], v[28:29], v[12:13], v[22:25]
	ds_read2_b64 v[26:29], v141 offset0:48 offset1:52
	s_waitcnt lgkmcnt(0)
	v_mfma_f32_16x16x16f16 v[22:25], v[26:27], v[6:7], v[22:25]
	v_mfma_f32_16x16x16f16 v[22:25], v[28:29], v[8:9], v[22:25]
	ds_read2_b64 v[26:29], v141 offset0:56 offset1:60
	v_add_u32_e32 v141, 0x2000, v95
	s_waitcnt lgkmcnt(0)
	v_mfma_f32_16x16x16f16 v[22:25], v[26:27], v[2:3], v[22:25]
	v_mfma_f32_16x16x16f16 v[22:25], v[28:29], v[4:5], v[22:25]
	ds_read2_b64 v[26:29], v141 offset0:64 offset1:68
	s_waitcnt lgkmcnt(0)
	v_mfma_f32_16x16x16f16 v[226:229], v[26:27], v[14:15], 0
	v_mfma_f32_16x16x16f16 v[26:29], v[28:29], v[16:17], v[226:229]
	s_nop 7
	s_nop 1
	ds_read2_b64 v[226:229], v141 offset0:72 offset1:76
	s_waitcnt lgkmcnt(0)
	v_mfma_f32_16x16x16f16 v[26:29], v[226:227], v[10:11], v[26:29]
	v_mfma_f32_16x16x16f16 v[26:29], v[228:229], v[12:13], v[26:29]
	ds_read2_b64 v[226:229], v141 offset0:80 offset1:84
	s_waitcnt lgkmcnt(0)
	v_mfma_f32_16x16x16f16 v[26:29], v[226:227], v[6:7], v[26:29]
	v_mfma_f32_16x16x16f16 v[26:29], v[228:229], v[8:9], v[26:29]
	ds_read2_b64 v[226:229], v141 offset0:88 offset1:92
	v_add_u32_e32 v141, 0x3000, v95
	s_waitcnt lgkmcnt(0)
	v_mfma_f32_16x16x16f16 v[26:29], v[226:227], v[2:3], v[26:29]
	v_mfma_f32_16x16x16f16 v[26:29], v[228:229], v[4:5], v[26:29]
	ds_read2_b64 v[226:229], v141 offset0:96 offset1:100
	s_waitcnt lgkmcnt(0)
	v_mfma_f32_16x16x16f16 v[230:233], v[226:227], v[14:15], 0
	v_mfma_f32_16x16x16f16 v[226:229], v[228:229], v[16:17], v[230:233]
	s_nop 7
	s_nop 1
	ds_read2_b64 v[230:233], v141 offset0:104 offset1:108
	s_waitcnt lgkmcnt(0)
	v_mfma_f32_16x16x16f16 v[226:229], v[230:231], v[10:11], v[226:229]
	v_mfma_f32_16x16x16f16 v[226:229], v[232:233], v[12:13], v[226:229]
	ds_read2_b64 v[230:233], v141 offset0:112 offset1:116
	s_waitcnt lgkmcnt(0)
	v_mfma_f32_16x16x16f16 v[226:229], v[230:231], v[6:7], v[226:229]
	v_mfma_f32_16x16x16f16 v[226:229], v[232:233], v[8:9], v[226:229]
	ds_read2_b64 v[230:233], v141 offset0:120 offset1:124
	s_waitcnt lgkmcnt(0)
	s_barrier
	ds_read_b32 v141, v100 offset:17408
	ds_read_b32 v142, v101 offset:17408
	v_mfma_f32_16x16x16f16 v[226:229], v[230:231], v[2:3], v[226:229]
	ds_read2_b32 v[230:231], v144 offset1:1
	v_add_u32_e32 v144, 0x4400, v175
	v_mfma_f32_16x16x16f16 v[226:229], v[232:233], v[4:5], v[226:229]
	ds_read2_b32 v[232:233], v144 offset1:1
	v_add_u32_e32 v144, 0x4400, v176
	ds_read2_b32 v[234:235], v144 offset1:1
	s_waitcnt lgkmcnt(0)
	v_cvt_f32_f16_e32 v236, v235
	v_cvt_f32_f16_sdwa v237, v235 dst_sel:DWORD dst_unused:UNUSED_PAD src0_sel:WORD_1
	v_cvt_f32_f16_sdwa v235, v233 dst_sel:DWORD dst_unused:UNUSED_PAD src0_sel:WORD_1
	s_nop 3
	v_pk_add_f32 v[228:229], v[228:229], v[236:237]
	v_cvt_f32_f16_e32 v236, v234
	v_cvt_f32_f16_sdwa v237, v234 dst_sel:DWORD dst_unused:UNUSED_PAD src0_sel:WORD_1
	v_cvt_f32_f16_e32 v234, v233
	v_add_f32_e32 v144, 0x40051340, v228
	v_add_f32_e32 v145, 0x40051340, v229
	v_pk_add_f32 v[226:227], v[226:227], v[236:237]
	v_pk_add_f32 v[28:29], v[28:29], v[234:235]
	v_cvt_f32_f16_e32 v234, v232
	v_cvt_f32_f16_sdwa v235, v232 dst_sel:DWORD dst_unused:UNUSED_PAD src0_sel:WORD_1
	v_add_f32_e32 v237, 0x40051340, v28
	v_add_f32_e32 v238, 0x40051340, v29
	;; [unrolled: 1-line block ×3, first 2 shown]
	v_pk_add_f32 v[232:233], v[26:27], v[234:235]
	v_cvt_f32_f16_e32 v26, v231
	v_cvt_f32_f16_sdwa v27, v231 dst_sel:DWORD dst_unused:UNUSED_PAD src0_sel:WORD_1
	v_add_f32_e32 v234, 0x40051340, v232
	v_add_f32_e32 v235, 0x40051340, v233
	;; [unrolled: 1-line block ×3, first 2 shown]
	v_pk_add_f32 v[24:25], v[24:25], v[26:27]
	v_cvt_f32_f16_e32 v26, v230
	v_cvt_f32_f16_sdwa v27, v230 dst_sel:DWORD dst_unused:UNUSED_PAD src0_sel:WORD_1
	v_add_f32_e32 v231, 0x40051340, v24
	v_add_f32_e32 v239, 0x40051340, v25
	v_pk_add_f32 v[22:23], v[22:23], v[26:27]
	v_cvt_f32_f16_sdwa v27, v142 dst_sel:DWORD dst_unused:UNUSED_PAD src0_sel:WORD_1
	v_cvt_f32_f16_e32 v26, v142
	v_add_f32_e32 v230, 0x40051340, v22
	v_add_f32_e32 v240, 0x40051340, v23
	v_pk_add_f32 v[20:21], v[20:21], v[26:27]
	v_cvt_f32_f16_sdwa v27, v141 dst_sel:DWORD dst_unused:UNUSED_PAD src0_sel:WORD_1
	v_cvt_f32_f16_e32 v26, v141
	v_add_f32_e32 v142, 0x40051340, v20
	v_add_f32_e32 v241, 0x40051340, v21
	v_pk_add_f32 v[18:19], v[18:19], v[26:27]
	v_add_f32_e32 v26, 0x40051340, v18
	v_add_f32_e32 v27, 0x40051340, v19
	v_max3_f32 v26, v225, v26, v27
	v_max3_f32 v26, v26, v142, v241
	;; [unrolled: 1-line block ×8, first 2 shown]
	ds_bpermute_b32 v27, v206, v26
	s_waitcnt lgkmcnt(0)
	v_max_f32_e32 v27, v27, v27
	v_max_f32_e32 v26, v26, v27
	ds_bpermute_b32 v27, v207, v26
	s_waitcnt lgkmcnt(0)
	v_max_f32_e32 v27, v27, v27
	v_max_f32_e32 v26, v26, v27
	v_pk_add_f32 v[18:19], v[18:19], v[26:27] op_sel_hi:[1,0] neg_lo:[0,1] neg_hi:[0,1]
	v_mul_f32_e32 v27, 0x3fb8aa3b, v19
	v_fma_f32 v141, v19, s41, -v27
	v_rndne_f32_e32 v142, v27
	v_fmac_f32_e32 v141, 0x32a5705f, v19
	v_sub_f32_e32 v27, v27, v142
	v_add_f32_e32 v27, v27, v141
	v_exp_f32_e32 v27, v27
	v_cvt_i32_f32_e32 v141, v142
	v_cmp_ngt_f32_e32 vcc, s60, v19
	v_ldexp_f32 v27, v27, v141
	v_cndmask_b32_e32 v27, 0, v27, vcc
	v_cmp_nlt_f32_e32 vcc, s61, v19
	v_mul_f32_e32 v19, 0x3fb8aa3b, v18
	v_cndmask_b32_e32 v141, v197, v27, vcc
	v_fma_f32 v27, v18, s41, -v19
	v_rndne_f32_e32 v142, v19
	v_fmac_f32_e32 v27, 0x32a5705f, v18
	v_sub_f32_e32 v19, v19, v142
	v_add_f32_e32 v19, v19, v27
	v_exp_f32_e32 v19, v19
	v_cvt_i32_f32_e32 v27, v142
	v_cmp_ngt_f32_e32 vcc, s60, v18
	v_ldexp_f32 v19, v19, v27
	v_cndmask_b32_e32 v19, 0, v19, vcc
	v_cmp_nlt_f32_e32 vcc, s61, v18
	v_cndmask_b32_e32 v142, v197, v19, vcc
	v_pk_add_f32 v[18:19], v[20:21], v[26:27] op_sel_hi:[1,0] neg_lo:[0,1] neg_hi:[0,1]
	v_mul_f32_e32 v20, 0x3fb8aa3b, v19
	v_fma_f32 v21, v19, s41, -v20
	v_rndne_f32_e32 v27, v20
	v_fmac_f32_e32 v21, 0x32a5705f, v19
	v_sub_f32_e32 v20, v20, v27
	v_add_f32_e32 v20, v20, v21
	v_exp_f32_e32 v20, v20
	v_cvt_i32_f32_e32 v21, v27
	v_cmp_ngt_f32_e32 vcc, s60, v19
	v_ldexp_f32 v20, v20, v21
	v_cndmask_b32_e32 v20, 0, v20, vcc
	v_cmp_nlt_f32_e32 vcc, s61, v19
	v_mul_f32_e32 v19, 0x3fb8aa3b, v18
	v_fma_f32 v21, v18, s41, -v19
	v_rndne_f32_e32 v27, v19
	v_fmac_f32_e32 v21, 0x32a5705f, v18
	v_sub_f32_e32 v19, v19, v27
	v_add_f32_e32 v19, v19, v21
	v_exp_f32_e32 v19, v19
	v_cvt_i32_f32_e32 v21, v27
	v_cndmask_b32_e32 v20, v197, v20, vcc
	v_cmp_ngt_f32_e32 vcc, s60, v18
	v_ldexp_f32 v19, v19, v21
	v_cndmask_b32_e32 v19, 0, v19, vcc
	v_cmp_nlt_f32_e32 vcc, s61, v18
	v_cndmask_b32_e32 v21, v197, v19, vcc
	v_pk_add_f32 v[18:19], v[22:23], v[26:27] op_sel_hi:[1,0] neg_lo:[0,1] neg_hi:[0,1]
	v_mul_f32_e32 v22, 0x3fb8aa3b, v19
	v_fma_f32 v23, v19, s41, -v22
	v_rndne_f32_e32 v27, v22
	v_fmac_f32_e32 v23, 0x32a5705f, v19
	v_sub_f32_e32 v22, v22, v27
	v_add_f32_e32 v22, v22, v23
	v_exp_f32_e32 v22, v22
	v_cvt_i32_f32_e32 v23, v27
	v_cmp_ngt_f32_e32 vcc, s60, v19
	v_ldexp_f32 v22, v22, v23
	v_cndmask_b32_e32 v22, 0, v22, vcc
	v_cmp_nlt_f32_e32 vcc, s61, v19
	v_mul_f32_e32 v19, 0x3fb8aa3b, v18
	v_fma_f32 v23, v18, s41, -v19
	v_rndne_f32_e32 v27, v19
	v_fmac_f32_e32 v23, 0x32a5705f, v18
	v_sub_f32_e32 v19, v19, v27
	v_add_f32_e32 v19, v19, v23
	v_exp_f32_e32 v19, v19
	v_cvt_i32_f32_e32 v23, v27
	v_cndmask_b32_e32 v22, v197, v22, vcc
	v_cmp_ngt_f32_e32 vcc, s60, v18
	v_ldexp_f32 v19, v19, v23
	v_cndmask_b32_e32 v19, 0, v19, vcc
	v_cmp_nlt_f32_e32 vcc, s61, v18
	v_cndmask_b32_e32 v23, v197, v19, vcc
	v_pk_add_f32 v[18:19], v[24:25], v[26:27] op_sel_hi:[1,0] neg_lo:[0,1] neg_hi:[0,1]
	v_mul_f32_e32 v24, 0x3fb8aa3b, v19
	v_fma_f32 v25, v19, s41, -v24
	v_rndne_f32_e32 v27, v24
	v_fmac_f32_e32 v25, 0x32a5705f, v19
	v_sub_f32_e32 v24, v24, v27
	v_add_f32_e32 v24, v24, v25
	v_exp_f32_e32 v24, v24
	v_cvt_i32_f32_e32 v25, v27
	v_cmp_ngt_f32_e32 vcc, s60, v19
	v_ldexp_f32 v24, v24, v25
	v_cndmask_b32_e32 v24, 0, v24, vcc
	v_cmp_nlt_f32_e32 vcc, s61, v19
	v_mul_f32_e32 v19, 0x3fb8aa3b, v18
	v_cndmask_b32_e32 v144, v197, v24, vcc
	v_fma_f32 v24, v18, s41, -v19
	v_rndne_f32_e32 v25, v19
	v_fmac_f32_e32 v24, 0x32a5705f, v18
	v_sub_f32_e32 v19, v19, v25
	v_add_f32_e32 v19, v19, v24
	v_exp_f32_e32 v19, v19
	v_cvt_i32_f32_e32 v24, v25
	v_cmp_ngt_f32_e32 vcc, s60, v18
	v_ldexp_f32 v19, v19, v24
	v_cndmask_b32_e32 v19, 0, v19, vcc
	v_cmp_nlt_f32_e32 vcc, s61, v18
	v_cndmask_b32_e32 v145, v197, v19, vcc
	v_pk_add_f32 v[18:19], v[232:233], v[26:27] op_sel_hi:[1,0] neg_lo:[0,1] neg_hi:[0,1]
	v_mul_f32_e32 v24, 0x3fb8aa3b, v19
	v_fma_f32 v25, v19, s41, -v24
	v_rndne_f32_e32 v27, v24
	v_fmac_f32_e32 v25, 0x32a5705f, v19
	v_sub_f32_e32 v24, v24, v27
	v_add_f32_e32 v24, v24, v25
	v_exp_f32_e32 v24, v24
	v_cvt_i32_f32_e32 v25, v27
	v_cmp_ngt_f32_e32 vcc, s60, v19
	v_ldexp_f32 v24, v24, v25
	v_cndmask_b32_e32 v24, 0, v24, vcc
	v_cmp_nlt_f32_e32 vcc, s61, v19
	v_mul_f32_e32 v19, 0x3fb8aa3b, v18
	v_cndmask_b32_e32 v146, v197, v24, vcc
	v_fma_f32 v24, v18, s41, -v19
	v_rndne_f32_e32 v25, v19
	v_fmac_f32_e32 v24, 0x32a5705f, v18
	v_sub_f32_e32 v19, v19, v25
	v_add_f32_e32 v19, v19, v24
	v_exp_f32_e32 v19, v19
	v_cvt_i32_f32_e32 v24, v25
	;; [unrolled: 27-line block ×4, first 2 shown]
	v_cmp_ngt_f32_e32 vcc, s60, v18
	v_ldexp_f32 v19, v19, v24
	v_cndmask_b32_e32 v19, 0, v19, vcc
	v_cmp_nlt_f32_e32 vcc, s61, v18
	v_cndmask_b32_e32 v227, v197, v19, vcc
	v_pk_add_f32 v[18:19], v[228:229], v[26:27] op_sel_hi:[1,0] neg_lo:[0,1] neg_hi:[0,1]
	v_mul_f32_e32 v24, 0x3fb8aa3b, v19
	v_fma_f32 v25, v19, s41, -v24
	v_rndne_f32_e32 v27, v24
	v_fmac_f32_e32 v25, 0x32a5705f, v19
	v_sub_f32_e32 v24, v24, v27
	v_add_f32_e32 v24, v24, v25
	v_exp_f32_e32 v24, v24
	v_cvt_i32_f32_e32 v25, v27
	v_cmp_ngt_f32_e32 vcc, s60, v19
	v_ldexp_f32 v24, v24, v25
	v_cndmask_b32_e32 v24, 0, v24, vcc
	v_cmp_nlt_f32_e32 vcc, s61, v19
	v_cndmask_b32_e32 v19, v197, v24, vcc
	v_mul_f32_e32 v24, 0x3fb8aa3b, v18
	v_fma_f32 v25, v18, s41, -v24
	v_rndne_f32_e32 v27, v24
	v_fmac_f32_e32 v25, 0x32a5705f, v18
	v_sub_f32_e32 v24, v24, v27
	v_add_f32_e32 v24, v24, v25
	v_exp_f32_e32 v24, v24
	v_cvt_i32_f32_e32 v25, v27
	v_cmp_ngt_f32_e32 vcc, s60, v18
	v_ldexp_f32 v24, v24, v25
	v_cndmask_b32_e32 v24, 0, v24, vcc
	v_cmp_nlt_f32_e32 vcc, s61, v18
	v_add_f32_e32 v18, v142, v141
	v_add_f32_e32 v18, v21, v18
	;; [unrolled: 1-line block ×12, first 2 shown]
	v_cndmask_b32_e32 v228, v197, v24, vcc
	v_add_f32_e32 v18, v226, v18
	v_add_f32_e32 v18, v228, v18
	;; [unrolled: 1-line block ×3, first 2 shown]
	v_sub_f32_e32 v18, v225, v26
	v_mul_f32_e32 v24, 0x3fb8aa3b, v18
	v_fma_f32 v25, v18, s41, -v24
	v_rndne_f32_e32 v28, v24
	v_fmac_f32_e32 v25, 0x32a5705f, v18
	v_sub_f32_e32 v24, v24, v28
	v_add_f32_e32 v24, v24, v25
	v_exp_f32_e32 v24, v24
	v_cvt_i32_f32_e32 v25, v28
	v_cmp_ngt_f32_e32 vcc, s60, v18
	v_cvt_f16_f32_e32 v19, v19
	v_ldexp_f32 v24, v24, v25
	v_cndmask_b32_e32 v24, 0, v24, vcc
	v_cmp_nlt_f32_e32 vcc, s61, v18
	v_cndmask_b32_e32 v24, v197, v24, vcc
	v_cmp_le_f32_e32 vcc, s48, v18
	v_cndmask_b32_e32 v18, 0, v24, vcc
	v_fmac_f32_e32 v27, v224, v18
	v_cvt_f16_f32_e32 v18, v18
	v_cvt_f16_f32_e32 v24, v142
	v_mov_b32_e32 v142, s5
	v_pk_mul_f16 v209, v18, v209 op_sel_hi:[0,1]
	v_pk_mul_f16 v208, v18, v208 op_sel_hi:[0,1]
	v_pk_mul_f16 v211, v18, v211 op_sel_hi:[0,1]
	v_pk_mul_f16 v210, v18, v210 op_sel_hi:[0,1]
	v_pk_mul_f16 v213, v18, v213 op_sel_hi:[0,1]
	v_pk_mul_f16 v212, v18, v212 op_sel_hi:[0,1]
	v_pk_mul_f16 v215, v18, v215 op_sel_hi:[0,1]
	v_pk_mul_f16 v214, v18, v214 op_sel_hi:[0,1]
	v_pk_mul_f16 v217, v18, v217 op_sel_hi:[0,1]
	v_pk_mul_f16 v216, v18, v216 op_sel_hi:[0,1]
	v_pk_mul_f16 v219, v18, v219 op_sel_hi:[0,1]
	v_pk_mul_f16 v218, v18, v218 op_sel_hi:[0,1]
	v_pk_mul_f16 v221, v18, v221 op_sel_hi:[0,1]
	v_pk_mul_f16 v220, v18, v220 op_sel_hi:[0,1]
	v_pk_mul_f16 v29, v18, v222 op_sel_hi:[0,1]
	v_pk_mul_f16 v28, v18, v223 op_sel_hi:[0,1]
	v_cvt_f16_f32_e32 v18, v141
	v_cvt_f16_f32_e32 v141, v227
	v_pack_b32_f16 v24, v24, v18
	v_cvt_f16_f32_e32 v18, v20
	v_cvt_f16_f32_e32 v20, v21
	;; [unrolled: 1-line block ×3, first 2 shown]
	v_pack_b32_f16 v25, v20, v18
	v_cvt_f16_f32_e32 v18, v22
	v_cvt_f16_f32_e32 v20, v23
	v_pack_b32_f16 v22, v20, v18
	v_cvt_f16_f32_e32 v18, v144
	v_cvt_f16_f32_e32 v20, v145
	;; [unrolled: 3-line block ×3, first 2 shown]
	v_pack_b32_f16 v20, v20, v18
	v_cvt_f16_f32_e32 v18, v231
	v_pack_b32_f16 v21, v21, v18
	v_cvt_f16_f32_e32 v18, v226
	v_pack_b32_f16 v18, v141, v18
	v_cvt_f16_f32_e32 v141, v228
	v_pack_b32_f16 v19, v141, v19
	v_add_co_u32_e32 v141, vcc, s3, v36
	v_addc_co_u32_e32 v142, vcc, v142, v37, vcc
	v_add_co_u32_e32 v222, vcc, v141, v110
	v_addc_co_u32_e32 v223, vcc, 0, v142, vcc
	global_load_dwordx4 v[222:225], v[222:223], off
	v_add_co_u32_e32 v141, vcc, s3, v38
	v_mov_b32_e32 v142, s5
	v_addc_co_u32_e32 v142, vcc, v142, v39, vcc
	v_add_co_u32_e32 v226, vcc, v141, v110
	v_addc_co_u32_e32 v227, vcc, 0, v142, vcc
	v_add_co_u32_e32 v141, vcc, s3, v40
	v_mov_b32_e32 v142, s5
	v_addc_co_u32_e32 v142, vcc, v142, v41, vcc
	v_add_co_u32_e32 v228, vcc, v141, v110
	v_addc_co_u32_e32 v229, vcc, 0, v142, vcc
	v_add_co_u32_e32 v141, vcc, s3, v42
	v_mov_b32_e32 v142, s5
	v_addc_co_u32_e32 v142, vcc, v142, v43, vcc
	v_add_co_u32_e32 v230, vcc, v141, v110
	v_addc_co_u32_e32 v231, vcc, 0, v142, vcc
	s_waitcnt vmcnt(0)
	ds_write_b128 v99, v[222:225]
	global_load_dwordx4 v[222:225], v[226:227], off
	s_waitcnt vmcnt(0)
	ds_write_b128 v171, v[222:225]
	global_load_dwordx4 v[222:225], v[228:229], off
	;; [unrolled: 3-line block ×3, first 2 shown]
	s_waitcnt vmcnt(0)
	ds_write_b128 v173, v[222:225]
	s_waitcnt lgkmcnt(0)
	s_barrier
	ds_read_u16 v141, v104 offset:544
	ds_read_u16 v142, v105
	ds_read_u16 v144, v105 offset:32
	v_cvt_f32_f16_e32 v222, v209
	v_cvt_f32_f16_sdwa v223, v209 dst_sel:DWORD dst_unused:UNUSED_PAD src0_sel:WORD_1
	v_cvt_f32_f16_e32 v224, v208
	s_waitcnt lgkmcnt(1)
	v_perm_b32 v209, v142, v141, s49
	ds_read_u16 v141, v102
	ds_read_u16 v142, v102 offset:32
	ds_read_u16 v145, v104 offset:272
	;; [unrolled: 1-line block ×3, first 2 shown]
	v_cvt_f32_f16_sdwa v225, v208 dst_sel:DWORD dst_unused:UNUSED_PAD src0_sel:WORD_1
	ds_read_u16 v226, v102 offset:4352
	ds_read_u16 v227, v104 offset:4624
	;; [unrolled: 1-line block ×4, first 2 shown]
	s_waitcnt lgkmcnt(5)
	v_perm_b32 v208, v145, v141, s49
	s_nop 1
	v_mfma_f32_16x16x16f16 v[222:225], v[208:209], v[24:25], v[222:225]
	s_nop 7
	s_nop 2
	v_cvt_f16_f32_e32 v208, v224
	v_cvt_f16_f32_e32 v209, v225
	;; [unrolled: 1-line block ×4, first 2 shown]
	v_cvt_f32_f16_e32 v224, v208
	v_cvt_f32_f16_e32 v225, v209
	s_waitcnt lgkmcnt(0)
	v_perm_b32 v209, v229, v228, s49
	v_perm_b32 v208, v227, v226, s49
	v_cvt_f32_f16_e32 v222, v141
	v_cvt_f32_f16_e32 v223, v145
	ds_read_u16 v226, v102 offset:8704
	ds_read_u16 v227, v104 offset:8976
	;; [unrolled: 1-line block ×4, first 2 shown]
	v_mfma_f32_16x16x16f16 v[222:225], v[208:209], v[22:23], v[222:225]
	s_nop 7
	s_nop 2
	v_cvt_f16_f32_e32 v208, v224
	v_cvt_f16_f32_e32 v209, v225
	v_cvt_f16_f32_e32 v141, v222
	v_cvt_f16_f32_e32 v145, v223
	v_cvt_f32_f16_e32 v224, v208
	v_cvt_f32_f16_e32 v225, v209
	s_waitcnt lgkmcnt(0)
	v_perm_b32 v209, v229, v228, s49
	v_perm_b32 v208, v227, v226, s49
	v_cvt_f32_f16_e32 v222, v141
	v_cvt_f32_f16_e32 v223, v145
	ds_read_u16 v226, v102 offset:13056
	ds_read_u16 v227, v104 offset:13328
	;; [unrolled: 1-line block ×4, first 2 shown]
	v_mfma_f32_16x16x16f16 v[222:225], v[208:209], v[20:21], v[222:225]
	s_nop 7
	s_nop 2
	v_cvt_f16_f32_e32 v208, v224
	v_cvt_f16_f32_e32 v209, v225
	;; [unrolled: 1-line block ×4, first 2 shown]
	v_cvt_f32_f16_e32 v224, v208
	v_cvt_f32_f16_e32 v225, v209
	s_waitcnt lgkmcnt(0)
	v_perm_b32 v209, v229, v228, s49
	v_perm_b32 v208, v227, v226, s49
	v_cvt_f32_f16_e32 v222, v141
	v_cvt_f32_f16_e32 v223, v145
	s_nop 1
	v_mfma_f32_16x16x16f16 v[222:225], v[208:209], v[18:19], v[222:225]
	s_nop 7
	s_nop 2
	v_cvt_f16_f32_e32 v141, v222
	v_cvt_f16_f32_e32 v145, v223
	;; [unrolled: 1-line block ×4, first 2 shown]
	v_cvt_f32_f16_sdwa v223, v211 dst_sel:DWORD dst_unused:UNUSED_PAD src0_sel:WORD_1
	v_pack_b32_f16 v209, v141, v145
	ds_read_u16 v141, v111 offset:544
	v_pack_b32_f16 v208, v208, v222
	v_cvt_f32_f16_e32 v222, v211
	v_cvt_f32_f16_e32 v224, v210
	v_cvt_f32_f16_sdwa v225, v210 dst_sel:DWORD dst_unused:UNUSED_PAD src0_sel:WORD_1
	s_waitcnt lgkmcnt(0)
	v_perm_b32 v211, v144, v141, s49
	v_perm_b32 v210, v146, v142, s49
	s_nop 1
	v_mfma_f32_16x16x16f16 v[222:225], v[210:211], v[24:25], v[222:225]
	ds_read_u16 v146, v102 offset:4384
	ds_read_u16 v210, v104 offset:4656
	ds_read_u16 v211, v112 offset:544
	ds_read_u16 v226, v105 offset:4384
	s_waitcnt lgkmcnt(2)
	v_perm_b32 v210, v210, v146, s49
	s_waitcnt lgkmcnt(0)
	v_perm_b32 v211, v226, v211, s49
	s_nop 2
	v_cvt_f16_f32_e32 v141, v222
	v_cvt_f16_f32_e32 v142, v223
	v_cvt_f16_f32_e32 v144, v224
	v_cvt_f16_f32_e32 v145, v225
	v_cvt_f32_f16_e32 v222, v141
	v_cvt_f32_f16_e32 v223, v142
	v_cvt_f32_f16_e32 v224, v144
	v_cvt_f32_f16_e32 v225, v145
	s_nop 1
	v_mfma_f32_16x16x16f16 v[222:225], v[210:211], v[22:23], v[222:225]
	ds_read_u16 v146, v102 offset:8736
	ds_read_u16 v210, v104 offset:9008
	ds_read_u16 v211, v113 offset:544
	ds_read_u16 v226, v105 offset:8736
	s_waitcnt lgkmcnt(2)
	v_perm_b32 v210, v210, v146, s49
	s_waitcnt lgkmcnt(0)
	v_perm_b32 v211, v226, v211, s49
	s_nop 2
	v_cvt_f16_f32_e32 v141, v222
	v_cvt_f16_f32_e32 v142, v223
	v_cvt_f16_f32_e32 v144, v224
	v_cvt_f16_f32_e32 v145, v225
	v_cvt_f32_f16_e32 v222, v141
	v_cvt_f32_f16_e32 v223, v142
	v_cvt_f32_f16_e32 v224, v144
	v_cvt_f32_f16_e32 v225, v145
	;; [unrolled: 19-line block ×3, first 2 shown]
	s_nop 1
	v_mfma_f32_16x16x16f16 v[222:225], v[210:211], v[18:19], v[222:225]
	s_nop 7
	s_nop 2
	v_cvt_f16_f32_e32 v141, v222
	v_cvt_f16_f32_e32 v142, v223
	;; [unrolled: 1-line block ×4, first 2 shown]
	v_cvt_f32_f16_e32 v222, v213
	v_pack_b32_f16 v211, v141, v142
	v_cvt_f32_f16_sdwa v223, v213 dst_sel:DWORD dst_unused:UNUSED_PAD src0_sel:WORD_1
	v_pack_b32_f16 v210, v144, v145
	ds_read_u16 v141, v102 offset:64
	ds_read_u16 v142, v104 offset:336
	ds_read_u16 v144, v115 offset:544
	ds_read_u16 v145, v105 offset:64
	v_cvt_f32_f16_e32 v224, v212
	v_cvt_f32_f16_sdwa v225, v212 dst_sel:DWORD dst_unused:UNUSED_PAD src0_sel:WORD_1
	s_waitcnt lgkmcnt(2)
	v_perm_b32 v212, v142, v141, s49
	s_waitcnt lgkmcnt(0)
	v_perm_b32 v213, v145, v144, s49
	s_nop 1
	v_mfma_f32_16x16x16f16 v[222:225], v[212:213], v[24:25], v[222:225]
	ds_read_u16 v146, v102 offset:4416
	ds_read_u16 v212, v104 offset:4688
	ds_read_u16 v213, v116 offset:544
	ds_read_u16 v226, v105 offset:4416
	s_waitcnt lgkmcnt(2)
	v_perm_b32 v212, v212, v146, s49
	s_waitcnt lgkmcnt(0)
	v_perm_b32 v213, v226, v213, s49
	s_nop 2
	v_cvt_f16_f32_e32 v141, v222
	v_cvt_f16_f32_e32 v142, v223
	v_cvt_f16_f32_e32 v144, v224
	v_cvt_f16_f32_e32 v145, v225
	v_cvt_f32_f16_e32 v222, v141
	v_cvt_f32_f16_e32 v223, v142
	v_cvt_f32_f16_e32 v224, v144
	v_cvt_f32_f16_e32 v225, v145
	s_nop 1
	v_mfma_f32_16x16x16f16 v[222:225], v[212:213], v[22:23], v[222:225]
	ds_read_u16 v146, v102 offset:8768
	ds_read_u16 v212, v104 offset:9040
	ds_read_u16 v213, v117 offset:544
	ds_read_u16 v226, v105 offset:8768
	s_waitcnt lgkmcnt(2)
	v_perm_b32 v212, v212, v146, s49
	s_waitcnt lgkmcnt(0)
	v_perm_b32 v213, v226, v213, s49
	s_nop 2
	v_cvt_f16_f32_e32 v141, v222
	v_cvt_f16_f32_e32 v142, v223
	v_cvt_f16_f32_e32 v144, v224
	v_cvt_f16_f32_e32 v145, v225
	v_cvt_f32_f16_e32 v222, v141
	v_cvt_f32_f16_e32 v223, v142
	v_cvt_f32_f16_e32 v224, v144
	v_cvt_f32_f16_e32 v225, v145
	;; [unrolled: 19-line block ×3, first 2 shown]
	s_nop 1
	v_mfma_f32_16x16x16f16 v[222:225], v[212:213], v[18:19], v[222:225]
	s_nop 7
	s_nop 2
	v_cvt_f16_f32_e32 v141, v222
	v_cvt_f16_f32_e32 v142, v223
	v_cvt_f16_f32_e32 v144, v224
	v_cvt_f16_f32_e32 v145, v225
	v_cvt_f32_f16_e32 v222, v215
	v_pack_b32_f16 v213, v141, v142
	v_cvt_f32_f16_sdwa v223, v215 dst_sel:DWORD dst_unused:UNUSED_PAD src0_sel:WORD_1
	v_pack_b32_f16 v212, v144, v145
	ds_read_u16 v141, v102 offset:96
	ds_read_u16 v142, v104 offset:368
	;; [unrolled: 1-line block ×4, first 2 shown]
	v_cvt_f32_f16_e32 v224, v214
	v_cvt_f32_f16_sdwa v225, v214 dst_sel:DWORD dst_unused:UNUSED_PAD src0_sel:WORD_1
	s_waitcnt lgkmcnt(2)
	v_perm_b32 v214, v142, v141, s49
	s_waitcnt lgkmcnt(0)
	v_perm_b32 v215, v145, v144, s49
	s_nop 1
	v_mfma_f32_16x16x16f16 v[222:225], v[214:215], v[24:25], v[222:225]
	ds_read_u16 v146, v102 offset:4448
	ds_read_u16 v214, v104 offset:4720
	ds_read_u16 v215, v120 offset:544
	ds_read_u16 v226, v105 offset:4448
	s_waitcnt lgkmcnt(2)
	v_perm_b32 v214, v214, v146, s49
	s_waitcnt lgkmcnt(0)
	v_perm_b32 v215, v226, v215, s49
	s_nop 2
	v_cvt_f16_f32_e32 v141, v222
	v_cvt_f16_f32_e32 v142, v223
	v_cvt_f16_f32_e32 v144, v224
	v_cvt_f16_f32_e32 v145, v225
	v_cvt_f32_f16_e32 v222, v141
	v_cvt_f32_f16_e32 v223, v142
	v_cvt_f32_f16_e32 v224, v144
	v_cvt_f32_f16_e32 v225, v145
	s_nop 1
	v_mfma_f32_16x16x16f16 v[222:225], v[214:215], v[22:23], v[222:225]
	ds_read_u16 v146, v102 offset:8800
	ds_read_u16 v214, v104 offset:9072
	ds_read_u16 v215, v121 offset:544
	ds_read_u16 v226, v105 offset:8800
	s_waitcnt lgkmcnt(2)
	v_perm_b32 v214, v214, v146, s49
	s_waitcnt lgkmcnt(0)
	v_perm_b32 v215, v226, v215, s49
	s_nop 2
	v_cvt_f16_f32_e32 v141, v222
	v_cvt_f16_f32_e32 v142, v223
	v_cvt_f16_f32_e32 v144, v224
	v_cvt_f16_f32_e32 v145, v225
	v_cvt_f32_f16_e32 v222, v141
	v_cvt_f32_f16_e32 v223, v142
	v_cvt_f32_f16_e32 v224, v144
	v_cvt_f32_f16_e32 v225, v145
	;; [unrolled: 19-line block ×3, first 2 shown]
	s_nop 1
	v_mfma_f32_16x16x16f16 v[222:225], v[214:215], v[18:19], v[222:225]
	s_nop 7
	s_nop 2
	v_cvt_f16_f32_e32 v141, v222
	v_cvt_f16_f32_e32 v142, v223
	;; [unrolled: 1-line block ×4, first 2 shown]
	v_cvt_f32_f16_e32 v222, v217
	v_pack_b32_f16 v215, v141, v142
	v_cvt_f32_f16_sdwa v223, v217 dst_sel:DWORD dst_unused:UNUSED_PAD src0_sel:WORD_1
	v_pack_b32_f16 v214, v144, v145
	ds_read_u16 v141, v102 offset:128
	ds_read_u16 v142, v104 offset:400
	;; [unrolled: 1-line block ×4, first 2 shown]
	v_cvt_f32_f16_e32 v224, v216
	v_cvt_f32_f16_sdwa v225, v216 dst_sel:DWORD dst_unused:UNUSED_PAD src0_sel:WORD_1
	s_waitcnt lgkmcnt(2)
	v_perm_b32 v216, v142, v141, s49
	s_waitcnt lgkmcnt(0)
	v_perm_b32 v217, v145, v144, s49
	s_nop 1
	v_mfma_f32_16x16x16f16 v[222:225], v[216:217], v[24:25], v[222:225]
	ds_read_u16 v146, v102 offset:4480
	ds_read_u16 v216, v104 offset:4752
	ds_read_u16 v217, v124 offset:544
	ds_read_u16 v226, v105 offset:4480
	s_waitcnt lgkmcnt(2)
	v_perm_b32 v216, v216, v146, s49
	s_waitcnt lgkmcnt(0)
	v_perm_b32 v217, v226, v217, s49
	s_nop 2
	v_cvt_f16_f32_e32 v141, v222
	v_cvt_f16_f32_e32 v142, v223
	v_cvt_f16_f32_e32 v144, v224
	v_cvt_f16_f32_e32 v145, v225
	v_cvt_f32_f16_e32 v222, v141
	v_cvt_f32_f16_e32 v223, v142
	v_cvt_f32_f16_e32 v224, v144
	v_cvt_f32_f16_e32 v225, v145
	s_nop 1
	v_mfma_f32_16x16x16f16 v[222:225], v[216:217], v[22:23], v[222:225]
	ds_read_u16 v146, v102 offset:8832
	ds_read_u16 v216, v104 offset:9104
	ds_read_u16 v217, v125 offset:544
	ds_read_u16 v226, v105 offset:8832
	s_waitcnt lgkmcnt(2)
	v_perm_b32 v216, v216, v146, s49
	s_waitcnt lgkmcnt(0)
	v_perm_b32 v217, v226, v217, s49
	s_nop 2
	v_cvt_f16_f32_e32 v141, v222
	v_cvt_f16_f32_e32 v142, v223
	v_cvt_f16_f32_e32 v144, v224
	v_cvt_f16_f32_e32 v145, v225
	v_cvt_f32_f16_e32 v222, v141
	v_cvt_f32_f16_e32 v223, v142
	v_cvt_f32_f16_e32 v224, v144
	v_cvt_f32_f16_e32 v225, v145
	;; [unrolled: 19-line block ×3, first 2 shown]
	s_nop 1
	v_mfma_f32_16x16x16f16 v[222:225], v[216:217], v[18:19], v[222:225]
	s_nop 7
	s_nop 2
	v_cvt_f16_f32_e32 v141, v222
	v_cvt_f16_f32_e32 v142, v223
	;; [unrolled: 1-line block ×4, first 2 shown]
	v_cvt_f32_f16_e32 v222, v219
	v_pack_b32_f16 v217, v141, v142
	v_cvt_f32_f16_sdwa v223, v219 dst_sel:DWORD dst_unused:UNUSED_PAD src0_sel:WORD_1
	v_pack_b32_f16 v216, v144, v145
	ds_read_u16 v141, v102 offset:160
	ds_read_u16 v142, v104 offset:432
	;; [unrolled: 1-line block ×4, first 2 shown]
	v_cvt_f32_f16_e32 v224, v218
	v_cvt_f32_f16_sdwa v225, v218 dst_sel:DWORD dst_unused:UNUSED_PAD src0_sel:WORD_1
	s_waitcnt lgkmcnt(2)
	v_perm_b32 v218, v142, v141, s49
	s_waitcnt lgkmcnt(0)
	v_perm_b32 v219, v145, v144, s49
	s_nop 1
	v_mfma_f32_16x16x16f16 v[222:225], v[218:219], v[24:25], v[222:225]
	ds_read_u16 v146, v102 offset:4512
	ds_read_u16 v218, v104 offset:4784
	ds_read_u16 v219, v128 offset:544
	ds_read_u16 v226, v105 offset:4512
	s_waitcnt lgkmcnt(2)
	v_perm_b32 v218, v218, v146, s49
	s_waitcnt lgkmcnt(0)
	v_perm_b32 v219, v226, v219, s49
	s_nop 2
	v_cvt_f16_f32_e32 v141, v222
	v_cvt_f16_f32_e32 v142, v223
	v_cvt_f16_f32_e32 v144, v224
	v_cvt_f16_f32_e32 v145, v225
	v_cvt_f32_f16_e32 v222, v141
	v_cvt_f32_f16_e32 v223, v142
	v_cvt_f32_f16_e32 v224, v144
	v_cvt_f32_f16_e32 v225, v145
	s_nop 1
	v_mfma_f32_16x16x16f16 v[222:225], v[218:219], v[22:23], v[222:225]
	ds_read_u16 v146, v102 offset:8864
	ds_read_u16 v218, v104 offset:9136
	ds_read_u16 v219, v129 offset:544
	ds_read_u16 v226, v105 offset:8864
	s_waitcnt lgkmcnt(2)
	v_perm_b32 v218, v218, v146, s49
	s_waitcnt lgkmcnt(0)
	v_perm_b32 v219, v226, v219, s49
	s_nop 2
	v_cvt_f16_f32_e32 v141, v222
	v_cvt_f16_f32_e32 v142, v223
	v_cvt_f16_f32_e32 v144, v224
	v_cvt_f16_f32_e32 v145, v225
	v_cvt_f32_f16_e32 v222, v141
	v_cvt_f32_f16_e32 v223, v142
	v_cvt_f32_f16_e32 v224, v144
	v_cvt_f32_f16_e32 v225, v145
	s_nop 1
	v_mfma_f32_16x16x16f16 v[222:225], v[218:219], v[20:21], v[222:225]
	ds_read_u16 v146, v102 offset:13216
	ds_read_u16 v218, v104 offset:13488
	ds_read_u16 v219, v130 offset:544
	ds_read_u16 v226, v105 offset:13216
	s_waitcnt lgkmcnt(2)
	v_perm_b32 v218, v218, v146, s49
	s_waitcnt lgkmcnt(0)
	v_perm_b32 v219, v226, v219, s49
	s_nop 2
	v_cvt_f16_f32_e32 v141, v222
	v_cvt_f16_f32_e32 v142, v223
	v_cvt_f16_f32_e32 v144, v224
	v_cvt_f16_f32_e32 v145, v225
	v_cvt_f32_f16_e32 v222, v141
	v_cvt_f32_f16_e32 v223, v142
	v_cvt_f32_f16_e32 v224, v144
	v_cvt_f32_f16_e32 v225, v145
	s_nop 1
	v_mfma_f32_16x16x16f16 v[222:225], v[218:219], v[18:19], v[222:225]
	s_nop 7
	s_nop 2
	v_cvt_f16_f32_e32 v141, v222
	v_cvt_f16_f32_e32 v142, v223
	;; [unrolled: 1-line block ×4, first 2 shown]
	v_cvt_f32_f16_e32 v222, v221
	v_pack_b32_f16 v219, v141, v142
	v_cvt_f32_f16_sdwa v223, v221 dst_sel:DWORD dst_unused:UNUSED_PAD src0_sel:WORD_1
	v_pack_b32_f16 v218, v144, v145
	ds_read_u16 v141, v102 offset:192
	ds_read_u16 v142, v104 offset:464
	ds_read_u16 v144, v131 offset:544
	ds_read_u16 v145, v105 offset:192
	v_cvt_f32_f16_e32 v224, v220
	v_cvt_f32_f16_sdwa v225, v220 dst_sel:DWORD dst_unused:UNUSED_PAD src0_sel:WORD_1
	s_waitcnt lgkmcnt(2)
	v_perm_b32 v220, v142, v141, s49
	s_waitcnt lgkmcnt(0)
	v_perm_b32 v221, v145, v144, s49
	s_nop 1
	v_mfma_f32_16x16x16f16 v[220:223], v[220:221], v[24:25], v[222:225]
	ds_read_u16 v146, v102 offset:4544
	s_nop 5
	ds_read_u16 v224, v104 offset:4816
	ds_read_u16 v225, v132 offset:544
	;; [unrolled: 1-line block ×3, first 2 shown]
	s_waitcnt lgkmcnt(2)
	v_perm_b32 v224, v224, v146, s49
	s_waitcnt lgkmcnt(0)
	v_perm_b32 v225, v226, v225, s49
	v_cvt_f16_f32_e32 v141, v220
	v_cvt_f16_f32_e32 v142, v221
	;; [unrolled: 1-line block ×4, first 2 shown]
	v_cvt_f32_f16_e32 v220, v141
	v_cvt_f32_f16_e32 v221, v142
	;; [unrolled: 1-line block ×4, first 2 shown]
	s_nop 1
	v_mfma_f32_16x16x16f16 v[220:223], v[224:225], v[22:23], v[220:223]
	ds_read_u16 v146, v102 offset:8896
	ds_read_u16 v224, v104 offset:9168
	ds_read_u16 v225, v133 offset:544
	ds_read_u16 v226, v105 offset:8896
	s_waitcnt lgkmcnt(2)
	v_perm_b32 v224, v224, v146, s49
	s_waitcnt lgkmcnt(0)
	v_perm_b32 v225, v226, v225, s49
	s_nop 2
	v_cvt_f16_f32_e32 v141, v220
	v_cvt_f16_f32_e32 v142, v221
	v_cvt_f16_f32_e32 v144, v222
	v_cvt_f16_f32_e32 v145, v223
	v_cvt_f32_f16_e32 v220, v141
	v_cvt_f32_f16_e32 v221, v142
	v_cvt_f32_f16_e32 v222, v144
	v_cvt_f32_f16_e32 v223, v145
	s_nop 1
	v_mfma_f32_16x16x16f16 v[220:223], v[224:225], v[20:21], v[220:223]
	ds_read_u16 v146, v102 offset:13248
	ds_read_u16 v224, v104 offset:13520
	;; [unrolled: 1-line block ×4, first 2 shown]
	s_waitcnt lgkmcnt(2)
	v_perm_b32 v224, v224, v146, s49
	s_waitcnt lgkmcnt(0)
	v_perm_b32 v225, v226, v225, s49
	s_nop 2
	v_cvt_f16_f32_e32 v141, v220
	v_cvt_f16_f32_e32 v142, v221
	;; [unrolled: 1-line block ×4, first 2 shown]
	v_cvt_f32_f16_e32 v220, v141
	v_cvt_f32_f16_e32 v221, v142
	;; [unrolled: 1-line block ×4, first 2 shown]
	s_nop 1
	v_mfma_f32_16x16x16f16 v[220:223], v[224:225], v[18:19], v[220:223]
	v_cvt_f32_f16_e32 v224, v28
	v_cvt_f32_f16_sdwa v225, v28 dst_sel:DWORD dst_unused:UNUSED_PAD src0_sel:WORD_1
	s_nop 7
	s_nop 0
	v_cvt_f16_f32_e32 v141, v220
	v_cvt_f16_f32_e32 v142, v221
	;; [unrolled: 1-line block ×4, first 2 shown]
	v_cvt_f32_f16_e32 v222, v29
	v_pack_b32_f16 v221, v141, v142
	v_cvt_f32_f16_sdwa v223, v29 dst_sel:DWORD dst_unused:UNUSED_PAD src0_sel:WORD_1
	v_pack_b32_f16 v220, v144, v145
	ds_read_u16 v141, v102 offset:224
	ds_read_u16 v142, v104 offset:496
	;; [unrolled: 1-line block ×4, first 2 shown]
	s_waitcnt lgkmcnt(2)
	v_perm_b32 v28, v142, v141, s49
	s_waitcnt lgkmcnt(0)
	v_perm_b32 v29, v145, v144, s49
	ds_read_u16 v141, v102 offset:4576
	ds_read_u16 v142, v104 offset:4848
	;; [unrolled: 1-line block ×4, first 2 shown]
	v_mfma_f32_16x16x16f16 v[222:225], v[28:29], v[24:25], v[222:225]
	s_nop 7
	s_nop 2
	v_cvt_f16_f32_e32 v24, v222
	v_cvt_f16_f32_e32 v25, v223
	;; [unrolled: 1-line block ×4, first 2 shown]
	v_cvt_f32_f16_e32 v222, v24
	v_cvt_f32_f16_e32 v223, v25
	s_waitcnt lgkmcnt(0)
	v_perm_b32 v25, v145, v144, s49
	v_perm_b32 v24, v142, v141, s49
	v_cvt_f32_f16_e32 v224, v28
	v_cvt_f32_f16_e32 v225, v29
	ds_read_u16 v28, v102 offset:8928
	ds_read_u16 v141, v104 offset:9200
	;; [unrolled: 1-line block ×4, first 2 shown]
	v_mfma_f32_16x16x16f16 v[22:25], v[24:25], v[22:23], v[222:225]
	s_waitcnt lgkmcnt(2)
	v_perm_b32 v28, v141, v28, s49
	s_waitcnt lgkmcnt(0)
	v_perm_b32 v29, v142, v29, s49
	s_nop 6
	v_cvt_f16_f32_e32 v22, v22
	v_cvt_f16_f32_e32 v23, v23
	;; [unrolled: 1-line block ×4, first 2 shown]
	v_cvt_f32_f16_e32 v22, v22
	v_cvt_f32_f16_e32 v23, v23
	;; [unrolled: 1-line block ×4, first 2 shown]
	s_nop 1
	v_mfma_f32_16x16x16f16 v[20:23], v[28:29], v[20:21], v[22:25]
	s_nop 6
	ds_read_u16 v24, v102 offset:13280
	ds_read_u16 v28, v104 offset:13552
	;; [unrolled: 1-line block ×4, first 2 shown]
	s_waitcnt lgkmcnt(0)
	s_barrier
	v_perm_b32 v24, v28, v24, s49
	v_perm_b32 v25, v29, v25, s49
	v_cvt_f16_f32_e32 v20, v20
	v_cvt_f16_f32_e32 v21, v21
	;; [unrolled: 1-line block ×4, first 2 shown]
	v_cvt_f32_f16_e32 v20, v20
	v_cvt_f32_f16_e32 v21, v21
	;; [unrolled: 1-line block ×4, first 2 shown]
	s_nop 1
	v_mfma_f32_16x16x16f16 v[18:21], v[24:25], v[18:19], v[20:23]
	s_nop 7
	s_nop 2
	v_cvt_f16_f32_e32 v18, v18
	v_cvt_f16_f32_e32 v19, v19
	;; [unrolled: 1-line block ×4, first 2 shown]
	v_pack_b32_f16 v222, v18, v19
	v_pack_b32_f16 v223, v20, v21
	s_cbranch_scc1 .LBB24_87
.LBB24_88:                              ;   in Loop: Header=BB24_13 Depth=1
	s_lshl_b32 s2, s34, 6
	s_ashr_i32 s3, s2, 31
	s_lshl_b64 s[4:5], s[2:3], 1
	v_add_co_u32_e32 v18, vcc, s4, v199
	v_mov_b32_e32 v19, s5
	v_addc_co_u32_e32 v19, vcc, v198, v19, vcc
	v_lshlrev_b32_e32 v20, 1, v52
	v_add_co_u32_e32 v20, vcc, v18, v20
	v_addc_co_u32_e32 v21, vcc, 0, v19, vcc
	v_lshlrev_b64 v[18:19], 1, v[62:63]
	v_add_co_u32_e32 v18, vcc, v20, v18
	v_addc_co_u32_e32 v19, vcc, v21, v19, vcc
	global_load_dword v18, v[18:19], off
	v_add_u32_e32 v22, v170, v168
	s_mul_hi_i32 s5, s36, s2
	s_mul_i32 s4, s36, s2
	s_lshl_b64 s[4:5], s[4:5], 2
	s_add_u32 s3, s44, s4
	s_addc_u32 s4, s45, s5
	v_add_u32_e32 v28, 0x1000, v95
	s_waitcnt vmcnt(0)
	ds_write_b32 v22, v18 offset:17408
	v_lshlrev_b64 v[18:19], 1, v[64:65]
	v_add_co_u32_e32 v18, vcc, v20, v18
	v_addc_co_u32_e32 v19, vcc, v21, v19, vcc
	global_load_dword v18, v[18:19], off
	v_mov_b32_e32 v19, s4
	s_waitcnt vmcnt(0)
	ds_write_b32 v22, v18 offset:18560
	v_add_co_u32_e32 v18, vcc, s3, v44
	v_addc_co_u32_e32 v19, vcc, v19, v45, vcc
	v_add_co_u32_e32 v18, vcc, v18, v110
	v_addc_co_u32_e32 v19, vcc, 0, v19, vcc
	global_load_dwordx4 v[18:21], v[18:19], off
	s_waitcnt vmcnt(0)
	ds_write_b128 v99, v[18:21]
	v_add_co_u32_e32 v18, vcc, s3, v46
	v_mov_b32_e32 v19, s4
	v_addc_co_u32_e32 v19, vcc, v19, v47, vcc
	v_add_co_u32_e32 v18, vcc, v18, v110
	v_addc_co_u32_e32 v19, vcc, 0, v19, vcc
	global_load_dwordx4 v[18:21], v[18:19], off
	s_waitcnt vmcnt(0)
	ds_write_b128 v171, v[18:21]
	v_add_co_u32_e32 v18, vcc, s3, v48
	v_mov_b32_e32 v19, s4
	;; [unrolled: 8-line block ×3, first 2 shown]
	v_addc_co_u32_e32 v19, vcc, v19, v51, vcc
	v_add_co_u32_e32 v18, vcc, v18, v110
	v_addc_co_u32_e32 v19, vcc, 0, v19, vcc
	global_load_dwordx4 v[18:21], v[18:19], off
	v_cmp_lt_i32_e32 vcc, v67, v66
	s_mul_hi_i32 s3, s26, s2
	s_mul_i32 s2, s26, s2
	s_lshl_b64 s[2:3], s[2:3], 2
	s_add_u32 s2, s42, s2
	s_addc_u32 s3, s43, s3
	s_cmp_lg_u64 s[68:69], 0
	s_waitcnt vmcnt(0)
	ds_write_b128 v173, v[18:21]
	s_waitcnt lgkmcnt(0)
	s_barrier
	ds_read2_b64 v[18:21], v95 offset1:4
	s_waitcnt lgkmcnt(0)
	v_mfma_f32_16x16x16f16 v[22:25], v[18:19], v[14:15], 0
	v_mfma_f32_16x16x16f16 v[18:21], v[20:21], v[16:17], v[22:25]
	s_nop 7
	s_nop 1
	ds_read2_b64 v[22:25], v95 offset0:8 offset1:12
	s_waitcnt lgkmcnt(0)
	v_mfma_f32_16x16x16f16 v[18:21], v[22:23], v[10:11], v[18:21]
	v_mfma_f32_16x16x16f16 v[18:21], v[24:25], v[12:13], v[18:21]
	ds_read2_b64 v[22:25], v95 offset0:16 offset1:20
	s_waitcnt lgkmcnt(0)
	v_mfma_f32_16x16x16f16 v[18:21], v[22:23], v[6:7], v[18:21]
	v_mfma_f32_16x16x16f16 v[18:21], v[24:25], v[8:9], v[18:21]
	;; [unrolled: 4-line block ×4, first 2 shown]
	s_nop 7
	s_nop 1
	ds_read2_b64 v[62:65], v28 offset0:40 offset1:44
	s_waitcnt lgkmcnt(0)
	v_mfma_f32_16x16x16f16 v[22:25], v[62:63], v[10:11], v[22:25]
	v_mfma_f32_16x16x16f16 v[22:25], v[64:65], v[12:13], v[22:25]
	ds_read2_b64 v[62:65], v28 offset0:48 offset1:52
	s_waitcnt lgkmcnt(0)
	v_mfma_f32_16x16x16f16 v[22:25], v[62:63], v[6:7], v[22:25]
	v_mfma_f32_16x16x16f16 v[22:25], v[64:65], v[8:9], v[22:25]
	ds_read2_b64 v[62:65], v28 offset0:56 offset1:60
	v_add_u32_e32 v28, 0x2000, v95
	s_waitcnt lgkmcnt(0)
	v_mfma_f32_16x16x16f16 v[22:25], v[62:63], v[2:3], v[22:25]
	v_mfma_f32_16x16x16f16 v[22:25], v[64:65], v[4:5], v[22:25]
	ds_read2_b64 v[62:65], v28 offset0:64 offset1:68
	s_waitcnt lgkmcnt(0)
	v_mfma_f32_16x16x16f16 v[204:207], v[62:63], v[14:15], 0
	v_mfma_f32_16x16x16f16 v[62:65], v[64:65], v[16:17], v[204:207]
	s_nop 7
	s_nop 1
	ds_read2_b64 v[204:207], v28 offset0:72 offset1:76
	s_waitcnt lgkmcnt(0)
	v_mfma_f32_16x16x16f16 v[62:65], v[204:205], v[10:11], v[62:65]
	v_mfma_f32_16x16x16f16 v[62:65], v[206:207], v[12:13], v[62:65]
	ds_read2_b64 v[204:207], v28 offset0:80 offset1:84
	s_waitcnt lgkmcnt(0)
	v_mfma_f32_16x16x16f16 v[62:65], v[204:205], v[6:7], v[62:65]
	v_mfma_f32_16x16x16f16 v[62:65], v[206:207], v[8:9], v[62:65]
	ds_read2_b64 v[204:207], v28 offset0:88 offset1:92
	v_add_u32_e32 v28, 0x3000, v95
	s_waitcnt lgkmcnt(0)
	v_mfma_f32_16x16x16f16 v[62:65], v[204:205], v[2:3], v[62:65]
	v_mfma_f32_16x16x16f16 v[62:65], v[206:207], v[4:5], v[62:65]
	ds_read2_b64 v[204:207], v28 offset0:96 offset1:100
	s_waitcnt lgkmcnt(0)
	v_mfma_f32_16x16x16f16 v[224:227], v[204:205], v[14:15], 0
	v_mfma_f32_16x16x16f16 v[14:17], v[206:207], v[16:17], v[224:227]
	ds_read2_b64 v[204:207], v28 offset0:104 offset1:108
	s_waitcnt lgkmcnt(0)
	v_mfma_f32_16x16x16f16 v[14:17], v[204:205], v[10:11], v[14:17]
	v_mfma_f32_16x16x16f16 v[10:13], v[206:207], v[12:13], v[14:17]
	s_nop 7
	s_nop 1
	ds_read2_b64 v[14:17], v28 offset0:112 offset1:116
	s_waitcnt lgkmcnt(0)
	v_mfma_f32_16x16x16f16 v[10:13], v[14:15], v[6:7], v[10:13]
	v_mfma_f32_16x16x16f16 v[6:9], v[16:17], v[8:9], v[10:13]
	s_nop 7
	s_nop 1
	ds_read2_b64 v[10:13], v28 offset0:120 offset1:124
	s_waitcnt lgkmcnt(0)
	v_mfma_f32_16x16x16f16 v[6:9], v[10:11], v[2:3], v[6:9]
	v_add_u32_e32 v3, 0x4400, v174
	s_barrier
	ds_read_b32 v2, v100 offset:17408
	ds_read_b32 v29, v101 offset:17408
	ds_read2_b32 v[14:15], v3 offset1:1
	v_add_u32_e32 v3, 0x4400, v175
	ds_read2_b32 v[10:11], v3 offset1:1
	v_add_u32_e32 v3, 0x4400, v176
	v_mfma_f32_16x16x16f16 v[6:9], v[12:13], v[4:5], v[6:9]
	ds_read2_b32 v[12:13], v3 offset1:1
	s_waitcnt lgkmcnt(2)
	v_cvt_f32_f16_e32 v16, v14
	v_cvt_f32_f16_sdwa v17, v14 dst_sel:DWORD dst_unused:UNUSED_PAD src0_sel:WORD_1
	v_cvt_f32_f16_e32 v14, v29
	v_cndmask_b32_e32 v3, v69, v67, vcc
	s_waitcnt lgkmcnt(0)
	v_cvt_f32_f16_e32 v4, v13
	v_cvt_f32_f16_sdwa v5, v13 dst_sel:DWORD dst_unused:UNUSED_PAD src0_sel:WORD_1
	v_cvt_f32_f16_sdwa v13, v10 dst_sel:DWORD dst_unused:UNUSED_PAD src0_sel:WORD_1
	v_pk_add_f32 v[16:17], v[22:23], v[16:17]
	v_add_f32_e32 v22, 0x40051340, v16
	v_pk_add_f32 v[4:5], v[8:9], v[4:5]
	v_cvt_f32_f16_e32 v8, v12
	v_cvt_f32_f16_sdwa v9, v12 dst_sel:DWORD dst_unused:UNUSED_PAD src0_sel:WORD_1
	v_cvt_f32_f16_e32 v12, v10
	v_add_f32_e32 v23, 0x40051340, v17
	v_cmp_lt_i32_e32 vcc, v68, v66
	v_pk_add_f32 v[6:7], v[6:7], v[8:9]
	v_cvt_f32_f16_e32 v8, v11
	v_cvt_f32_f16_sdwa v9, v11 dst_sel:DWORD dst_unused:UNUSED_PAD src0_sel:WORD_1
	v_pk_add_f32 v[10:11], v[62:63], v[12:13]
	v_cvt_f32_f16_e32 v12, v15
	v_cvt_f32_f16_sdwa v13, v15 dst_sel:DWORD dst_unused:UNUSED_PAD src0_sel:WORD_1
	v_cvt_f32_f16_sdwa v15, v29 dst_sel:DWORD dst_unused:UNUSED_PAD src0_sel:WORD_1
	v_pk_add_f32 v[8:9], v[64:65], v[8:9]
	v_add_f32_e32 v62, 0x40051340, v10
	v_pk_add_f32 v[12:13], v[24:25], v[12:13]
	v_pk_add_f32 v[20:21], v[20:21], v[14:15]
	v_cvt_f32_f16_sdwa v15, v2 dst_sel:DWORD dst_unused:UNUSED_PAD src0_sel:WORD_1
	v_cvt_f32_f16_e32 v14, v2
	v_add_f32_e32 v29, 0x40051340, v20
	v_add_f32_e32 v141, 0x40051340, v21
	;; [unrolled: 1-line block ×3, first 2 shown]
	v_pk_add_f32 v[14:15], v[18:19], v[14:15]
	v_add_f32_e32 v2, 0x40051340, v14
	v_add_f32_e32 v18, 0x40051340, v15
	v_max3_f32 v2, v26, v2, v18
	v_max3_f32 v2, v2, v29, v141
	v_add_f32_e32 v25, 0x40051340, v13
	v_max3_f32 v2, v2, v22, v23
	v_add_f32_e32 v63, 0x40051340, v11
	;; [unrolled: 2-line block ×3, first 2 shown]
	v_add_f32_e32 v65, 0x40051340, v9
	v_max3_f32 v2, v2, v62, v63
	v_lshlrev_b32_e32 v28, 2, v3
	v_cndmask_b32_e32 v3, v69, v68, vcc
	v_add_f32_e32 v68, 0x40051340, v6
	v_add_f32_e32 v69, 0x40051340, v7
	v_max3_f32 v2, v2, v64, v65
	v_add_f32_e32 v66, 0x40051340, v4
	v_add_f32_e32 v67, 0x40051340, v5
	v_max3_f32 v2, v2, v68, v69
	v_max3_f32 v2, v2, v66, v67
	ds_bpermute_b32 v18, v28, v2
	v_lshlrev_b32_e32 v3, 2, v3
	s_waitcnt lgkmcnt(0)
	v_max_f32_e32 v18, v18, v18
	v_max_f32_e32 v2, v2, v18
	ds_bpermute_b32 v18, v3, v2
	s_waitcnt lgkmcnt(0)
	v_max_f32_e32 v18, v18, v18
	v_max_f32_e32 v2, v2, v18
	v_pk_add_f32 v[18:19], v[14:15], v[2:3] op_sel_hi:[1,0] neg_lo:[0,1] neg_hi:[0,1]
	v_mul_f32_e32 v14, 0x3fb8aa3b, v19
	v_fma_f32 v15, v19, s41, -v14
	v_rndne_f32_e32 v22, v14
	v_fmac_f32_e32 v15, 0x32a5705f, v19
	v_sub_f32_e32 v14, v14, v22
	v_add_f32_e32 v14, v14, v15
	v_exp_f32_e32 v14, v14
	v_cvt_i32_f32_e32 v15, v22
	v_cmp_ngt_f32_e32 vcc, s60, v19
	v_pk_add_f32 v[16:17], v[16:17], v[2:3] op_sel_hi:[1,0] neg_lo:[0,1] neg_hi:[0,1]
	v_pk_add_f32 v[12:13], v[12:13], v[2:3] op_sel_hi:[1,0] neg_lo:[0,1] neg_hi:[0,1]
	v_ldexp_f32 v14, v14, v15
	v_mul_f32_e32 v15, 0x3fb8aa3b, v18
	v_cndmask_b32_e32 v14, 0, v14, vcc
	v_cmp_nlt_f32_e32 vcc, s61, v19
	v_fma_f32 v19, v18, s41, -v15
	v_rndne_f32_e32 v22, v15
	v_fmac_f32_e32 v19, 0x32a5705f, v18
	v_sub_f32_e32 v15, v15, v22
	v_add_f32_e32 v15, v15, v19
	v_exp_f32_e32 v15, v15
	v_cvt_i32_f32_e32 v19, v22
	v_cndmask_b32_e32 v14, v197, v14, vcc
	v_cmp_ngt_f32_e32 vcc, s60, v18
	v_pk_add_f32 v[10:11], v[10:11], v[2:3] op_sel_hi:[1,0] neg_lo:[0,1] neg_hi:[0,1]
	v_ldexp_f32 v15, v15, v19
	v_cndmask_b32_e32 v15, 0, v15, vcc
	v_cmp_nlt_f32_e32 vcc, s61, v18
	v_pk_add_f32 v[18:19], v[20:21], v[2:3] op_sel_hi:[1,0] neg_lo:[0,1] neg_hi:[0,1]
	v_mul_f32_e32 v20, 0x3fb8aa3b, v19
	v_fma_f32 v21, v19, s41, -v20
	v_rndne_f32_e32 v22, v20
	v_fmac_f32_e32 v21, 0x32a5705f, v19
	v_sub_f32_e32 v20, v20, v22
	v_add_f32_e32 v20, v20, v21
	v_exp_f32_e32 v20, v20
	v_cvt_i32_f32_e32 v21, v22
	v_cndmask_b32_e32 v15, v197, v15, vcc
	v_cmp_ngt_f32_e32 vcc, s60, v19
	v_pk_add_f32 v[8:9], v[8:9], v[2:3] op_sel_hi:[1,0] neg_lo:[0,1] neg_hi:[0,1]
	v_ldexp_f32 v20, v20, v21
	v_cndmask_b32_e32 v20, 0, v20, vcc
	v_cmp_nlt_f32_e32 vcc, s61, v19
	v_cndmask_b32_e32 v19, v197, v20, vcc
	v_mul_f32_e32 v20, 0x3fb8aa3b, v18
	v_fma_f32 v21, v18, s41, -v20
	v_rndne_f32_e32 v22, v20
	v_fmac_f32_e32 v21, 0x32a5705f, v18
	v_sub_f32_e32 v20, v20, v22
	v_add_f32_e32 v20, v20, v21
	v_exp_f32_e32 v20, v20
	v_cvt_i32_f32_e32 v21, v22
	v_cmp_ngt_f32_e32 vcc, s60, v18
	v_pk_add_f32 v[6:7], v[6:7], v[2:3] op_sel_hi:[1,0] neg_lo:[0,1] neg_hi:[0,1]
	v_pk_add_f32 v[4:5], v[4:5], v[2:3] op_sel_hi:[1,0] neg_lo:[0,1] neg_hi:[0,1]
	v_ldexp_f32 v20, v20, v21
	v_cndmask_b32_e32 v20, 0, v20, vcc
	v_cmp_nlt_f32_e32 vcc, s61, v18
	v_mul_f32_e32 v18, 0x3fb8aa3b, v17
	v_cndmask_b32_e32 v62, v197, v20, vcc
	v_fma_f32 v20, v17, s41, -v18
	v_rndne_f32_e32 v21, v18
	v_fmac_f32_e32 v20, 0x32a5705f, v17
	v_sub_f32_e32 v18, v18, v21
	v_add_f32_e32 v18, v18, v20
	v_exp_f32_e32 v18, v18
	v_cvt_i32_f32_e32 v20, v21
	v_cmp_ngt_f32_e32 vcc, s60, v17
	v_ldexp_f32 v18, v18, v20
	v_cndmask_b32_e32 v18, 0, v18, vcc
	v_cmp_nlt_f32_e32 vcc, s61, v17
	v_mul_f32_e32 v17, 0x3fb8aa3b, v16
	v_cndmask_b32_e32 v63, v197, v18, vcc
	v_fma_f32 v18, v16, s41, -v17
	v_rndne_f32_e32 v20, v17
	v_fmac_f32_e32 v18, 0x32a5705f, v16
	v_sub_f32_e32 v17, v17, v20
	v_add_f32_e32 v17, v17, v18
	v_exp_f32_e32 v17, v17
	v_cvt_i32_f32_e32 v18, v20
	v_cmp_ngt_f32_e32 vcc, s60, v16
	;; [unrolled: 13-line block ×3, first 2 shown]
	v_ldexp_f32 v16, v16, v17
	v_cndmask_b32_e32 v16, 0, v16, vcc
	v_cmp_nlt_f32_e32 vcc, s61, v13
	v_cndmask_b32_e32 v13, v197, v16, vcc
	v_mul_f32_e32 v16, 0x3fb8aa3b, v12
	v_fma_f32 v17, v12, s41, -v16
	v_rndne_f32_e32 v18, v16
	v_fmac_f32_e32 v17, 0x32a5705f, v12
	v_sub_f32_e32 v16, v16, v18
	v_add_f32_e32 v16, v16, v17
	v_exp_f32_e32 v16, v16
	v_cvt_i32_f32_e32 v17, v18
	v_cmp_ngt_f32_e32 vcc, s60, v12
	v_ldexp_f32 v16, v16, v17
	v_cndmask_b32_e32 v16, 0, v16, vcc
	v_cmp_nlt_f32_e32 vcc, s61, v12
	v_cndmask_b32_e32 v12, v197, v16, vcc
	v_mul_f32_e32 v16, 0x3fb8aa3b, v11
	v_fma_f32 v17, v11, s41, -v16
	v_rndne_f32_e32 v18, v16
	v_fmac_f32_e32 v17, 0x32a5705f, v11
	v_sub_f32_e32 v16, v16, v18
	v_add_f32_e32 v16, v16, v17
	v_exp_f32_e32 v16, v16
	v_cvt_i32_f32_e32 v17, v18
	v_cmp_ngt_f32_e32 vcc, s60, v11
	v_ldexp_f32 v16, v16, v17
	v_cndmask_b32_e32 v16, 0, v16, vcc
	v_cmp_nlt_f32_e32 vcc, s61, v11
	v_mul_f32_e32 v11, 0x3fb8aa3b, v10
	v_cndmask_b32_e32 v65, v197, v16, vcc
	v_fma_f32 v16, v10, s41, -v11
	v_rndne_f32_e32 v17, v11
	v_fmac_f32_e32 v16, 0x32a5705f, v10
	v_sub_f32_e32 v11, v11, v17
	v_add_f32_e32 v11, v11, v16
	v_exp_f32_e32 v11, v11
	v_cvt_i32_f32_e32 v16, v17
	v_cmp_ngt_f32_e32 vcc, s60, v10
	v_ldexp_f32 v11, v11, v16
	v_cndmask_b32_e32 v11, 0, v11, vcc
	v_cmp_nlt_f32_e32 vcc, s61, v10
	v_mul_f32_e32 v10, 0x3fb8aa3b, v9
	v_cndmask_b32_e32 v66, v197, v11, vcc
	v_fma_f32 v11, v9, s41, -v10
	v_rndne_f32_e32 v16, v10
	v_fmac_f32_e32 v11, 0x32a5705f, v9
	v_sub_f32_e32 v10, v10, v16
	v_add_f32_e32 v10, v10, v11
	v_exp_f32_e32 v10, v10
	v_cvt_i32_f32_e32 v11, v16
	v_cmp_ngt_f32_e32 vcc, s60, v9
	v_ldexp_f32 v10, v10, v11
	v_cndmask_b32_e32 v10, 0, v10, vcc
	v_cmp_nlt_f32_e32 vcc, s61, v9
	v_mul_f32_e32 v9, 0x3fb8aa3b, v8
	v_cndmask_b32_e32 v67, v197, v10, vcc
	v_fma_f32 v10, v8, s41, -v9
	v_rndne_f32_e32 v11, v9
	v_fmac_f32_e32 v10, 0x32a5705f, v8
	v_sub_f32_e32 v9, v9, v11
	v_add_f32_e32 v9, v9, v10
	v_exp_f32_e32 v9, v9
	v_cvt_i32_f32_e32 v10, v11
	v_cmp_ngt_f32_e32 vcc, s60, v8
	v_ldexp_f32 v9, v9, v10
	v_cndmask_b32_e32 v9, 0, v9, vcc
	v_cmp_nlt_f32_e32 vcc, s61, v8
	v_mul_f32_e32 v8, 0x3fb8aa3b, v7
	v_cndmask_b32_e32 v68, v197, v9, vcc
	v_fma_f32 v9, v7, s41, -v8
	v_rndne_f32_e32 v10, v8
	v_fmac_f32_e32 v9, 0x32a5705f, v7
	v_sub_f32_e32 v8, v8, v10
	v_add_f32_e32 v8, v8, v9
	v_exp_f32_e32 v8, v8
	v_cvt_i32_f32_e32 v9, v10
	v_cmp_ngt_f32_e32 vcc, s60, v7
	v_ldexp_f32 v8, v8, v9
	v_cndmask_b32_e32 v8, 0, v8, vcc
	v_cmp_nlt_f32_e32 vcc, s61, v7
	v_mul_f32_e32 v7, 0x3fb8aa3b, v6
	v_cndmask_b32_e32 v69, v197, v8, vcc
	v_fma_f32 v8, v6, s41, -v7
	v_rndne_f32_e32 v9, v7
	v_fmac_f32_e32 v8, 0x32a5705f, v6
	v_sub_f32_e32 v7, v7, v9
	v_add_f32_e32 v7, v7, v8
	v_exp_f32_e32 v7, v7
	v_cvt_i32_f32_e32 v8, v9
	v_cmp_ngt_f32_e32 vcc, s60, v6
	v_ldexp_f32 v7, v7, v8
	v_cndmask_b32_e32 v7, 0, v7, vcc
	v_cmp_nlt_f32_e32 vcc, s61, v6
	v_mul_f32_e32 v6, 0x3fb8aa3b, v5
	v_cndmask_b32_e32 v141, v197, v7, vcc
	v_fma_f32 v7, v5, s41, -v6
	v_rndne_f32_e32 v8, v6
	v_fmac_f32_e32 v7, 0x32a5705f, v5
	v_sub_f32_e32 v6, v6, v8
	v_add_f32_e32 v6, v6, v7
	v_exp_f32_e32 v6, v6
	v_cvt_i32_f32_e32 v7, v8
	v_cmp_ngt_f32_e32 vcc, s60, v5
	v_ldexp_f32 v6, v6, v7
	v_cndmask_b32_e32 v6, 0, v6, vcc
	v_cmp_nlt_f32_e32 vcc, s61, v5
	v_cndmask_b32_e32 v5, v197, v6, vcc
	v_mul_f32_e32 v6, 0x3fb8aa3b, v4
	v_fma_f32 v7, v4, s41, -v6
	v_rndne_f32_e32 v8, v6
	v_fmac_f32_e32 v7, 0x32a5705f, v4
	v_sub_f32_e32 v6, v6, v8
	v_add_f32_e32 v6, v6, v7
	v_exp_f32_e32 v6, v6
	v_cvt_i32_f32_e32 v7, v8
	v_cmp_ngt_f32_e32 vcc, s60, v4
	v_ldexp_f32 v6, v6, v7
	v_cndmask_b32_e32 v6, 0, v6, vcc
	v_cmp_nlt_f32_e32 vcc, s61, v4
	v_add_f32_e32 v4, v15, v14
	v_add_f32_e32 v4, v62, v4
	v_add_f32_e32 v4, v19, v4
	v_add_f32_e32 v4, v64, v4
	v_add_f32_e32 v4, v63, v4
	v_add_f32_e32 v4, v12, v4
	v_add_f32_e32 v4, v13, v4
	v_add_f32_e32 v4, v66, v4
	v_add_f32_e32 v4, v65, v4
	v_add_f32_e32 v4, v68, v4
	v_add_f32_e32 v4, v67, v4
	v_add_f32_e32 v4, v141, v4
	v_cndmask_b32_e32 v142, v197, v6, vcc
	v_add_f32_e32 v4, v69, v4
	v_add_f32_e32 v4, v142, v4
	;; [unrolled: 1-line block ×3, first 2 shown]
	v_sub_f32_e32 v4, v26, v2
	v_mul_f32_e32 v6, 0x3fb8aa3b, v4
	v_fma_f32 v7, v4, s41, -v6
	v_rndne_f32_e32 v8, v6
	v_fmac_f32_e32 v7, 0x32a5705f, v4
	v_sub_f32_e32 v6, v6, v8
	v_add_f32_e32 v6, v6, v7
	v_exp_f32_e32 v6, v6
	v_cvt_i32_f32_e32 v7, v8
	v_cmp_ngt_f32_e32 vcc, s60, v4
	v_cvt_f16_f32_e32 v12, v12
	v_cvt_f16_f32_e32 v5, v5
	v_ldexp_f32 v6, v6, v7
	v_cndmask_b32_e32 v6, 0, v6, vcc
	v_cmp_nlt_f32_e32 vcc, s61, v4
	v_cndmask_b32_e32 v6, v197, v6, vcc
	v_cmp_le_f32_e32 vcc, s48, v4
	v_cndmask_b32_e32 v4, 0, v6, vcc
	v_fmac_f32_e32 v29, v27, v4
	v_cvt_f16_f32_e32 v4, v4
	v_pk_mul_f16 v7, v4, v209 op_sel_hi:[0,1]
	v_pk_mul_f16 v6, v4, v208 op_sel_hi:[0,1]
	v_pk_mul_f16 v9, v4, v211 op_sel_hi:[0,1]
	v_pk_mul_f16 v8, v4, v210 op_sel_hi:[0,1]
	v_pk_mul_f16 v11, v4, v213 op_sel_hi:[0,1]
	v_pk_mul_f16 v10, v4, v212 op_sel_hi:[0,1]
	v_pk_mul_f16 v17, v4, v215 op_sel_hi:[0,1]
	v_pk_mul_f16 v16, v4, v214 op_sel_hi:[0,1]
	v_pk_mul_f16 v21, v4, v217 op_sel_hi:[0,1]
	v_pk_mul_f16 v20, v4, v216 op_sel_hi:[0,1]
	v_pk_mul_f16 v23, v4, v219 op_sel_hi:[0,1]
	v_pk_mul_f16 v22, v4, v218 op_sel_hi:[0,1]
	v_pk_mul_f16 v25, v4, v221 op_sel_hi:[0,1]
	v_pk_mul_f16 v24, v4, v220 op_sel_hi:[0,1]
	v_pk_mul_f16 v27, v4, v222 op_sel_hi:[0,1]
	v_pk_mul_f16 v26, v4, v223 op_sel_hi:[0,1]
	v_cvt_f16_f32_e32 v4, v14
	v_cvt_f16_f32_e32 v14, v15
	v_pack_b32_f16 v18, v14, v4
	v_cvt_f16_f32_e32 v4, v19
	v_cvt_f16_f32_e32 v14, v62
	;; [unrolled: 1-line block ×3, first 2 shown]
	v_pack_b32_f16 v19, v14, v4
	v_cvt_f16_f32_e32 v4, v63
	v_cvt_f16_f32_e32 v14, v64
	v_mov_b32_e32 v63, s3
	v_pack_b32_f16 v14, v14, v4
	v_cvt_f16_f32_e32 v4, v13
	v_cvt_f16_f32_e32 v13, v68
	v_pack_b32_f16 v15, v12, v4
	v_cvt_f16_f32_e32 v4, v65
	v_cvt_f16_f32_e32 v12, v66
	v_mov_b32_e32 v65, s3
	v_pack_b32_f16 v12, v12, v4
	v_cvt_f16_f32_e32 v4, v67
	v_pack_b32_f16 v13, v13, v4
	v_cvt_f16_f32_e32 v4, v69
	;; [unrolled: 2-line block ×3, first 2 shown]
	v_pack_b32_f16 v5, v62, v5
	v_add_co_u32_e32 v62, vcc, s2, v36
	v_addc_co_u32_e32 v63, vcc, v63, v37, vcc
	v_add_co_u32_e32 v62, vcc, v62, v110
	v_addc_co_u32_e32 v63, vcc, 0, v63, vcc
	;; [unrolled: 2-line block ×4, first 2 shown]
	v_add_co_u32_e32 v64, vcc, s2, v40
	v_mov_b32_e32 v65, s3
	v_addc_co_u32_e32 v65, vcc, v65, v41, vcc
	v_add_co_u32_e32 v68, vcc, v64, v110
	v_addc_co_u32_e32 v69, vcc, 0, v65, vcc
	v_add_co_u32_e32 v64, vcc, s2, v42
	v_mov_b32_e32 v65, s3
	v_addc_co_u32_e32 v65, vcc, v65, v43, vcc
	v_add_co_u32_e32 v204, vcc, v64, v110
	v_addc_co_u32_e32 v205, vcc, 0, v65, vcc
	global_load_dwordx4 v[62:65], v[62:63], off
	s_waitcnt vmcnt(0)
	ds_write_b128 v99, v[62:65]
	global_load_dwordx4 v[62:65], v[66:67], off
	v_cvt_f32_f16_e32 v66, v6
	v_cvt_f32_f16_sdwa v67, v6 dst_sel:DWORD dst_unused:UNUSED_PAD src0_sel:WORD_1
	s_waitcnt vmcnt(0)
	ds_write_b128 v171, v[62:65]
	global_load_dwordx4 v[62:65], v[68:69], off
	s_waitcnt vmcnt(0)
	ds_write_b128 v172, v[62:65]
	global_load_dwordx4 v[62:65], v[204:205], off
	s_waitcnt vmcnt(0)
	ds_write_b128 v173, v[62:65]
	s_waitcnt lgkmcnt(0)
	s_barrier
	ds_read_u16 v68, v104 offset:544
	v_add_u32_e32 v62, v103, v98
	ds_read_u16 v6, v62
	ds_read_u16 v69, v62 offset:32
	v_add_u32_e32 v63, v103, v97
	v_cvt_f32_f16_e32 v64, v7
	v_cvt_f32_f16_sdwa v65, v7 dst_sel:DWORD dst_unused:UNUSED_PAD src0_sel:WORD_1
	s_waitcnt lgkmcnt(1)
	v_perm_b32 v7, v6, v68, s49
	ds_read_u16 v6, v102
	ds_read_u16 v68, v102 offset:32
	ds_read_u16 v141, v63 offset:272
	;; [unrolled: 1-line block ×3, first 2 shown]
	s_waitcnt lgkmcnt(1)
	v_perm_b32 v6, v141, v6, s49
	s_nop 1
	v_mfma_f32_16x16x16f16 v[64:67], v[6:7], v[18:19], v[64:67]
	ds_read_u16 v141, v102 offset:4352
	ds_read_u16 v144, v63 offset:4624
	;; [unrolled: 1-line block ×4, first 2 shown]
	s_nop 6
	v_cvt_f16_f32_e32 v6, v64
	v_cvt_f16_f32_e32 v7, v65
	;; [unrolled: 1-line block ×4, first 2 shown]
	v_cvt_f32_f16_e32 v64, v6
	v_cvt_f32_f16_e32 v65, v7
	s_waitcnt lgkmcnt(0)
	v_perm_b32 v7, v146, v145, s49
	v_perm_b32 v6, v144, v141, s49
	v_cvt_f32_f16_e32 v66, v66
	v_cvt_f32_f16_e32 v67, v67
	ds_read_u16 v141, v102 offset:8704
	ds_read_u16 v144, v63 offset:8976
	;; [unrolled: 1-line block ×4, first 2 shown]
	v_mfma_f32_16x16x16f16 v[64:67], v[6:7], v[14:15], v[64:67]
	s_nop 7
	s_nop 2
	v_cvt_f16_f32_e32 v6, v64
	v_cvt_f16_f32_e32 v7, v65
	;; [unrolled: 1-line block ×4, first 2 shown]
	v_cvt_f32_f16_e32 v64, v6
	v_cvt_f32_f16_e32 v65, v7
	s_waitcnt lgkmcnt(0)
	v_perm_b32 v7, v146, v145, s49
	v_perm_b32 v6, v144, v141, s49
	v_cvt_f32_f16_e32 v66, v66
	v_cvt_f32_f16_e32 v67, v67
	ds_read_u16 v141, v102 offset:13056
	ds_read_u16 v144, v63 offset:13328
	;; [unrolled: 1-line block ×4, first 2 shown]
	v_mfma_f32_16x16x16f16 v[64:67], v[6:7], v[12:13], v[64:67]
	s_nop 7
	s_nop 2
	v_cvt_f16_f32_e32 v6, v64
	v_cvt_f16_f32_e32 v7, v65
	;; [unrolled: 1-line block ×4, first 2 shown]
	v_cvt_f32_f16_e32 v64, v6
	v_cvt_f32_f16_e32 v65, v7
	s_waitcnt lgkmcnt(0)
	v_perm_b32 v7, v146, v145, s49
	v_perm_b32 v6, v144, v141, s49
	v_cvt_f32_f16_e32 v66, v66
	v_cvt_f32_f16_e32 v67, v67
	ds_read_u16 v141, v111 offset:544
	s_nop 0
	v_mfma_f32_16x16x16f16 v[64:67], v[6:7], v[4:5], v[64:67]
	s_nop 7
	s_nop 2
	v_cvt_f16_f32_e32 v6, v64
	v_cvt_f16_f32_e32 v7, v65
	;; [unrolled: 1-line block ×4, first 2 shown]
	v_cvt_f32_f16_e32 v66, v8
	v_pack_b32_f16 v6, v6, v7
	v_cvt_f32_f16_sdwa v67, v8 dst_sel:DWORD dst_unused:UNUSED_PAD src0_sel:WORD_1
	v_pack_b32_f16 v7, v64, v65
	v_cvt_f32_f16_e32 v64, v9
	v_cvt_f32_f16_sdwa v65, v9 dst_sel:DWORD dst_unused:UNUSED_PAD src0_sel:WORD_1
	s_waitcnt lgkmcnt(0)
	v_perm_b32 v9, v69, v141, s49
	v_perm_b32 v8, v142, v68, s49
	ds_read_u16 v68, v102 offset:4384
	ds_read_u16 v69, v63 offset:4656
	ds_read_u16 v141, v112 offset:544
	ds_read_u16 v142, v62 offset:4384
	v_mfma_f32_16x16x16f16 v[64:67], v[8:9], v[18:19], v[64:67]
	s_nop 7
	s_nop 2
	v_cvt_f16_f32_e32 v8, v64
	v_cvt_f16_f32_e32 v9, v65
	v_cvt_f16_f32_e32 v66, v66
	v_cvt_f16_f32_e32 v67, v67
	v_cvt_f32_f16_e32 v64, v8
	v_cvt_f32_f16_e32 v65, v9
	s_waitcnt lgkmcnt(0)
	v_perm_b32 v9, v142, v141, s49
	v_perm_b32 v8, v69, v68, s49
	v_cvt_f32_f16_e32 v66, v66
	v_cvt_f32_f16_e32 v67, v67
	ds_read_u16 v68, v102 offset:8736
	ds_read_u16 v69, v63 offset:9008
	ds_read_u16 v141, v113 offset:544
	ds_read_u16 v142, v62 offset:8736
	v_mfma_f32_16x16x16f16 v[64:67], v[8:9], v[14:15], v[64:67]
	s_nop 7
	s_nop 2
	v_cvt_f16_f32_e32 v8, v64
	v_cvt_f16_f32_e32 v9, v65
	v_cvt_f16_f32_e32 v66, v66
	v_cvt_f16_f32_e32 v67, v67
	v_cvt_f32_f16_e32 v64, v8
	v_cvt_f32_f16_e32 v65, v9
	s_waitcnt lgkmcnt(0)
	v_perm_b32 v9, v142, v141, s49
	v_perm_b32 v8, v69, v68, s49
	v_cvt_f32_f16_e32 v66, v66
	v_cvt_f32_f16_e32 v67, v67
	;; [unrolled: 18-line block ×3, first 2 shown]
	ds_read_u16 v68, v102 offset:64
	ds_read_u16 v69, v63 offset:336
	;; [unrolled: 1-line block ×4, first 2 shown]
	v_mfma_f32_16x16x16f16 v[64:67], v[8:9], v[4:5], v[64:67]
	s_nop 7
	s_nop 2
	v_cvt_f16_f32_e32 v8, v64
	v_cvt_f16_f32_e32 v9, v65
	;; [unrolled: 1-line block ×4, first 2 shown]
	v_cvt_f32_f16_e32 v66, v10
	v_pack_b32_f16 v8, v8, v9
	v_cvt_f32_f16_sdwa v67, v10 dst_sel:DWORD dst_unused:UNUSED_PAD src0_sel:WORD_1
	v_pack_b32_f16 v9, v64, v65
	v_cvt_f32_f16_e32 v64, v11
	v_cvt_f32_f16_sdwa v65, v11 dst_sel:DWORD dst_unused:UNUSED_PAD src0_sel:WORD_1
	s_waitcnt lgkmcnt(0)
	v_perm_b32 v11, v142, v141, s49
	v_perm_b32 v10, v69, v68, s49
	ds_read_u16 v68, v102 offset:4416
	ds_read_u16 v69, v63 offset:4688
	ds_read_u16 v141, v116 offset:544
	ds_read_u16 v142, v62 offset:4416
	v_mfma_f32_16x16x16f16 v[64:67], v[10:11], v[18:19], v[64:67]
	s_nop 7
	s_nop 2
	v_cvt_f16_f32_e32 v10, v64
	v_cvt_f16_f32_e32 v11, v65
	v_cvt_f16_f32_e32 v66, v66
	v_cvt_f16_f32_e32 v67, v67
	v_cvt_f32_f16_e32 v64, v10
	v_cvt_f32_f16_e32 v65, v11
	s_waitcnt lgkmcnt(0)
	v_perm_b32 v11, v142, v141, s49
	v_perm_b32 v10, v69, v68, s49
	v_cvt_f32_f16_e32 v66, v66
	v_cvt_f32_f16_e32 v67, v67
	ds_read_u16 v68, v102 offset:8768
	ds_read_u16 v69, v63 offset:9040
	ds_read_u16 v141, v117 offset:544
	ds_read_u16 v142, v62 offset:8768
	v_mfma_f32_16x16x16f16 v[64:67], v[10:11], v[14:15], v[64:67]
	s_nop 7
	s_nop 2
	v_cvt_f16_f32_e32 v10, v64
	v_cvt_f16_f32_e32 v11, v65
	v_cvt_f16_f32_e32 v66, v66
	v_cvt_f16_f32_e32 v67, v67
	v_cvt_f32_f16_e32 v64, v10
	v_cvt_f32_f16_e32 v65, v11
	s_waitcnt lgkmcnt(0)
	v_perm_b32 v11, v142, v141, s49
	v_perm_b32 v10, v69, v68, s49
	v_cvt_f32_f16_e32 v66, v66
	v_cvt_f32_f16_e32 v67, v67
	;; [unrolled: 18-line block ×3, first 2 shown]
	ds_read_u16 v68, v102 offset:96
	ds_read_u16 v69, v63 offset:368
	;; [unrolled: 1-line block ×4, first 2 shown]
	v_mfma_f32_16x16x16f16 v[64:67], v[10:11], v[4:5], v[64:67]
	s_nop 7
	s_nop 2
	v_cvt_f16_f32_e32 v10, v64
	v_cvt_f16_f32_e32 v11, v65
	;; [unrolled: 1-line block ×4, first 2 shown]
	v_cvt_f32_f16_e32 v66, v16
	v_pack_b32_f16 v10, v10, v11
	v_cvt_f32_f16_sdwa v67, v16 dst_sel:DWORD dst_unused:UNUSED_PAD src0_sel:WORD_1
	v_pack_b32_f16 v11, v64, v65
	v_cvt_f32_f16_e32 v64, v17
	v_cvt_f32_f16_sdwa v65, v17 dst_sel:DWORD dst_unused:UNUSED_PAD src0_sel:WORD_1
	s_waitcnt lgkmcnt(0)
	v_perm_b32 v17, v142, v141, s49
	v_perm_b32 v16, v69, v68, s49
	ds_read_u16 v68, v102 offset:4448
	ds_read_u16 v69, v63 offset:4720
	ds_read_u16 v141, v120 offset:544
	ds_read_u16 v142, v62 offset:4448
	v_mfma_f32_16x16x16f16 v[64:67], v[16:17], v[18:19], v[64:67]
	s_nop 7
	s_nop 2
	v_cvt_f16_f32_e32 v16, v64
	v_cvt_f16_f32_e32 v17, v65
	v_cvt_f16_f32_e32 v66, v66
	v_cvt_f16_f32_e32 v67, v67
	v_cvt_f32_f16_e32 v64, v16
	v_cvt_f32_f16_e32 v65, v17
	s_waitcnt lgkmcnt(0)
	v_perm_b32 v17, v142, v141, s49
	v_perm_b32 v16, v69, v68, s49
	v_cvt_f32_f16_e32 v66, v66
	v_cvt_f32_f16_e32 v67, v67
	ds_read_u16 v68, v102 offset:8800
	ds_read_u16 v69, v63 offset:9072
	ds_read_u16 v141, v121 offset:544
	ds_read_u16 v142, v62 offset:8800
	v_mfma_f32_16x16x16f16 v[64:67], v[16:17], v[14:15], v[64:67]
	s_nop 7
	s_nop 2
	v_cvt_f16_f32_e32 v16, v64
	v_cvt_f16_f32_e32 v17, v65
	v_cvt_f16_f32_e32 v66, v66
	v_cvt_f16_f32_e32 v67, v67
	v_cvt_f32_f16_e32 v64, v16
	v_cvt_f32_f16_e32 v65, v17
	s_waitcnt lgkmcnt(0)
	v_perm_b32 v17, v142, v141, s49
	v_perm_b32 v16, v69, v68, s49
	v_cvt_f32_f16_e32 v66, v66
	v_cvt_f32_f16_e32 v67, v67
	;; [unrolled: 18-line block ×3, first 2 shown]
	ds_read_u16 v68, v102 offset:128
	ds_read_u16 v69, v63 offset:400
	;; [unrolled: 1-line block ×4, first 2 shown]
	v_mfma_f32_16x16x16f16 v[64:67], v[16:17], v[4:5], v[64:67]
	s_nop 7
	s_nop 2
	v_cvt_f16_f32_e32 v16, v64
	v_cvt_f16_f32_e32 v17, v65
	;; [unrolled: 1-line block ×4, first 2 shown]
	v_cvt_f32_f16_e32 v66, v20
	v_pack_b32_f16 v16, v16, v17
	v_cvt_f32_f16_sdwa v67, v20 dst_sel:DWORD dst_unused:UNUSED_PAD src0_sel:WORD_1
	v_pack_b32_f16 v17, v64, v65
	v_cvt_f32_f16_e32 v64, v21
	v_cvt_f32_f16_sdwa v65, v21 dst_sel:DWORD dst_unused:UNUSED_PAD src0_sel:WORD_1
	s_waitcnt lgkmcnt(0)
	v_perm_b32 v21, v142, v141, s49
	v_perm_b32 v20, v69, v68, s49
	ds_read_u16 v68, v102 offset:4480
	ds_read_u16 v69, v63 offset:4752
	ds_read_u16 v141, v124 offset:544
	ds_read_u16 v142, v62 offset:4480
	v_mfma_f32_16x16x16f16 v[64:67], v[20:21], v[18:19], v[64:67]
	s_nop 7
	s_nop 2
	v_cvt_f16_f32_e32 v20, v64
	v_cvt_f16_f32_e32 v21, v65
	v_cvt_f16_f32_e32 v66, v66
	v_cvt_f16_f32_e32 v67, v67
	v_cvt_f32_f16_e32 v64, v20
	v_cvt_f32_f16_e32 v65, v21
	s_waitcnt lgkmcnt(0)
	v_perm_b32 v21, v142, v141, s49
	v_perm_b32 v20, v69, v68, s49
	v_cvt_f32_f16_e32 v66, v66
	v_cvt_f32_f16_e32 v67, v67
	ds_read_u16 v68, v102 offset:8832
	ds_read_u16 v69, v63 offset:9104
	ds_read_u16 v141, v125 offset:544
	ds_read_u16 v142, v62 offset:8832
	v_mfma_f32_16x16x16f16 v[64:67], v[20:21], v[14:15], v[64:67]
	s_nop 7
	s_nop 2
	v_cvt_f16_f32_e32 v20, v64
	v_cvt_f16_f32_e32 v21, v65
	v_cvt_f16_f32_e32 v66, v66
	v_cvt_f16_f32_e32 v67, v67
	v_cvt_f32_f16_e32 v64, v20
	v_cvt_f32_f16_e32 v65, v21
	s_waitcnt lgkmcnt(0)
	v_perm_b32 v21, v142, v141, s49
	v_perm_b32 v20, v69, v68, s49
	v_cvt_f32_f16_e32 v66, v66
	v_cvt_f32_f16_e32 v67, v67
	;; [unrolled: 18-line block ×3, first 2 shown]
	ds_read_u16 v68, v102 offset:160
	ds_read_u16 v69, v63 offset:432
	ds_read_u16 v141, v127 offset:544
	ds_read_u16 v142, v62 offset:160
	v_mfma_f32_16x16x16f16 v[64:67], v[20:21], v[4:5], v[64:67]
	s_nop 7
	s_nop 2
	v_cvt_f16_f32_e32 v20, v64
	v_cvt_f16_f32_e32 v21, v65
	;; [unrolled: 1-line block ×4, first 2 shown]
	v_cvt_f32_f16_e32 v66, v22
	v_pack_b32_f16 v20, v20, v21
	v_cvt_f32_f16_sdwa v67, v22 dst_sel:DWORD dst_unused:UNUSED_PAD src0_sel:WORD_1
	v_pack_b32_f16 v21, v64, v65
	v_cvt_f32_f16_e32 v64, v23
	v_cvt_f32_f16_sdwa v65, v23 dst_sel:DWORD dst_unused:UNUSED_PAD src0_sel:WORD_1
	s_waitcnt lgkmcnt(0)
	v_perm_b32 v23, v142, v141, s49
	v_perm_b32 v22, v69, v68, s49
	ds_read_u16 v68, v102 offset:4512
	ds_read_u16 v69, v63 offset:4784
	ds_read_u16 v141, v128 offset:544
	ds_read_u16 v142, v62 offset:4512
	v_mfma_f32_16x16x16f16 v[64:67], v[22:23], v[18:19], v[64:67]
	s_nop 7
	s_nop 2
	v_cvt_f16_f32_e32 v22, v64
	v_cvt_f16_f32_e32 v23, v65
	v_cvt_f16_f32_e32 v66, v66
	v_cvt_f16_f32_e32 v67, v67
	v_cvt_f32_f16_e32 v64, v22
	v_cvt_f32_f16_e32 v65, v23
	s_waitcnt lgkmcnt(0)
	v_perm_b32 v23, v142, v141, s49
	v_perm_b32 v22, v69, v68, s49
	v_cvt_f32_f16_e32 v66, v66
	v_cvt_f32_f16_e32 v67, v67
	ds_read_u16 v68, v102 offset:8864
	ds_read_u16 v69, v63 offset:9136
	ds_read_u16 v141, v129 offset:544
	ds_read_u16 v142, v62 offset:8864
	v_mfma_f32_16x16x16f16 v[64:67], v[22:23], v[14:15], v[64:67]
	s_nop 7
	s_nop 2
	v_cvt_f16_f32_e32 v22, v64
	v_cvt_f16_f32_e32 v23, v65
	v_cvt_f16_f32_e32 v66, v66
	v_cvt_f16_f32_e32 v67, v67
	v_cvt_f32_f16_e32 v64, v22
	v_cvt_f32_f16_e32 v65, v23
	s_waitcnt lgkmcnt(0)
	v_perm_b32 v23, v142, v141, s49
	v_perm_b32 v22, v69, v68, s49
	v_cvt_f32_f16_e32 v66, v66
	v_cvt_f32_f16_e32 v67, v67
	;; [unrolled: 18-line block ×3, first 2 shown]
	ds_read_u16 v68, v102 offset:192
	ds_read_u16 v69, v63 offset:464
	ds_read_u16 v141, v131 offset:544
	ds_read_u16 v142, v62 offset:192
	v_mfma_f32_16x16x16f16 v[64:67], v[22:23], v[4:5], v[64:67]
	s_nop 7
	s_nop 2
	v_cvt_f16_f32_e32 v22, v64
	v_cvt_f16_f32_e32 v23, v65
	;; [unrolled: 1-line block ×4, first 2 shown]
	v_cvt_f32_f16_e32 v66, v24
	v_pack_b32_f16 v22, v22, v23
	v_cvt_f32_f16_sdwa v67, v24 dst_sel:DWORD dst_unused:UNUSED_PAD src0_sel:WORD_1
	v_pack_b32_f16 v23, v64, v65
	v_cvt_f32_f16_e32 v64, v25
	v_cvt_f32_f16_sdwa v65, v25 dst_sel:DWORD dst_unused:UNUSED_PAD src0_sel:WORD_1
	s_waitcnt lgkmcnt(0)
	v_perm_b32 v25, v142, v141, s49
	v_perm_b32 v24, v69, v68, s49
	ds_read_u16 v68, v102 offset:4544
	ds_read_u16 v69, v63 offset:4816
	ds_read_u16 v141, v132 offset:544
	ds_read_u16 v142, v62 offset:4544
	v_mfma_f32_16x16x16f16 v[64:67], v[24:25], v[18:19], v[64:67]
	s_nop 7
	s_nop 2
	v_cvt_f16_f32_e32 v24, v64
	v_cvt_f16_f32_e32 v25, v65
	v_cvt_f16_f32_e32 v66, v66
	v_cvt_f16_f32_e32 v67, v67
	v_cvt_f32_f16_e32 v64, v24
	v_cvt_f32_f16_e32 v65, v25
	s_waitcnt lgkmcnt(0)
	v_perm_b32 v25, v142, v141, s49
	v_perm_b32 v24, v69, v68, s49
	v_cvt_f32_f16_e32 v66, v66
	v_cvt_f32_f16_e32 v67, v67
	ds_read_u16 v68, v102 offset:8896
	ds_read_u16 v69, v63 offset:9168
	ds_read_u16 v141, v133 offset:544
	ds_read_u16 v142, v62 offset:8896
	v_mfma_f32_16x16x16f16 v[64:67], v[24:25], v[14:15], v[64:67]
	s_nop 7
	s_nop 2
	v_cvt_f16_f32_e32 v24, v64
	v_cvt_f16_f32_e32 v25, v65
	v_cvt_f16_f32_e32 v66, v66
	v_cvt_f16_f32_e32 v67, v67
	v_cvt_f32_f16_e32 v64, v24
	v_cvt_f32_f16_e32 v65, v25
	s_waitcnt lgkmcnt(0)
	v_perm_b32 v25, v142, v141, s49
	v_perm_b32 v24, v69, v68, s49
	v_cvt_f32_f16_e32 v66, v66
	v_cvt_f32_f16_e32 v67, v67
	;; [unrolled: 18-line block ×3, first 2 shown]
	ds_read_u16 v68, v102 offset:224
	ds_read_u16 v69, v63 offset:496
	;; [unrolled: 1-line block ×4, first 2 shown]
	v_mfma_f32_16x16x16f16 v[64:67], v[24:25], v[4:5], v[64:67]
	s_nop 7
	s_nop 2
	v_cvt_f16_f32_e32 v24, v64
	v_cvt_f16_f32_e32 v25, v65
	;; [unrolled: 1-line block ×4, first 2 shown]
	v_cvt_f32_f16_e32 v66, v26
	v_pack_b32_f16 v24, v24, v25
	v_cvt_f32_f16_sdwa v67, v26 dst_sel:DWORD dst_unused:UNUSED_PAD src0_sel:WORD_1
	v_pack_b32_f16 v25, v64, v65
	v_cvt_f32_f16_e32 v64, v27
	v_cvt_f32_f16_sdwa v65, v27 dst_sel:DWORD dst_unused:UNUSED_PAD src0_sel:WORD_1
	s_waitcnt lgkmcnt(0)
	v_perm_b32 v27, v142, v141, s49
	v_perm_b32 v26, v69, v68, s49
	ds_read_u16 v68, v102 offset:4576
	ds_read_u16 v69, v63 offset:4848
	;; [unrolled: 1-line block ×4, first 2 shown]
	v_mfma_f32_16x16x16f16 v[64:67], v[26:27], v[18:19], v[64:67]
	s_nop 7
	s_nop 2
	v_cvt_f16_f32_e32 v18, v64
	v_cvt_f16_f32_e32 v19, v65
	;; [unrolled: 1-line block ×4, first 2 shown]
	v_cvt_f32_f16_e32 v64, v18
	v_cvt_f32_f16_e32 v65, v19
	s_waitcnt lgkmcnt(0)
	v_perm_b32 v19, v142, v141, s49
	v_perm_b32 v18, v69, v68, s49
	v_cvt_f32_f16_e32 v66, v26
	v_cvt_f32_f16_e32 v67, v27
	ds_read_u16 v26, v102 offset:8928
	ds_read_u16 v27, v63 offset:9200
	;; [unrolled: 1-line block ×4, first 2 shown]
	v_mfma_f32_16x16x16f16 v[64:67], v[18:19], v[14:15], v[64:67]
	s_nop 7
	s_nop 2
	v_cvt_f16_f32_e32 v14, v64
	v_cvt_f16_f32_e32 v15, v65
	;; [unrolled: 1-line block ×4, first 2 shown]
	v_cvt_f32_f16_e32 v64, v14
	v_cvt_f32_f16_e32 v65, v15
	s_waitcnt lgkmcnt(0)
	v_perm_b32 v15, v69, v68, s49
	v_perm_b32 v14, v27, v26, s49
	v_cvt_f32_f16_e32 v66, v18
	v_cvt_f32_f16_e32 v67, v19
	s_nop 1
	v_mfma_f32_16x16x16f16 v[64:67], v[14:15], v[12:13], v[64:67]
	ds_read_u16 v12, v102 offset:13280
	ds_read_u16 v13, v63 offset:13552
	;; [unrolled: 1-line block ×4, first 2 shown]
	s_waitcnt lgkmcnt(0)
	s_barrier
	s_nop 4
	v_cvt_f16_f32_e32 v15, v64
	v_cvt_f16_f32_e32 v18, v65
	;; [unrolled: 1-line block ×4, first 2 shown]
	v_cvt_f32_f16_e32 v62, v15
	v_perm_b32 v15, v27, v14, s49
	v_perm_b32 v14, v13, v12, s49
	v_cvt_f32_f16_e32 v63, v18
	v_cvt_f32_f16_e32 v64, v19
	;; [unrolled: 1-line block ×3, first 2 shown]
	s_nop 1
	v_mfma_f32_16x16x16f16 v[12:15], v[14:15], v[4:5], v[62:65]
	s_nop 7
	s_nop 2
	v_cvt_f16_f32_e32 v4, v12
	v_cvt_f16_f32_e32 v5, v13
	;; [unrolled: 1-line block ×4, first 2 shown]
	v_pack_b32_f16 v4, v4, v5
	v_pack_b32_f16 v5, v12, v13
	ds_bpermute_b32 v12, v28, v29
	s_waitcnt lgkmcnt(0)
	v_add_f32_e32 v12, v29, v12
	ds_bpermute_b32 v3, v3, v12
	s_waitcnt lgkmcnt(0)
	v_add_f32_e32 v3, v12, v3
	s_cbranch_scc0 .LBB24_259
; %bb.89:                               ;   in Loop: Header=BB24_13 Depth=1
	v_lshlrev_b32_e32 v12, 2, v56
	global_load_dword v13, v12, s[68:69]
	v_max_f32_e32 v12, v2, v2
	s_waitcnt vmcnt(0)
	v_max_f32_e32 v14, v13, v13
	v_max_f32_e32 v12, v12, v14
	v_sub_f32_e32 v14, v2, v12
	v_sub_f32_e32 v13, v13, v12
	v_mul_f32_e32 v15, 0x3fb8aa3b, v14
	v_mul_f32_e32 v18, 0x3fb8aa3b, v13
	v_fma_f32 v19, v14, s41, -v15
	v_rndne_f32_e32 v26, v15
	v_fma_f32 v27, v13, s41, -v18
	v_rndne_f32_e32 v28, v18
	v_fmac_f32_e32 v19, 0x32a5705f, v14
	v_sub_f32_e32 v15, v15, v26
	v_fmac_f32_e32 v27, 0x32a5705f, v13
	v_sub_f32_e32 v18, v18, v28
	v_add_f32_e32 v15, v15, v19
	v_cvt_i32_f32_e32 v26, v26
	v_add_f32_e32 v18, v18, v27
	v_exp_f32_e32 v15, v15
	v_cvt_i32_f32_e32 v28, v28
	v_exp_f32_e32 v18, v18
	v_cmp_ngt_f32_e32 vcc, s60, v14
	v_ldexp_f32 v15, v15, v26
	v_cndmask_b32_e32 v15, 0, v15, vcc
	v_ldexp_f32 v18, v18, v28
	v_cmp_ngt_f32_e32 vcc, s60, v13
	v_cndmask_b32_e32 v18, 0, v18, vcc
	v_cmp_nlt_f32_e32 vcc, s61, v14
	v_cndmask_b32_e32 v15, v197, v15, vcc
	v_cmp_le_f32_e32 vcc, s48, v14
	v_cndmask_b32_e32 v14, 0, v15, vcc
	v_cvt_f16_f32_e32 v69, v14
	v_cmp_nlt_f32_e32 vcc, s61, v13
	v_cndmask_b32_e32 v13, v197, v18, vcc
	v_fmac_f32_e32 v13, v3, v14
	v_pk_mul_f16 v14, v69, v6 op_sel_hi:[0,1]
	v_pk_mul_f16 v15, v69, v7 op_sel_hi:[0,1]
	;; [unrolled: 1-line block ×16, first 2 shown]
	s_cbranch_execnz .LBB24_91
.LBB24_90:                              ;   in Loop: Header=BB24_13 Depth=1
	v_pk_mov_b32 v[68:69], v[4:5], v[4:5] op_sel:[0,1]
	v_pk_mov_b32 v[66:67], v[24:25], v[24:25] op_sel:[0,1]
	;; [unrolled: 1-line block ×9, first 2 shown]
.LBB24_91:                              ;   in Loop: Header=BB24_13 Depth=1
	s_barrier
	s_mov_b64 s[2:3], exec
	v_readlane_b32 s4, v255, 29
	v_readlane_b32 s5, v255, 30
	s_and_b64 s[4:5], s[2:3], s[4:5]
	s_mov_b64 exec, s[4:5]
	s_cbranch_execz .LBB24_93
; %bb.92:                               ;   in Loop: Header=BB24_13 Depth=1
	global_store_dwordx2 v[34:35], v[12:13], off
.LBB24_93:                              ;   in Loop: Header=BB24_13 Depth=1
	s_or_b64 exec, exec, s[2:3]
	v_cmp_gt_i32_e64 s[2:3], s24, v203
	v_cmp_gt_i32_e64 s[4:5], s33, v1
	v_cmp_le_i32_e32 vcc, s33, v1
	s_and_b64 s[2:3], s[2:3], s[4:5]
	v_mov_b32_e32 v2, 50
	ds_write2_b32 v166, v14, v15 offset1:1
	ds_write2_b32 v166, v18, v19 offset0:8 offset1:9
	ds_write2_b32 v166, v26, v27 offset0:16 offset1:17
	;; [unrolled: 1-line block ×7, first 2 shown]
	s_waitcnt lgkmcnt(0)
	s_barrier
	s_and_saveexec_b64 s[4:5], s[2:3]
	s_cbranch_execz .LBB24_95
; %bb.94:                               ;   in Loop: Header=BB24_13 Depth=1
	ds_read_b32 v4, v139
	v_mad_u64_u32 v[2:3], s[2:3], v203, s25, v[30:31]
	v_lshl_add_u32 v2, v2, 6, v32
	v_ashrrev_i32_e32 v3, 31, v2
	s_waitcnt lgkmcnt(0)
	v_cvt_f32_f16_sdwa v5, v4 dst_sel:DWORD dst_unused:UNUSED_PAD src0_sel:WORD_1
	v_cvt_f32_f16_e32 v4, v4
	v_lshlrev_b64 v[2:3], 3, v[2:3]
	v_mov_b32_e32 v6, s1
	v_add_co_u32_e64 v2, s[2:3], s0, v2
	v_addc_co_u32_e64 v3, s[2:3], v6, v3, s[2:3]
	v_pk_add_f32 v[4:5], v[4:5], 0 op_sel_hi:[1,0]
	global_store_dwordx2 v[2:3], v[4:5], off
	v_mov_b32_e32 v2, 0
.LBB24_95:                              ;   in Loop: Header=BB24_13 Depth=1
	s_or_b64 exec, exec, s[4:5]
	v_cmp_gt_i32_e64 s[2:3], 50, v2
	s_mov_b64 s[56:57], -1
	s_and_saveexec_b64 s[4:5], s[2:3]
; %bb.96:                               ;   in Loop: Header=BB24_13 Depth=1
	v_cmp_eq_u32_e64 s[2:3], 0, v2
	s_orn2_b64 s[56:57], s[2:3], exec
; %bb.97:                               ;   in Loop: Header=BB24_13 Depth=1
	s_or_b64 exec, exec, s[4:5]
	s_mov_b64 s[34:35], 0
	s_mov_b64 s[4:5], 0
                                        ; implicit-def: $vgpr2_vgpr3
	s_and_saveexec_b64 s[52:53], s[56:57]
	s_cbranch_execz .LBB24_185
; %bb.98:                               ;   in Loop: Header=BB24_13 Depth=1
	v_cmp_gt_i32_e64 s[2:3], s24, v202
	s_xor_b64 s[56:57], vcc, -1
	s_and_b64 s[4:5], s[2:3], s[56:57]
	v_mov_b32_e32 v2, 50
	s_and_saveexec_b64 s[2:3], s[4:5]
	s_cbranch_execz .LBB24_100
; %bb.99:                               ;   in Loop: Header=BB24_13 Depth=1
	ds_read_b32 v4, v178
	v_mad_u64_u32 v[2:3], s[4:5], v202, s25, v[30:31]
	v_lshl_add_u32 v2, v2, 6, v32
	v_ashrrev_i32_e32 v3, 31, v2
	s_waitcnt lgkmcnt(0)
	v_cvt_f32_f16_sdwa v5, v4 dst_sel:DWORD dst_unused:UNUSED_PAD src0_sel:WORD_1
	v_cvt_f32_f16_e32 v4, v4
	v_lshlrev_b64 v[2:3], 3, v[2:3]
	v_mov_b32_e32 v6, s1
	v_add_co_u32_e32 v2, vcc, s0, v2
	v_addc_co_u32_e32 v3, vcc, v6, v3, vcc
	v_pk_add_f32 v[4:5], v[4:5], 0 op_sel_hi:[1,0]
	global_store_dwordx2 v[2:3], v[4:5], off
	v_mov_b32_e32 v2, 0
.LBB24_100:                             ;   in Loop: Header=BB24_13 Depth=1
	s_or_b64 exec, exec, s[2:3]
	v_cmp_gt_i32_e32 vcc, 50, v2
	s_mov_b64 s[70:71], -1
	s_and_saveexec_b64 s[2:3], vcc
; %bb.101:                              ;   in Loop: Header=BB24_13 Depth=1
	v_cmp_eq_u32_e32 vcc, 0, v2
	s_orn2_b64 s[70:71], vcc, exec
; %bb.102:                              ;   in Loop: Header=BB24_13 Depth=1
	s_or_b64 exec, exec, s[2:3]
	s_mov_b64 s[4:5], 0
                                        ; implicit-def: $vgpr2_vgpr3
	s_and_saveexec_b64 s[2:3], s[70:71]
	s_cbranch_execz .LBB24_184
; %bb.103:                              ;   in Loop: Header=BB24_13 Depth=1
	v_cmp_gt_i32_e32 vcc, s24, v201
	s_and_b64 s[70:71], vcc, s[56:57]
	v_mov_b32_e32 v2, 50
	s_and_saveexec_b64 s[4:5], s[70:71]
	s_cbranch_execz .LBB24_105
; %bb.104:                              ;   in Loop: Header=BB24_13 Depth=1
	ds_read_b32 v4, v180
	v_mad_u64_u32 v[2:3], s[70:71], v201, s25, v[30:31]
	v_lshl_add_u32 v2, v2, 6, v32
	v_ashrrev_i32_e32 v3, 31, v2
	s_waitcnt lgkmcnt(0)
	v_cvt_f32_f16_sdwa v5, v4 dst_sel:DWORD dst_unused:UNUSED_PAD src0_sel:WORD_1
	v_cvt_f32_f16_e32 v4, v4
	v_lshlrev_b64 v[2:3], 3, v[2:3]
	v_mov_b32_e32 v6, s1
	v_add_co_u32_e32 v2, vcc, s0, v2
	v_addc_co_u32_e32 v3, vcc, v6, v3, vcc
	v_pk_add_f32 v[4:5], v[4:5], 0 op_sel_hi:[1,0]
	global_store_dwordx2 v[2:3], v[4:5], off
	v_mov_b32_e32 v2, 0
.LBB24_105:                             ;   in Loop: Header=BB24_13 Depth=1
	s_or_b64 exec, exec, s[4:5]
	v_cmp_gt_i32_e32 vcc, 50, v2
	s_mov_b64 s[72:73], -1
	s_and_saveexec_b64 s[4:5], vcc
; %bb.106:                              ;   in Loop: Header=BB24_13 Depth=1
	v_cmp_eq_u32_e32 vcc, 0, v2
	s_orn2_b64 s[72:73], vcc, exec
; %bb.107:                              ;   in Loop: Header=BB24_13 Depth=1
	s_or_b64 exec, exec, s[4:5]
	s_mov_b64 s[70:71], 0
                                        ; implicit-def: $vgpr2_vgpr3
	s_and_saveexec_b64 s[4:5], s[72:73]
	s_cbranch_execz .LBB24_183
; %bb.108:                              ;   in Loop: Header=BB24_13 Depth=1
	v_cmp_gt_i32_e32 vcc, s24, v200
	s_and_b64 s[72:73], vcc, s[56:57]
	v_mov_b32_e32 v2, 50
	s_and_saveexec_b64 s[70:71], s[72:73]
	s_cbranch_execz .LBB24_110
; %bb.109:                              ;   in Loop: Header=BB24_13 Depth=1
	ds_read_b32 v4, v182
	v_mad_u64_u32 v[2:3], s[72:73], v200, s25, v[30:31]
	v_lshl_add_u32 v2, v2, 6, v32
	v_ashrrev_i32_e32 v3, 31, v2
	s_waitcnt lgkmcnt(0)
	v_cvt_f32_f16_sdwa v5, v4 dst_sel:DWORD dst_unused:UNUSED_PAD src0_sel:WORD_1
	v_cvt_f32_f16_e32 v4, v4
	v_lshlrev_b64 v[2:3], 3, v[2:3]
	v_mov_b32_e32 v6, s1
	v_add_co_u32_e32 v2, vcc, s0, v2
	v_addc_co_u32_e32 v3, vcc, v6, v3, vcc
	v_pk_add_f32 v[4:5], v[4:5], 0 op_sel_hi:[1,0]
	global_store_dwordx2 v[2:3], v[4:5], off
	v_mov_b32_e32 v2, 0
.LBB24_110:                             ;   in Loop: Header=BB24_13 Depth=1
	;; [unrolled: 35-line block ×3, first 2 shown]
	s_or_b64 exec, exec, s[72:73]
	v_cmp_gt_i32_e32 vcc, 50, v2
	s_mov_b64 s[76:77], -1
	s_and_saveexec_b64 s[72:73], vcc
; %bb.116:                              ;   in Loop: Header=BB24_13 Depth=1
	v_cmp_eq_u32_e32 vcc, 0, v2
	s_orn2_b64 s[76:77], vcc, exec
; %bb.117:                              ;   in Loop: Header=BB24_13 Depth=1
	s_or_b64 exec, exec, s[72:73]
	s_mov_b64 s[74:75], 0
                                        ; implicit-def: $vgpr2_vgpr3
	s_and_saveexec_b64 s[72:73], s[76:77]
	s_cbranch_execz .LBB24_181
; %bb.118:                              ;   in Loop: Header=BB24_13 Depth=1
	v_cmp_gt_i32_e32 vcc, s24, v78
	s_and_b64 s[76:77], vcc, s[56:57]
	v_mov_b32_e32 v2, 50
	s_and_saveexec_b64 s[74:75], s[76:77]
	s_cbranch_execz .LBB24_120
; %bb.119:                              ;   in Loop: Header=BB24_13 Depth=1
	ds_read_b32 v4, v182 offset:2176
	v_mad_u64_u32 v[2:3], s[76:77], v78, s25, v[30:31]
	v_lshl_add_u32 v2, v2, 6, v32
	v_ashrrev_i32_e32 v3, 31, v2
	s_waitcnt lgkmcnt(0)
	v_cvt_f32_f16_sdwa v5, v4 dst_sel:DWORD dst_unused:UNUSED_PAD src0_sel:WORD_1
	v_cvt_f32_f16_e32 v4, v4
	v_lshlrev_b64 v[2:3], 3, v[2:3]
	v_mov_b32_e32 v6, s1
	v_add_co_u32_e32 v2, vcc, s0, v2
	v_addc_co_u32_e32 v3, vcc, v6, v3, vcc
	v_pk_add_f32 v[4:5], v[4:5], 0 op_sel_hi:[1,0]
	global_store_dwordx2 v[2:3], v[4:5], off
	v_mov_b32_e32 v2, 0
.LBB24_120:                             ;   in Loop: Header=BB24_13 Depth=1
	s_or_b64 exec, exec, s[74:75]
	v_cmp_gt_i32_e32 vcc, 50, v2
	s_mov_b64 s[78:79], -1
	s_and_saveexec_b64 s[74:75], vcc
; %bb.121:                              ;   in Loop: Header=BB24_13 Depth=1
	v_cmp_eq_u32_e32 vcc, 0, v2
	s_orn2_b64 s[78:79], vcc, exec
; %bb.122:                              ;   in Loop: Header=BB24_13 Depth=1
	s_or_b64 exec, exec, s[74:75]
	s_mov_b64 s[76:77], 0
                                        ; implicit-def: $vgpr2_vgpr3
	s_and_saveexec_b64 s[74:75], s[78:79]
	s_cbranch_execz .LBB24_180
; %bb.123:                              ;   in Loop: Header=BB24_13 Depth=1
	v_cmp_gt_i32_e32 vcc, s24, v76
	s_and_b64 s[78:79], vcc, s[56:57]
	v_mov_b32_e32 v2, 50
	s_and_saveexec_b64 s[76:77], s[78:79]
	s_cbranch_execz .LBB24_125
; %bb.124:                              ;   in Loop: Header=BB24_13 Depth=1
	ds_read_b32 v4, v182 offset:3264
	v_mad_u64_u32 v[2:3], s[78:79], v76, s25, v[30:31]
	v_lshl_add_u32 v2, v2, 6, v32
	v_ashrrev_i32_e32 v3, 31, v2
	s_waitcnt lgkmcnt(0)
	v_cvt_f32_f16_sdwa v5, v4 dst_sel:DWORD dst_unused:UNUSED_PAD src0_sel:WORD_1
	v_cvt_f32_f16_e32 v4, v4
	v_lshlrev_b64 v[2:3], 3, v[2:3]
	v_mov_b32_e32 v6, s1
	v_add_co_u32_e32 v2, vcc, s0, v2
	v_addc_co_u32_e32 v3, vcc, v6, v3, vcc
	v_pk_add_f32 v[4:5], v[4:5], 0 op_sel_hi:[1,0]
	global_store_dwordx2 v[2:3], v[4:5], off
	v_mov_b32_e32 v2, 0
.LBB24_125:                             ;   in Loop: Header=BB24_13 Depth=1
	;; [unrolled: 35-line block ×3, first 2 shown]
	s_or_b64 exec, exec, s[78:79]
	v_cmp_gt_i32_e32 vcc, 50, v2
	s_mov_b64 s[82:83], -1
	s_and_saveexec_b64 s[78:79], vcc
; %bb.131:                              ;   in Loop: Header=BB24_13 Depth=1
	v_cmp_eq_u32_e32 vcc, 0, v2
	s_orn2_b64 s[82:83], vcc, exec
; %bb.132:                              ;   in Loop: Header=BB24_13 Depth=1
	s_or_b64 exec, exec, s[78:79]
	s_mov_b64 s[80:81], 0
                                        ; implicit-def: $vgpr2_vgpr3
	s_and_saveexec_b64 s[78:79], s[82:83]
	s_cbranch_execz .LBB24_178
; %bb.133:                              ;   in Loop: Header=BB24_13 Depth=1
	v_cmp_gt_i32_e32 vcc, s24, v72
	s_and_b64 s[82:83], vcc, s[56:57]
	v_mov_b32_e32 v2, 50
	s_and_saveexec_b64 s[80:81], s[82:83]
	s_cbranch_execz .LBB24_135
; %bb.134:                              ;   in Loop: Header=BB24_13 Depth=1
	v_mad_u64_u32 v[2:3], s[82:83], v72, s25, v[30:31]
	buffer_load_dword v3, off, s[96:99], 0 offset:4 ; 4-byte Folded Reload
	v_lshl_add_u32 v2, v2, 6, v32
	v_mov_b32_e32 v6, s1
	s_waitcnt vmcnt(0)
	ds_read_b32 v4, v3
	v_ashrrev_i32_e32 v3, 31, v2
	v_lshlrev_b64 v[2:3], 3, v[2:3]
	v_add_co_u32_e32 v2, vcc, s0, v2
	s_waitcnt lgkmcnt(0)
	v_cvt_f32_f16_sdwa v5, v4 dst_sel:DWORD dst_unused:UNUSED_PAD src0_sel:WORD_1
	v_cvt_f32_f16_e32 v4, v4
	v_addc_co_u32_e32 v3, vcc, v6, v3, vcc
	v_pk_add_f32 v[4:5], v[4:5], 0 op_sel_hi:[1,0]
	global_store_dwordx2 v[2:3], v[4:5], off
	v_mov_b32_e32 v2, 0
.LBB24_135:                             ;   in Loop: Header=BB24_13 Depth=1
	s_or_b64 exec, exec, s[80:81]
	v_cmp_gt_i32_e32 vcc, 50, v2
	s_mov_b64 s[84:85], -1
	s_and_saveexec_b64 s[80:81], vcc
; %bb.136:                              ;   in Loop: Header=BB24_13 Depth=1
	v_cmp_eq_u32_e32 vcc, 0, v2
	s_orn2_b64 s[84:85], vcc, exec
; %bb.137:                              ;   in Loop: Header=BB24_13 Depth=1
	s_or_b64 exec, exec, s[80:81]
	s_mov_b64 s[82:83], 0
                                        ; implicit-def: $vgpr2_vgpr3
	s_and_saveexec_b64 s[80:81], s[84:85]
	s_cbranch_execz .LBB24_177
; %bb.138:                              ;   in Loop: Header=BB24_13 Depth=1
	v_cmp_gt_i32_e32 vcc, s24, v70
	s_and_b64 s[84:85], vcc, s[56:57]
	v_mov_b32_e32 v2, 50
	s_and_saveexec_b64 s[82:83], s[84:85]
	s_cbranch_execz .LBB24_140
; %bb.139:                              ;   in Loop: Header=BB24_13 Depth=1
	ds_read_b32 v4, v182 offset:6528
	v_mad_u64_u32 v[2:3], s[84:85], v70, s25, v[30:31]
	v_lshl_add_u32 v2, v2, 6, v32
	v_ashrrev_i32_e32 v3, 31, v2
	s_waitcnt lgkmcnt(0)
	v_cvt_f32_f16_sdwa v5, v4 dst_sel:DWORD dst_unused:UNUSED_PAD src0_sel:WORD_1
	v_cvt_f32_f16_e32 v4, v4
	v_lshlrev_b64 v[2:3], 3, v[2:3]
	v_mov_b32_e32 v6, s1
	v_add_co_u32_e32 v2, vcc, s0, v2
	v_addc_co_u32_e32 v3, vcc, v6, v3, vcc
	v_pk_add_f32 v[4:5], v[4:5], 0 op_sel_hi:[1,0]
	global_store_dwordx2 v[2:3], v[4:5], off
	v_mov_b32_e32 v2, 0
.LBB24_140:                             ;   in Loop: Header=BB24_13 Depth=1
	s_or_b64 exec, exec, s[82:83]
	v_cmp_gt_i32_e32 vcc, 50, v2
	s_mov_b64 s[90:91], -1
	s_and_saveexec_b64 s[82:83], vcc
; %bb.141:                              ;   in Loop: Header=BB24_13 Depth=1
	v_cmp_eq_u32_e32 vcc, 0, v2
	s_orn2_b64 s[90:91], vcc, exec
; %bb.142:                              ;   in Loop: Header=BB24_13 Depth=1
	s_or_b64 exec, exec, s[82:83]
	s_mov_b64 s[84:85], 0
                                        ; implicit-def: $vgpr2_vgpr3
	s_and_saveexec_b64 s[82:83], s[90:91]
	s_cbranch_execz .LBB24_176
; %bb.143:                              ;   in Loop: Header=BB24_13 Depth=1
	v_cmp_gt_i32_e32 vcc, s24, v57
	s_and_b64 s[90:91], vcc, s[56:57]
	v_mov_b32_e32 v2, 50
	s_and_saveexec_b64 s[84:85], s[90:91]
	s_cbranch_execz .LBB24_145
; %bb.144:                              ;   in Loop: Header=BB24_13 Depth=1
	ds_read_b32 v4, v182 offset:7616
	v_mad_u64_u32 v[2:3], s[90:91], v57, s25, v[30:31]
	v_lshl_add_u32 v2, v2, 6, v32
	v_ashrrev_i32_e32 v3, 31, v2
	s_waitcnt lgkmcnt(0)
	v_cvt_f32_f16_sdwa v5, v4 dst_sel:DWORD dst_unused:UNUSED_PAD src0_sel:WORD_1
	v_cvt_f32_f16_e32 v4, v4
	v_lshlrev_b64 v[2:3], 3, v[2:3]
	v_mov_b32_e32 v6, s1
	v_add_co_u32_e32 v2, vcc, s0, v2
	v_addc_co_u32_e32 v3, vcc, v6, v3, vcc
	v_pk_add_f32 v[4:5], v[4:5], 0 op_sel_hi:[1,0]
	global_store_dwordx2 v[2:3], v[4:5], off
	v_mov_b32_e32 v2, 0
.LBB24_145:                             ;   in Loop: Header=BB24_13 Depth=1
	;; [unrolled: 35-line block ×3, first 2 shown]
	s_or_b64 exec, exec, s[90:91]
	v_cmp_gt_i32_e32 vcc, 50, v2
	s_mov_b64 s[90:91], -1
	s_and_saveexec_b64 s[92:93], vcc
; %bb.151:                              ;   in Loop: Header=BB24_13 Depth=1
	v_cmp_eq_u32_e32 vcc, 0, v2
	s_orn2_b64 s[90:91], vcc, exec
; %bb.152:                              ;   in Loop: Header=BB24_13 Depth=1
	s_or_b64 exec, exec, s[92:93]
	s_mov_b64 s[92:93], 0
                                        ; implicit-def: $vgpr2_vgpr3
	s_mov_b64 vcc, exec
	v_writelane_b32 v255, vcc_lo, 49
	v_writelane_b32 v255, vcc_hi, 50
	s_and_b64 s[90:91], vcc, s[90:91]
	s_mov_b64 exec, s[90:91]
	s_cbranch_execz .LBB24_174
; %bb.153:                              ;   in Loop: Header=BB24_13 Depth=1
	v_cmp_gt_i32_e32 vcc, s24, v53
	s_and_b64 s[92:93], vcc, s[56:57]
	v_mov_b32_e32 v2, 50
	s_and_saveexec_b64 s[90:91], s[92:93]
	s_cbranch_execz .LBB24_155
; %bb.154:                              ;   in Loop: Header=BB24_13 Depth=1
	v_mad_u64_u32 v[2:3], s[92:93], v53, s25, v[30:31]
	buffer_load_dword v3, off, s[96:99], 0 offset:12 ; 4-byte Folded Reload
	v_lshl_add_u32 v2, v2, 6, v32
	v_mov_b32_e32 v6, s1
	s_waitcnt vmcnt(0)
	ds_read_b32 v4, v3
	v_ashrrev_i32_e32 v3, 31, v2
	v_lshlrev_b64 v[2:3], 3, v[2:3]
	v_add_co_u32_e32 v2, vcc, s0, v2
	s_waitcnt lgkmcnt(0)
	v_cvt_f32_f16_sdwa v5, v4 dst_sel:DWORD dst_unused:UNUSED_PAD src0_sel:WORD_1
	v_cvt_f32_f16_e32 v4, v4
	v_addc_co_u32_e32 v3, vcc, v6, v3, vcc
	v_pk_add_f32 v[4:5], v[4:5], 0 op_sel_hi:[1,0]
	global_store_dwordx2 v[2:3], v[4:5], off
	v_mov_b32_e32 v2, 0
.LBB24_155:                             ;   in Loop: Header=BB24_13 Depth=1
	s_or_b64 exec, exec, s[90:91]
	v_cmp_gt_i32_e32 vcc, 50, v2
	s_mov_b64 s[92:93], -1
	s_and_saveexec_b64 s[90:91], vcc
; %bb.156:                              ;   in Loop: Header=BB24_13 Depth=1
	v_cmp_eq_u32_e32 vcc, 0, v2
	s_orn2_b64 s[92:93], vcc, exec
; %bb.157:                              ;   in Loop: Header=BB24_13 Depth=1
	s_or_b64 exec, exec, s[90:91]
	s_mov_b64 s[90:91], 0
                                        ; implicit-def: $vgpr2_vgpr3
	s_mov_b64 vcc, exec
	v_writelane_b32 v255, vcc_lo, 51
	v_writelane_b32 v255, vcc_hi, 52
	s_and_b64 s[92:93], vcc, s[92:93]
	s_mov_b64 exec, s[92:93]
	s_cbranch_execz .LBB24_173
; %bb.158:                              ;   in Loop: Header=BB24_13 Depth=1
	v_cmp_gt_i32_e32 vcc, s24, v33
	s_and_b64 s[92:93], vcc, s[56:57]
	v_mov_b32_e32 v2, 50
	s_and_saveexec_b64 s[90:91], s[92:93]
	s_cbranch_execz .LBB24_160
; %bb.159:                              ;   in Loop: Header=BB24_13 Depth=1
	ds_read_b32 v4, v182 offset:10880
	v_mad_u64_u32 v[2:3], s[92:93], v33, s25, v[30:31]
	v_lshl_add_u32 v2, v2, 6, v32
	v_ashrrev_i32_e32 v3, 31, v2
	s_waitcnt lgkmcnt(0)
	v_cvt_f32_f16_sdwa v5, v4 dst_sel:DWORD dst_unused:UNUSED_PAD src0_sel:WORD_1
	v_cvt_f32_f16_e32 v4, v4
	v_lshlrev_b64 v[2:3], 3, v[2:3]
	v_mov_b32_e32 v6, s1
	v_add_co_u32_e32 v2, vcc, s0, v2
	v_addc_co_u32_e32 v3, vcc, v6, v3, vcc
	v_pk_add_f32 v[4:5], v[4:5], 0 op_sel_hi:[1,0]
	global_store_dwordx2 v[2:3], v[4:5], off
	v_mov_b32_e32 v2, 0
.LBB24_160:                             ;   in Loop: Header=BB24_13 Depth=1
	s_or_b64 exec, exec, s[90:91]
	v_cmp_gt_i32_e32 vcc, 50, v2
	s_mov_b64 s[92:93], -1
	s_and_saveexec_b64 s[90:91], vcc
; %bb.161:                              ;   in Loop: Header=BB24_13 Depth=1
	v_cmp_eq_u32_e32 vcc, 0, v2
	s_orn2_b64 s[92:93], vcc, exec
; %bb.162:                              ;   in Loop: Header=BB24_13 Depth=1
	s_or_b64 exec, exec, s[90:91]
	s_mov_b64 s[90:91], 0
                                        ; implicit-def: $vgpr2_vgpr3
	s_mov_b64 vcc, exec
	v_writelane_b32 v255, vcc_lo, 53
	v_writelane_b32 v255, vcc_hi, 54
	s_and_b64 s[92:93], vcc, s[92:93]
	s_mov_b64 exec, s[92:93]
	s_cbranch_execz .LBB24_172
; %bb.163:                              ;   in Loop: Header=BB24_13 Depth=1
	v_cmp_gt_i32_e32 vcc, s24, v31
	s_and_b64 s[90:91], vcc, s[56:57]
	v_mov_b32_e32 v2, 50
	s_and_saveexec_b64 s[92:93], s[90:91]
	s_cbranch_execz .LBB24_165
; %bb.164:                              ;   in Loop: Header=BB24_13 Depth=1
	ds_read_b32 v4, v182 offset:11968
	v_mad_u64_u32 v[2:3], s[90:91], v31, s25, v[30:31]
	v_lshl_add_u32 v2, v2, 6, v32
	v_ashrrev_i32_e32 v3, 31, v2
	s_waitcnt lgkmcnt(0)
	v_cvt_f32_f16_sdwa v5, v4 dst_sel:DWORD dst_unused:UNUSED_PAD src0_sel:WORD_1
	v_cvt_f32_f16_e32 v4, v4
	v_lshlrev_b64 v[2:3], 3, v[2:3]
	v_mov_b32_e32 v6, s1
	v_add_co_u32_e32 v2, vcc, s0, v2
	v_addc_co_u32_e32 v3, vcc, v6, v3, vcc
	v_pk_add_f32 v[4:5], v[4:5], 0 op_sel_hi:[1,0]
	global_store_dwordx2 v[2:3], v[4:5], off
	v_mov_b32_e32 v2, 0
.LBB24_165:                             ;   in Loop: Header=BB24_13 Depth=1
	s_or_b64 exec, exec, s[92:93]
	v_cmp_gt_i32_e32 vcc, 50, v2
	s_mov_b64 s[90:91], -1
	s_and_saveexec_b64 s[92:93], vcc
; %bb.166:                              ;   in Loop: Header=BB24_13 Depth=1
	v_cmp_eq_u32_e32 vcc, 0, v2
	s_orn2_b64 s[90:91], vcc, exec
; %bb.167:                              ;   in Loop: Header=BB24_13 Depth=1
	s_or_b64 exec, exec, s[92:93]
	s_mov_b64 vcc, 0
                                        ; implicit-def: $vgpr2_vgpr3
	s_and_saveexec_b64 s[92:93], s[90:91]
	s_cbranch_execz .LBB24_171
; %bb.168:                              ;   in Loop: Header=BB24_13 Depth=1
	v_cmp_gt_i32_e32 vcc, s24, v59
	s_and_b64 s[90:91], vcc, s[56:57]
	s_mov_b64 s[56:57], 0
                                        ; implicit-def: $vgpr2_vgpr3
	s_and_saveexec_b64 vcc, s[90:91]
	s_xor_b64 vcc, exec, vcc
	s_cbranch_execz .LBB24_170
; %bb.169:                              ;   in Loop: Header=BB24_13 Depth=1
	ds_read_b32 v2, v182 offset:13056
	s_mov_b64 s[56:57], exec
	s_waitcnt lgkmcnt(0)
	v_cvt_f32_f16_sdwa v3, v2 dst_sel:DWORD dst_unused:UNUSED_PAD src0_sel:WORD_1
	v_cvt_f32_f16_e32 v2, v2
	v_pk_add_f32 v[2:3], v[2:3], 0 op_sel_hi:[1,0]
.LBB24_170:                             ;   in Loop: Header=BB24_13 Depth=1
	s_or_b64 exec, exec, vcc
	s_and_b64 vcc, s[56:57], exec
.LBB24_171:                             ;   in Loop: Header=BB24_13 Depth=1
	s_or_b64 exec, exec, s[92:93]
	s_and_b64 s[90:91], vcc, exec
.LBB24_172:                             ;   in Loop: Header=BB24_13 Depth=1
	v_readlane_b32 s56, v255, 53
	v_readlane_b32 s57, v255, 54
	s_or_b64 exec, exec, s[56:57]
	s_and_b64 s[90:91], s[90:91], exec
.LBB24_173:                             ;   in Loop: Header=BB24_13 Depth=1
	v_readlane_b32 s56, v255, 51
	v_readlane_b32 s57, v255, 52
	s_or_b64 exec, exec, s[56:57]
	s_and_b64 s[92:93], s[90:91], exec
.LBB24_174:                             ;   in Loop: Header=BB24_13 Depth=1
	v_readlane_b32 s56, v255, 49
	v_readlane_b32 s57, v255, 50
	s_or_b64 exec, exec, s[56:57]
	s_and_b64 s[90:91], s[92:93], exec
.LBB24_175:                             ;   in Loop: Header=BB24_13 Depth=1
	s_or_b64 exec, exec, s[84:85]
	s_and_b64 s[84:85], s[90:91], exec
.LBB24_176:                             ;   in Loop: Header=BB24_13 Depth=1
	s_or_b64 exec, exec, s[82:83]
	s_and_b64 s[82:83], s[84:85], exec
.LBB24_177:                             ;   in Loop: Header=BB24_13 Depth=1
	s_or_b64 exec, exec, s[80:81]
	s_and_b64 s[80:81], s[82:83], exec
.LBB24_178:                             ;   in Loop: Header=BB24_13 Depth=1
	s_or_b64 exec, exec, s[78:79]
	s_and_b64 s[78:79], s[80:81], exec
.LBB24_179:                             ;   in Loop: Header=BB24_13 Depth=1
	s_or_b64 exec, exec, s[76:77]
	s_and_b64 s[76:77], s[78:79], exec
.LBB24_180:                             ;   in Loop: Header=BB24_13 Depth=1
	s_or_b64 exec, exec, s[74:75]
	s_and_b64 s[74:75], s[76:77], exec
.LBB24_181:                             ;   in Loop: Header=BB24_13 Depth=1
	s_or_b64 exec, exec, s[72:73]
	s_and_b64 s[72:73], s[74:75], exec
.LBB24_182:                             ;   in Loop: Header=BB24_13 Depth=1
	s_or_b64 exec, exec, s[70:71]
	s_and_b64 s[70:71], s[72:73], exec
.LBB24_183:                             ;   in Loop: Header=BB24_13 Depth=1
	s_or_b64 exec, exec, s[4:5]
	s_and_b64 s[4:5], s[70:71], exec
.LBB24_184:                             ;   in Loop: Header=BB24_13 Depth=1
	s_or_b64 exec, exec, s[2:3]
	s_and_b64 s[4:5], s[4:5], exec
.LBB24_185:                             ;   in Loop: Header=BB24_13 Depth=1
	s_or_b64 exec, exec, s[52:53]
	s_and_b64 vcc, exec, s[34:35]
	s_cbranch_vccz .LBB24_83
.LBB24_186:                             ;   in Loop: Header=BB24_13 Depth=1
	s_lshl_b32 s74, s94, 4
	v_add_u32_e32 v213, s74, v94
	v_cmp_gt_i32_e64 s[2:3], s24, v213
	v_cmp_gt_i32_e32 vcc, s33, v1
	s_and_b64 s[34:35], s[2:3], vcc
	s_xor_b64 s[2:3], s[34:35], -1
	s_and_saveexec_b64 s[52:53], s[2:3]
	s_xor_b64 s[2:3], exec, s[52:53]
	s_cbranch_execz .LBB24_188
; %bb.187:                              ;   in Loop: Header=BB24_13 Depth=1
	ds_write_b32 v139, v167
.LBB24_188:                             ;   in Loop: Header=BB24_13 Depth=1
	s_andn2_saveexec_b64 s[52:53], s[2:3]
	s_cbranch_execz .LBB24_190
; %bb.189:                              ;   in Loop: Header=BB24_13 Depth=1
	v_mad_u64_u32 v[2:3], s[2:3], v213, s51, v[58:59]
	v_ashrrev_i32_e32 v3, 31, v2
	v_lshlrev_b64 v[2:3], 3, v[2:3]
	v_mov_b32_e32 v1, s89
	v_add_co_u32_e64 v2, s[2:3], s88, v2
	v_addc_co_u32_e64 v3, s[2:3], v1, v3, s[2:3]
	global_load_dwordx2 v[2:3], v[2:3], off
	s_waitcnt vmcnt(0)
	v_cvt_f16_f32_e32 v1, v2
	v_cvt_f16_f32_e32 v2, v3
	v_pack_b32_f16 v1, v1, v2
	v_pk_mul_f16 v1, v93, v1
	ds_write_b32 v139, v1
.LBB24_190:                             ;   in Loop: Header=BB24_13 Depth=1
	s_or_b64 exec, exec, s[52:53]
	v_add_u32_e32 v212, s74, v177
	v_cmp_gt_i32_e64 s[2:3], s24, v212
	s_and_b64 s[52:53], s[2:3], vcc
	s_xor_b64 s[2:3], s[52:53], -1
	s_and_saveexec_b64 s[56:57], s[2:3]
	s_xor_b64 s[2:3], exec, s[56:57]
	s_cbranch_execz .LBB24_192
; %bb.191:                              ;   in Loop: Header=BB24_13 Depth=1
	ds_write_b32 v178, v167
.LBB24_192:                             ;   in Loop: Header=BB24_13 Depth=1
	s_andn2_saveexec_b64 s[56:57], s[2:3]
	s_cbranch_execz .LBB24_194
; %bb.193:                              ;   in Loop: Header=BB24_13 Depth=1
	v_mad_u64_u32 v[2:3], s[2:3], v212, s51, v[58:59]
	v_ashrrev_i32_e32 v3, 31, v2
	v_lshlrev_b64 v[2:3], 3, v[2:3]
	v_mov_b32_e32 v1, s89
	v_add_co_u32_e64 v2, s[2:3], s88, v2
	v_addc_co_u32_e64 v3, s[2:3], v1, v3, s[2:3]
	global_load_dwordx2 v[2:3], v[2:3], off
	s_waitcnt vmcnt(0)
	v_cvt_f16_f32_e32 v1, v2
	v_cvt_f16_f32_e32 v2, v3
	v_pack_b32_f16 v1, v1, v2
	v_pk_mul_f16 v1, v93, v1
	ds_write_b32 v178, v1
.LBB24_194:                             ;   in Loop: Header=BB24_13 Depth=1
	s_or_b64 exec, exec, s[56:57]
	v_add_u32_e32 v211, s74, v179
	v_cmp_gt_i32_e64 s[2:3], s24, v211
	;; [unrolled: 28-line block ×4, first 2 shown]
	s_and_b64 s[90:91], s[2:3], vcc
	s_xor_b64 s[2:3], s[90:91], -1
	s_and_saveexec_b64 s[56:57], s[2:3]
	s_xor_b64 s[2:3], exec, s[56:57]
	s_cbranch_execz .LBB24_204
; %bb.203:                              ;   in Loop: Header=BB24_13 Depth=1
	ds_write_b32 v182, v167 offset:1088
.LBB24_204:                             ;   in Loop: Header=BB24_13 Depth=1
	s_andn2_saveexec_b64 s[56:57], s[2:3]
	s_cbranch_execz .LBB24_206
; %bb.205:                              ;   in Loop: Header=BB24_13 Depth=1
	v_mad_u64_u32 v[2:3], s[2:3], v209, s51, v[58:59]
	v_ashrrev_i32_e32 v3, 31, v2
	v_lshlrev_b64 v[2:3], 3, v[2:3]
	v_mov_b32_e32 v1, s89
	v_add_co_u32_e64 v2, s[2:3], s88, v2
	v_addc_co_u32_e64 v3, s[2:3], v1, v3, s[2:3]
	global_load_dwordx2 v[2:3], v[2:3], off
	s_waitcnt vmcnt(0)
	v_cvt_f16_f32_e32 v1, v2
	v_cvt_f16_f32_e32 v2, v3
	v_pack_b32_f16 v1, v1, v2
	v_pk_mul_f16 v1, v93, v1
	ds_write_b32 v182, v1 offset:1088
.LBB24_206:                             ;   in Loop: Header=BB24_13 Depth=1
	s_or_b64 exec, exec, s[56:57]
	v_add_u32_e32 v208, s74, v184
	v_cmp_gt_i32_e64 s[2:3], s24, v208
	s_and_b64 s[72:73], s[2:3], vcc
	s_xor_b64 s[2:3], s[72:73], -1
	s_and_saveexec_b64 s[56:57], s[2:3]
	s_xor_b64 s[2:3], exec, s[56:57]
	s_cbranch_execz .LBB24_208
; %bb.207:                              ;   in Loop: Header=BB24_13 Depth=1
	ds_write_b32 v182, v167 offset:2176
.LBB24_208:                             ;   in Loop: Header=BB24_13 Depth=1
	s_andn2_saveexec_b64 s[56:57], s[2:3]
	s_cbranch_execz .LBB24_210
; %bb.209:                              ;   in Loop: Header=BB24_13 Depth=1
	v_mad_u64_u32 v[2:3], s[2:3], v208, s51, v[58:59]
	v_ashrrev_i32_e32 v3, 31, v2
	v_lshlrev_b64 v[2:3], 3, v[2:3]
	v_mov_b32_e32 v1, s89
	v_add_co_u32_e64 v2, s[2:3], s88, v2
	v_addc_co_u32_e64 v3, s[2:3], v1, v3, s[2:3]
	global_load_dwordx2 v[2:3], v[2:3], off
	s_waitcnt vmcnt(0)
	v_cvt_f16_f32_e32 v1, v2
	v_cvt_f16_f32_e32 v2, v3
	v_pack_b32_f16 v1, v1, v2
	v_pk_mul_f16 v1, v93, v1
	ds_write_b32 v182, v1 offset:2176
.LBB24_210:                             ;   in Loop: Header=BB24_13 Depth=1
	s_or_b64 exec, exec, s[56:57]
	v_add_u32_e32 v207, s74, v185
	v_cmp_gt_i32_e64 s[2:3], s24, v207
	;; [unrolled: 28-line block ×7, first 2 shown]
	s_and_b64 s[2:3], s[2:3], vcc
	v_writelane_b32 v255, s2, 41
	v_writelane_b32 v255, s3, 42
	s_xor_b64 s[2:3], s[2:3], -1
	s_and_saveexec_b64 s[56:57], s[2:3]
	s_xor_b64 s[2:3], exec, s[56:57]
	s_cbranch_execz .LBB24_232
; %bb.231:                              ;   in Loop: Header=BB24_13 Depth=1
	ds_write_b32 v182, v167 offset:8704
.LBB24_232:                             ;   in Loop: Header=BB24_13 Depth=1
	s_andn2_saveexec_b64 s[56:57], s[2:3]
	s_cbranch_execz .LBB24_234
; %bb.233:                              ;   in Loop: Header=BB24_13 Depth=1
	v_mad_u64_u32 v[2:3], s[2:3], v202, s51, v[58:59]
	v_ashrrev_i32_e32 v3, 31, v2
	v_lshlrev_b64 v[2:3], 3, v[2:3]
	v_mov_b32_e32 v1, s89
	v_add_co_u32_e64 v2, s[2:3], s88, v2
	v_addc_co_u32_e64 v3, s[2:3], v1, v3, s[2:3]
	global_load_dwordx2 v[2:3], v[2:3], off
	s_waitcnt vmcnt(0)
	v_cvt_f16_f32_e32 v1, v2
	v_cvt_f16_f32_e32 v2, v3
	v_pack_b32_f16 v1, v1, v2
	v_pk_mul_f16 v1, v93, v1
	ds_write_b32 v182, v1 offset:8704
.LBB24_234:                             ;   in Loop: Header=BB24_13 Depth=1
	s_or_b64 exec, exec, s[56:57]
	v_add_u32_e32 v201, s74, v191
	v_cmp_gt_i32_e64 s[2:3], s24, v201
	s_and_b64 s[2:3], s[2:3], vcc
	v_writelane_b32 v255, s2, 43
	v_writelane_b32 v255, s3, 44
	s_xor_b64 s[2:3], s[2:3], -1
	s_and_saveexec_b64 s[56:57], s[2:3]
	s_xor_b64 s[2:3], exec, s[56:57]
	s_cbranch_execz .LBB24_236
; %bb.235:                              ;   in Loop: Header=BB24_13 Depth=1
	ds_write_b32 v182, v167 offset:9792
.LBB24_236:                             ;   in Loop: Header=BB24_13 Depth=1
	s_andn2_saveexec_b64 s[56:57], s[2:3]
	s_cbranch_execz .LBB24_238
; %bb.237:                              ;   in Loop: Header=BB24_13 Depth=1
	v_mad_u64_u32 v[2:3], s[2:3], v201, s51, v[58:59]
	v_ashrrev_i32_e32 v3, 31, v2
	v_lshlrev_b64 v[2:3], 3, v[2:3]
	v_mov_b32_e32 v1, s89
	v_add_co_u32_e64 v2, s[2:3], s88, v2
	v_addc_co_u32_e64 v3, s[2:3], v1, v3, s[2:3]
	global_load_dwordx2 v[2:3], v[2:3], off
	s_waitcnt vmcnt(0)
	v_cvt_f16_f32_e32 v1, v2
	v_cvt_f16_f32_e32 v2, v3
	v_pack_b32_f16 v1, v1, v2
	v_pk_mul_f16 v1, v93, v1
	ds_write_b32 v182, v1 offset:9792
.LBB24_238:                             ;   in Loop: Header=BB24_13 Depth=1
	s_or_b64 exec, exec, s[56:57]
	v_add_u32_e32 v200, s74, v192
	v_cmp_gt_i32_e64 s[2:3], s24, v200
	s_and_b64 s[2:3], s[2:3], vcc
	v_writelane_b32 v255, s2, 45
	v_writelane_b32 v255, s3, 46
	s_xor_b64 s[2:3], s[2:3], -1
	s_and_saveexec_b64 s[56:57], s[2:3]
	s_xor_b64 s[2:3], exec, s[56:57]
	s_cbranch_execz .LBB24_240
; %bb.239:                              ;   in Loop: Header=BB24_13 Depth=1
	ds_write_b32 v182, v167 offset:10880
.LBB24_240:                             ;   in Loop: Header=BB24_13 Depth=1
	s_andn2_saveexec_b64 s[56:57], s[2:3]
	s_cbranch_execz .LBB24_242
; %bb.241:                              ;   in Loop: Header=BB24_13 Depth=1
	v_mad_u64_u32 v[2:3], s[2:3], v200, s51, v[58:59]
	v_ashrrev_i32_e32 v3, 31, v2
	v_lshlrev_b64 v[2:3], 3, v[2:3]
	v_mov_b32_e32 v1, s89
	v_add_co_u32_e64 v2, s[2:3], s88, v2
	v_addc_co_u32_e64 v3, s[2:3], v1, v3, s[2:3]
	global_load_dwordx2 v[2:3], v[2:3], off
	s_waitcnt vmcnt(0)
	v_cvt_f16_f32_e32 v1, v2
	v_cvt_f16_f32_e32 v2, v3
	v_pack_b32_f16 v1, v1, v2
	v_pk_mul_f16 v1, v93, v1
	ds_write_b32 v182, v1 offset:10880
.LBB24_242:                             ;   in Loop: Header=BB24_13 Depth=1
	s_or_b64 exec, exec, s[56:57]
	v_add_u32_e32 v69, s74, v193
	v_cmp_gt_i32_e64 s[2:3], s24, v69
	s_and_b64 s[2:3], s[2:3], vcc
	v_writelane_b32 v255, s2, 47
	v_writelane_b32 v255, s3, 48
	s_xor_b64 s[2:3], s[2:3], -1
	s_and_saveexec_b64 s[56:57], s[2:3]
	s_xor_b64 s[2:3], exec, s[56:57]
	s_cbranch_execz .LBB24_244
; %bb.243:                              ;   in Loop: Header=BB24_13 Depth=1
	ds_write_b32 v182, v167 offset:11968
.LBB24_244:                             ;   in Loop: Header=BB24_13 Depth=1
	s_andn2_saveexec_b64 s[56:57], s[2:3]
	s_cbranch_execz .LBB24_246
; %bb.245:                              ;   in Loop: Header=BB24_13 Depth=1
	v_mad_u64_u32 v[2:3], s[2:3], v69, s51, v[58:59]
	v_ashrrev_i32_e32 v3, 31, v2
	v_lshlrev_b64 v[2:3], 3, v[2:3]
	v_mov_b32_e32 v1, s89
	v_add_co_u32_e64 v2, s[2:3], s88, v2
	v_addc_co_u32_e64 v3, s[2:3], v1, v3, s[2:3]
	global_load_dwordx2 v[2:3], v[2:3], off
	s_waitcnt vmcnt(0)
	v_cvt_f16_f32_e32 v1, v2
	v_cvt_f16_f32_e32 v2, v3
	v_pack_b32_f16 v1, v1, v2
	v_pk_mul_f16 v1, v93, v1
	ds_write_b32 v182, v1 offset:11968
.LBB24_246:                             ;   in Loop: Header=BB24_13 Depth=1
	s_or_b64 exec, exec, s[56:57]
	v_add_u32_e32 v59, s74, v194
	v_cmp_gt_i32_e64 s[2:3], s24, v59
	s_and_b64 s[2:3], s[2:3], vcc
	s_xor_b64 s[56:57], s[2:3], -1
	s_and_saveexec_b64 s[76:77], s[56:57]
	s_xor_b64 s[56:57], exec, s[76:77]
	s_cbranch_execz .LBB24_248
; %bb.247:                              ;   in Loop: Header=BB24_13 Depth=1
	ds_write_b32 v182, v167 offset:13056
.LBB24_248:                             ;   in Loop: Header=BB24_13 Depth=1
	s_andn2_saveexec_b64 s[56:57], s[56:57]
	s_cbranch_execz .LBB24_250
; %bb.249:                              ;   in Loop: Header=BB24_13 Depth=1
	v_mad_u64_u32 v[2:3], s[76:77], v59, s51, v[58:59]
	v_ashrrev_i32_e32 v3, 31, v2
	v_lshlrev_b64 v[2:3], 3, v[2:3]
	v_mov_b32_e32 v1, s89
	v_add_co_u32_e32 v2, vcc, s88, v2
	v_addc_co_u32_e32 v3, vcc, v1, v3, vcc
	global_load_dwordx2 v[2:3], v[2:3], off
	s_waitcnt vmcnt(0)
	v_cvt_f16_f32_e32 v1, v2
	v_cvt_f16_f32_e32 v2, v3
	v_pack_b32_f16 v1, v1, v2
	v_pk_mul_f16 v1, v93, v1
	ds_write_b32 v182, v1 offset:13056
.LBB24_250:                             ;   in Loop: Header=BB24_13 Depth=1
	s_or_b64 exec, exec, s[56:57]
	s_waitcnt lgkmcnt(0)
	s_barrier
	ds_read2_b64 v[14:17], v166 offset1:4
	ds_read2_b64 v[10:13], v166 offset0:8 offset1:12
	ds_read2_b64 v[6:9], v166 offset0:16 offset1:20
	ds_read2_b64 v[2:5], v166 offset0:24 offset1:28
	s_cmp_gt_i32 s46, 1
	s_waitcnt lgkmcnt(0)
	s_barrier
	s_cbranch_scc1 .LBB24_252
; %bb.251:                              ;   in Loop: Header=BB24_13 Depth=1
	v_add_u32_e32 v1, s74, v96
	v_readlane_b32 s76, v255, 24
	v_mul_hi_u32 v18, s76, v1
	v_readlane_b32 s77, v255, 25
	v_add_u32_e32 v18, v1, v18
	v_lshrrev_b32_e32 v18, s77, v18
	v_mul_lo_u32 v18, v18, s24
	v_sub_u32_e32 v1, v1, v18
	v_mad_i64_i32 v[18:19], s[56:57], v1, s40, 0
	v_add_u32_e32 v1, s74, v169
	v_mul_hi_u32 v20, s76, v1
	v_add_u32_e32 v20, v1, v20
	v_lshrrev_b32_e32 v20, s77, v20
	v_mul_lo_u32 v20, v20, s24
	v_sub_u32_e32 v1, v1, v20
	v_mbcnt_hi_u32_b32 v63, -1, v195
	v_mad_i64_i32 v[20:21], s[56:57], v1, s40, 0
	v_and_b32_e32 v1, 64, v63
	s_mov_b32 s75, 0
	v_add_u32_e32 v67, 64, v1
	v_xor_b32_e32 v214, 32, v63
	v_xor_b32_e32 v215, 16, v63
	s_mov_b64 vcc, 0
	s_mov_b32 s88, 0xfeffffff
	s_mov_b64 s[56:57], 0
	s_branch .LBB24_253
.LBB24_252:                             ;   in Loop: Header=BB24_13 Depth=1
	s_mov_b64 vcc, -1
                                        ; implicit-def: $sgpr75
                                        ; implicit-def: $sgpr56_sgpr57
                                        ; implicit-def: $sgpr88
                                        ; implicit-def: $vgpr18_vgpr19
                                        ; implicit-def: $vgpr20_vgpr21
                                        ; implicit-def: $vgpr63
                                        ; implicit-def: $vgpr67
                                        ; implicit-def: $vgpr214
                                        ; implicit-def: $vgpr215
.LBB24_253:                             ;   in Loop: Header=BB24_13 Depth=1
	s_andn2_b64 vcc, exec, vcc
	v_mov_b32_e32 v219, s75
	v_mov_b32_e32 v216, s75
	;; [unrolled: 1-line block ×18, first 2 shown]
	s_cbranch_vccnz .LBB24_257
; %bb.254:                              ;   in Loop: Header=BB24_13 Depth=1
	v_add_u32_e32 v1, s74, v96
	v_readlane_b32 s56, v255, 24
	v_mul_hi_u32 v18, s56, v1
	v_readlane_b32 s57, v255, 25
	v_add_u32_e32 v18, v1, v18
	v_lshrrev_b32_e32 v18, s57, v18
	v_mul_lo_u32 v18, v18, s24
	v_sub_u32_e32 v28, v1, v18
	v_add_u32_e32 v1, s74, v169
	v_mul_hi_u32 v18, s56, v1
	v_add_u32_e32 v18, v1, v18
	v_lshrrev_b32_e32 v18, s57, v18
	v_mul_lo_u32 v18, v18, s24
	v_mbcnt_hi_u32_b32 v63, -1, v195
	v_sub_u32_e32 v62, v1, v18
	v_and_b32_e32 v1, 64, v63
	v_add_u32_e32 v67, 64, v1
	v_xor_b32_e32 v214, 32, v63
	v_readlane_b32 s56, v255, 37
	v_cmp_lt_i32_e32 vcc, v214, v67
	v_xor_b32_e32 v215, 16, v63
	v_readlane_b32 s57, v255, 38
	s_mov_b32 s74, s56
	v_cndmask_b32_e32 v1, v63, v214, vcc
	v_cmp_lt_i32_e32 vcc, v215, v67
	v_mad_i64_i32 v[18:19], s[56:57], s74, v28, v[60:61]
	v_lshlrev_b32_e32 v217, 2, v1
	v_cndmask_b32_e32 v1, v63, v215, vcc
	v_add_co_u32_e32 v64, vcc, v147, v18
	v_addc_co_u32_e32 v65, vcc, v148, v19, vcc
	v_mad_i64_i32 v[18:19], s[56:57], s74, v62, v[60:61]
	s_add_i32 s46, s46, -1
	v_readlane_b32 s56, v255, 40
	v_add_co_u32_e32 v60, vcc, v147, v18
	s_add_u32 s39, s56, s39
	v_addc_co_u32_e32 v61, vcc, v148, v19, vcc
	s_addc_u32 s56, s62, s87
	v_lshlrev_b32_e32 v218, 2, v1
	v_mov_b32_e32 v1, s56
	v_add_co_u32_e32 v66, vcc, s39, v149
	v_addc_co_u32_e32 v1, vcc, v150, v1, vcc
	v_mov_b32_e32 v18, s56
	v_add_co_u32_e32 v68, vcc, s39, v151
	v_addc_co_u32_e32 v27, vcc, v152, v18, vcc
	v_add_co_u32_e32 v70, vcc, s39, v153
	v_addc_co_u32_e32 v29, vcc, v154, v18, vcc
	v_add_co_u32_e32 v72, vcc, s39, v155
	v_readlane_b32 s39, v255, 39
	s_add_u32 s39, s39, s54
	v_addc_co_u32_e32 v31, vcc, v156, v18, vcc
	s_addc_u32 s38, s38, s86
	v_mov_b32_e32 v18, s38
	v_add_co_u32_e32 v74, vcc, s39, v157
	v_addc_co_u32_e32 v33, vcc, v158, v18, vcc
	v_add_co_u32_e32 v76, vcc, s39, v159
	v_addc_co_u32_e32 v53, vcc, v160, v18, vcc
	;; [unrolled: 2-line block ×3, first 2 shown]
	v_add_co_u32_e32 v80, vcc, s39, v163
	v_mov_b32_e32 v231, 0
	v_addc_co_u32_e32 v57, vcc, v164, v18, vcc
	v_mov_b32_e32 v216, 0
	v_mov_b32_e32 v26, 0xfeffffff
	s_mov_b32 s38, s46
	v_mov_b32_e32 v234, 0
	v_mov_b32_e32 v233, 0
	;; [unrolled: 1-line block ×15, first 2 shown]
.LBB24_255:                             ;   Parent Loop BB24_13 Depth=1
                                        ; =>  This Inner Loop Header: Depth=2
	global_load_dword v18, v[64:65], off
	v_add_u32_e32 v19, v170, v168
	v_mov_b32_e32 v236, v26
	v_add_u32_e32 v26, 0x1000, v95
	v_add_u32_e32 v237, 0x4400, v174
	v_mov_b32_e32 v235, v216
	s_add_i32 s38, s38, -1
	s_cmp_lg_u32 s38, 0
	s_waitcnt vmcnt(0)
	ds_write_b32 v19, v18 offset:17408
	global_load_dword v18, v[60:61], off
	s_waitcnt vmcnt(0)
	ds_write_b32 v19, v18 offset:18560
	v_add_co_u32_e32 v18, vcc, v74, v54
	v_addc_co_u32_e32 v19, vcc, 0, v33, vcc
	global_load_dwordx4 v[18:21], v[18:19], off
	s_waitcnt vmcnt(0)
	ds_write_b128 v99, v[18:21]
	v_add_co_u32_e32 v18, vcc, v76, v54
	v_addc_co_u32_e32 v19, vcc, 0, v53, vcc
	global_load_dwordx4 v[18:21], v[18:19], off
	s_waitcnt vmcnt(0)
	ds_write_b128 v171, v[18:21]
	;; [unrolled: 5-line block ×4, first 2 shown]
	s_waitcnt lgkmcnt(0)
	s_barrier
	ds_read2_b64 v[18:21], v95 offset1:4
	s_waitcnt lgkmcnt(0)
	v_mfma_f32_16x16x16f16 v[22:25], v[18:19], v[14:15], 0
	v_mfma_f32_16x16x16f16 v[18:21], v[20:21], v[16:17], v[22:25]
	s_nop 7
	s_nop 1
	ds_read2_b64 v[22:25], v95 offset0:8 offset1:12
	s_waitcnt lgkmcnt(0)
	v_mfma_f32_16x16x16f16 v[18:21], v[22:23], v[10:11], v[18:21]
	v_mfma_f32_16x16x16f16 v[18:21], v[24:25], v[12:13], v[18:21]
	ds_read2_b64 v[22:25], v95 offset0:16 offset1:20
	s_waitcnt lgkmcnt(0)
	v_mfma_f32_16x16x16f16 v[18:21], v[22:23], v[6:7], v[18:21]
	v_mfma_f32_16x16x16f16 v[18:21], v[24:25], v[8:9], v[18:21]
	;; [unrolled: 4-line block ×4, first 2 shown]
	s_nop 7
	s_nop 1
	ds_read2_b64 v[238:241], v26 offset0:40 offset1:44
	s_waitcnt lgkmcnt(0)
	v_mfma_f32_16x16x16f16 v[22:25], v[238:239], v[10:11], v[22:25]
	v_mfma_f32_16x16x16f16 v[22:25], v[240:241], v[12:13], v[22:25]
	ds_read2_b64 v[238:241], v26 offset0:48 offset1:52
	s_waitcnt lgkmcnt(0)
	v_mfma_f32_16x16x16f16 v[22:25], v[238:239], v[6:7], v[22:25]
	v_mfma_f32_16x16x16f16 v[22:25], v[240:241], v[8:9], v[22:25]
	ds_read2_b64 v[238:241], v26 offset0:56 offset1:60
	v_add_u32_e32 v26, 0x2000, v95
	s_waitcnt lgkmcnt(0)
	v_mfma_f32_16x16x16f16 v[22:25], v[238:239], v[2:3], v[22:25]
	v_mfma_f32_16x16x16f16 v[22:25], v[240:241], v[4:5], v[22:25]
	ds_read2_b64 v[238:241], v26 offset0:64 offset1:68
	s_waitcnt lgkmcnt(0)
	v_mfma_f32_16x16x16f16 v[242:245], v[238:239], v[14:15], 0
	v_mfma_f32_16x16x16f16 v[238:241], v[240:241], v[16:17], v[242:245]
	s_nop 7
	s_nop 1
	ds_read2_b64 v[242:245], v26 offset0:72 offset1:76
	s_waitcnt lgkmcnt(0)
	v_mfma_f32_16x16x16f16 v[238:241], v[242:243], v[10:11], v[238:241]
	v_mfma_f32_16x16x16f16 v[238:241], v[244:245], v[12:13], v[238:241]
	ds_read2_b64 v[242:245], v26 offset0:80 offset1:84
	s_waitcnt lgkmcnt(0)
	v_mfma_f32_16x16x16f16 v[238:241], v[242:243], v[6:7], v[238:241]
	v_mfma_f32_16x16x16f16 v[238:241], v[244:245], v[8:9], v[238:241]
	ds_read2_b64 v[242:245], v26 offset0:88 offset1:92
	v_add_u32_e32 v26, 0x3000, v95
	s_waitcnt lgkmcnt(0)
	v_mfma_f32_16x16x16f16 v[238:241], v[242:243], v[2:3], v[238:241]
	v_mfma_f32_16x16x16f16 v[238:241], v[244:245], v[4:5], v[238:241]
	ds_read2_b64 v[242:245], v26 offset0:96 offset1:100
	s_waitcnt lgkmcnt(0)
	v_mfma_f32_16x16x16f16 v[246:249], v[242:243], v[14:15], 0
	v_mfma_f32_16x16x16f16 v[242:245], v[244:245], v[16:17], v[246:249]
	s_nop 7
	s_nop 1
	ds_read2_b64 v[246:249], v26 offset0:104 offset1:108
	s_waitcnt lgkmcnt(0)
	v_mfma_f32_16x16x16f16 v[242:245], v[246:247], v[10:11], v[242:245]
	v_mfma_f32_16x16x16f16 v[242:245], v[248:249], v[12:13], v[242:245]
	ds_read2_b64 v[246:249], v26 offset0:112 offset1:116
	s_waitcnt lgkmcnt(0)
	v_mfma_f32_16x16x16f16 v[242:245], v[246:247], v[6:7], v[242:245]
	v_mfma_f32_16x16x16f16 v[242:245], v[248:249], v[8:9], v[242:245]
	ds_read2_b64 v[246:249], v26 offset0:120 offset1:124
	s_waitcnt lgkmcnt(0)
	s_barrier
	ds_read_b32 v26, v100 offset:17408
	ds_read_b32 v216, v101 offset:17408
	v_mfma_f32_16x16x16f16 v[242:245], v[246:247], v[2:3], v[242:245]
	ds_read2_b32 v[246:247], v237 offset1:1
	v_add_u32_e32 v237, 0x4400, v175
	v_mfma_f32_16x16x16f16 v[242:245], v[248:249], v[4:5], v[242:245]
	ds_read2_b32 v[248:249], v237 offset1:1
	v_add_u32_e32 v237, 0x4400, v176
	ds_read2_b32 v[250:251], v237 offset1:1
	s_waitcnt lgkmcnt(0)
	v_cvt_f32_f16_e32 v252, v251
	v_cvt_f32_f16_sdwa v253, v251 dst_sel:DWORD dst_unused:UNUSED_PAD src0_sel:WORD_1
	v_cvt_f32_f16_sdwa v251, v249 dst_sel:DWORD dst_unused:UNUSED_PAD src0_sel:WORD_1
	s_nop 3
	v_pk_add_f32 v[244:245], v[244:245], v[252:253]
	v_cvt_f32_f16_e32 v252, v250
	v_cvt_f32_f16_sdwa v253, v250 dst_sel:DWORD dst_unused:UNUSED_PAD src0_sel:WORD_1
	v_cvt_f32_f16_e32 v250, v249
	v_cvt_f32_f16_sdwa v249, v247 dst_sel:DWORD dst_unused:UNUSED_PAD src0_sel:WORD_1
	v_add_f32_e32 v237, 0x40051340, v244
	v_pk_add_f32 v[242:243], v[242:243], v[252:253]
	v_pk_add_f32 v[240:241], v[240:241], v[250:251]
	v_cvt_f32_f16_e32 v250, v248
	v_cvt_f32_f16_sdwa v251, v248 dst_sel:DWORD dst_unused:UNUSED_PAD src0_sel:WORD_1
	v_cvt_f32_f16_e32 v248, v247
	v_cvt_f32_f16_sdwa v247, v216 dst_sel:DWORD dst_unused:UNUSED_PAD src0_sel:WORD_1
	v_add_f32_e32 v146, 0x40051340, v240
	v_pk_add_f32 v[238:239], v[238:239], v[250:251]
	v_pk_add_f32 v[24:25], v[24:25], v[248:249]
	v_cvt_f32_f16_e32 v248, v246
	v_cvt_f32_f16_sdwa v249, v246 dst_sel:DWORD dst_unused:UNUSED_PAD src0_sel:WORD_1
	v_cvt_f32_f16_e32 v246, v216
	v_add_f32_e32 v145, 0x40051340, v24
	v_add_f32_e32 v141, 0x40051340, v25
	v_pk_add_f32 v[22:23], v[22:23], v[248:249]
	v_pk_add_f32 v[20:21], v[20:21], v[246:247]
	v_cvt_f32_f16_sdwa v247, v26 dst_sel:DWORD dst_unused:UNUSED_PAD src0_sel:WORD_1
	v_cvt_f32_f16_e32 v246, v26
	v_add_f32_e32 v216, 0x40051340, v20
	v_add_f32_e32 v144, 0x40051340, v21
	;; [unrolled: 1-line block ×3, first 2 shown]
	v_pk_add_f32 v[18:19], v[18:19], v[246:247]
	v_add_f32_e32 v26, 0x40051340, v18
	v_add_f32_e32 v246, 0x40051340, v19
	v_max3_f32 v26, v236, v26, v246
	v_add_f32_e32 v249, 0x40051340, v23
	v_max3_f32 v26, v26, v216, v144
	v_max3_f32 v26, v26, v248, v249
	v_add_f32_e32 v250, 0x40051340, v238
	v_add_f32_e32 v251, 0x40051340, v239
	v_max3_f32 v26, v26, v145, v141
	v_add_f32_e32 v142, 0x40051340, v241
	v_max3_f32 v26, v26, v250, v251
	v_add_f32_e32 v252, 0x40051340, v242
	v_add_f32_e32 v253, 0x40051340, v243
	v_max3_f32 v26, v26, v146, v142
	v_add_f32_e32 v254, 0x40051340, v245
	v_max3_f32 v26, v26, v252, v253
	v_max3_f32 v26, v26, v237, v254
	ds_bpermute_b32 v141, v217, v26
	s_waitcnt lgkmcnt(0)
	v_max_f32_e32 v141, v141, v141
	v_max_f32_e32 v26, v26, v141
	ds_bpermute_b32 v141, v218, v26
	s_waitcnt lgkmcnt(0)
	v_max_f32_e32 v141, v141, v141
	v_max_f32_e32 v26, v26, v141
	v_pk_add_f32 v[18:19], v[18:19], v[26:27] op_sel_hi:[1,0] neg_lo:[0,1] neg_hi:[0,1]
	v_mul_f32_e32 v141, 0x3fb8aa3b, v19
	v_fma_f32 v142, v19, s41, -v141
	v_rndne_f32_e32 v144, v141
	v_fmac_f32_e32 v142, 0x32a5705f, v19
	v_sub_f32_e32 v141, v141, v144
	v_add_f32_e32 v141, v141, v142
	v_exp_f32_e32 v141, v141
	v_cvt_i32_f32_e32 v142, v144
	v_cmp_ngt_f32_e32 vcc, s60, v19
	v_ldexp_f32 v141, v141, v142
	v_cndmask_b32_e32 v141, 0, v141, vcc
	v_cmp_nlt_f32_e32 vcc, s61, v19
	v_mul_f32_e32 v19, 0x3fb8aa3b, v18
	v_fma_f32 v142, v18, s41, -v19
	v_rndne_f32_e32 v144, v19
	v_fmac_f32_e32 v142, 0x32a5705f, v18
	v_sub_f32_e32 v19, v19, v144
	v_add_f32_e32 v19, v19, v142
	v_exp_f32_e32 v19, v19
	v_cvt_i32_f32_e32 v142, v144
	v_cndmask_b32_e32 v141, v197, v141, vcc
	v_cmp_ngt_f32_e32 vcc, s60, v18
	v_ldexp_f32 v19, v19, v142
	v_cndmask_b32_e32 v19, 0, v19, vcc
	v_cmp_nlt_f32_e32 vcc, s61, v18
	v_cndmask_b32_e32 v142, v197, v19, vcc
	v_pk_add_f32 v[18:19], v[20:21], v[26:27] op_sel_hi:[1,0] neg_lo:[0,1] neg_hi:[0,1]
	v_mul_f32_e32 v20, 0x3fb8aa3b, v19
	v_fma_f32 v21, v19, s41, -v20
	v_rndne_f32_e32 v144, v20
	v_fmac_f32_e32 v21, 0x32a5705f, v19
	v_sub_f32_e32 v20, v20, v144
	v_add_f32_e32 v20, v20, v21
	v_exp_f32_e32 v20, v20
	v_cvt_i32_f32_e32 v21, v144
	v_cmp_ngt_f32_e32 vcc, s60, v19
	v_ldexp_f32 v20, v20, v21
	v_cndmask_b32_e32 v20, 0, v20, vcc
	v_cmp_nlt_f32_e32 vcc, s61, v19
	v_mul_f32_e32 v19, 0x3fb8aa3b, v18
	v_fma_f32 v21, v18, s41, -v19
	v_rndne_f32_e32 v144, v19
	v_fmac_f32_e32 v21, 0x32a5705f, v18
	v_sub_f32_e32 v19, v19, v144
	v_add_f32_e32 v19, v19, v21
	v_exp_f32_e32 v19, v19
	v_cvt_i32_f32_e32 v21, v144
	v_cndmask_b32_e32 v20, v197, v20, vcc
	v_cmp_ngt_f32_e32 vcc, s60, v18
	v_ldexp_f32 v19, v19, v21
	v_cndmask_b32_e32 v19, 0, v19, vcc
	v_cmp_nlt_f32_e32 vcc, s61, v18
	v_cndmask_b32_e32 v21, v197, v19, vcc
	;; [unrolled: 27-line block ×3, first 2 shown]
	v_pk_add_f32 v[18:19], v[24:25], v[26:27] op_sel_hi:[1,0] neg_lo:[0,1] neg_hi:[0,1]
	v_mul_f32_e32 v24, 0x3fb8aa3b, v19
	v_fma_f32 v25, v19, s41, -v24
	v_rndne_f32_e32 v144, v24
	v_fmac_f32_e32 v25, 0x32a5705f, v19
	v_sub_f32_e32 v24, v24, v144
	v_add_f32_e32 v24, v24, v25
	v_exp_f32_e32 v24, v24
	v_cvt_i32_f32_e32 v25, v144
	v_cmp_ngt_f32_e32 vcc, s60, v19
	v_ldexp_f32 v24, v24, v25
	v_cndmask_b32_e32 v24, 0, v24, vcc
	v_cmp_nlt_f32_e32 vcc, s61, v19
	v_mul_f32_e32 v19, 0x3fb8aa3b, v18
	v_cndmask_b32_e32 v144, v197, v24, vcc
	v_fma_f32 v24, v18, s41, -v19
	v_rndne_f32_e32 v25, v19
	v_fmac_f32_e32 v24, 0x32a5705f, v18
	v_sub_f32_e32 v19, v19, v25
	v_add_f32_e32 v19, v19, v24
	v_exp_f32_e32 v19, v19
	v_cvt_i32_f32_e32 v24, v25
	v_cmp_ngt_f32_e32 vcc, s60, v18
	v_ldexp_f32 v19, v19, v24
	v_cndmask_b32_e32 v19, 0, v19, vcc
	v_cmp_nlt_f32_e32 vcc, s61, v18
	v_cndmask_b32_e32 v145, v197, v19, vcc
	v_pk_add_f32 v[18:19], v[238:239], v[26:27] op_sel_hi:[1,0] neg_lo:[0,1] neg_hi:[0,1]
	v_mul_f32_e32 v24, 0x3fb8aa3b, v19
	v_fma_f32 v25, v19, s41, -v24
	v_rndne_f32_e32 v146, v24
	v_fmac_f32_e32 v25, 0x32a5705f, v19
	v_sub_f32_e32 v24, v24, v146
	v_add_f32_e32 v24, v24, v25
	v_exp_f32_e32 v24, v24
	v_cvt_i32_f32_e32 v25, v146
	v_cmp_ngt_f32_e32 vcc, s60, v19
	v_ldexp_f32 v24, v24, v25
	v_cndmask_b32_e32 v24, 0, v24, vcc
	v_cmp_nlt_f32_e32 vcc, s61, v19
	v_mul_f32_e32 v19, 0x3fb8aa3b, v18
	v_cndmask_b32_e32 v146, v197, v24, vcc
	v_fma_f32 v24, v18, s41, -v19
	v_rndne_f32_e32 v25, v19
	v_fmac_f32_e32 v24, 0x32a5705f, v18
	v_sub_f32_e32 v19, v19, v25
	v_add_f32_e32 v19, v19, v24
	v_exp_f32_e32 v19, v19
	v_cvt_i32_f32_e32 v24, v25
	v_cmp_ngt_f32_e32 vcc, s60, v18
	v_ldexp_f32 v19, v19, v24
	v_cndmask_b32_e32 v19, 0, v19, vcc
	v_cmp_nlt_f32_e32 vcc, s61, v18
	v_cndmask_b32_e32 v237, v197, v19, vcc
	;; [unrolled: 27-line block ×4, first 2 shown]
	v_pk_add_f32 v[18:19], v[244:245], v[26:27] op_sel_hi:[1,0] neg_lo:[0,1] neg_hi:[0,1]
	v_mul_f32_e32 v24, 0x3fb8aa3b, v19
	v_fma_f32 v25, v19, s41, -v24
	v_rndne_f32_e32 v216, v24
	v_fmac_f32_e32 v25, 0x32a5705f, v19
	v_sub_f32_e32 v24, v24, v216
	v_add_f32_e32 v24, v24, v25
	v_exp_f32_e32 v24, v24
	v_cvt_i32_f32_e32 v25, v216
	v_cmp_ngt_f32_e32 vcc, s60, v19
	v_ldexp_f32 v24, v24, v25
	v_cndmask_b32_e32 v24, 0, v24, vcc
	v_cmp_nlt_f32_e32 vcc, s61, v19
	v_cndmask_b32_e32 v19, v197, v24, vcc
	v_mul_f32_e32 v24, 0x3fb8aa3b, v18
	v_fma_f32 v25, v18, s41, -v24
	v_rndne_f32_e32 v216, v24
	v_fmac_f32_e32 v25, 0x32a5705f, v18
	v_sub_f32_e32 v24, v24, v216
	v_add_f32_e32 v24, v24, v25
	v_exp_f32_e32 v24, v24
	v_cvt_i32_f32_e32 v25, v216
	v_cmp_ngt_f32_e32 vcc, s60, v18
	v_ldexp_f32 v24, v24, v25
	v_cndmask_b32_e32 v24, 0, v24, vcc
	v_cmp_nlt_f32_e32 vcc, s61, v18
	v_add_f32_e32 v18, v142, v141
	v_add_f32_e32 v18, v21, v18
	;; [unrolled: 1-line block ×12, first 2 shown]
	v_cndmask_b32_e32 v242, v197, v24, vcc
	v_add_f32_e32 v18, v240, v18
	v_add_f32_e32 v18, v242, v18
	v_add_f32_e32 v216, v19, v18
	v_sub_f32_e32 v18, v236, v26
	v_mul_f32_e32 v24, 0x3fb8aa3b, v18
	v_fma_f32 v25, v18, s41, -v24
	v_rndne_f32_e32 v236, v24
	v_fmac_f32_e32 v25, 0x32a5705f, v18
	v_sub_f32_e32 v24, v24, v236
	v_add_f32_e32 v24, v24, v25
	v_exp_f32_e32 v24, v24
	v_cvt_i32_f32_e32 v25, v236
	v_cmp_ngt_f32_e32 vcc, s60, v18
	v_cvt_f16_f32_e32 v19, v19
	v_ldexp_f32 v24, v24, v25
	v_cndmask_b32_e32 v24, 0, v24, vcc
	v_cmp_nlt_f32_e32 vcc, s61, v18
	v_cndmask_b32_e32 v24, v197, v24, vcc
	v_cmp_le_f32_e32 vcc, s48, v18
	v_cndmask_b32_e32 v18, 0, v24, vcc
	v_fmac_f32_e32 v216, v235, v18
	v_cvt_f16_f32_e32 v18, v18
	v_cvt_f16_f32_e32 v24, v142
	v_add_co_u32_e32 v236, vcc, v66, v54
	v_pk_mul_f16 v220, v18, v220 op_sel_hi:[0,1]
	v_pk_mul_f16 v219, v18, v219 op_sel_hi:[0,1]
	;; [unrolled: 1-line block ×16, first 2 shown]
	v_cvt_f16_f32_e32 v18, v141
	v_cvt_f16_f32_e32 v141, v241
	v_pack_b32_f16 v24, v24, v18
	v_cvt_f16_f32_e32 v18, v20
	v_cvt_f16_f32_e32 v20, v21
	;; [unrolled: 1-line block ×3, first 2 shown]
	v_pack_b32_f16 v25, v20, v18
	v_cvt_f16_f32_e32 v18, v22
	v_cvt_f16_f32_e32 v20, v23
	v_pack_b32_f16 v22, v20, v18
	v_cvt_f16_f32_e32 v18, v144
	v_cvt_f16_f32_e32 v20, v145
	;; [unrolled: 3-line block ×3, first 2 shown]
	v_addc_co_u32_e32 v237, vcc, 0, v1, vcc
	v_pack_b32_f16 v20, v20, v18
	v_cvt_f16_f32_e32 v18, v238
	global_load_dwordx4 v[236:239], v[236:237], off
	v_pack_b32_f16 v21, v21, v18
	v_cvt_f16_f32_e32 v18, v240
	v_add_co_u32_e32 v240, vcc, v68, v54
	v_addc_co_u32_e32 v241, vcc, 0, v27, vcc
	v_pack_b32_f16 v18, v141, v18
	v_cvt_f16_f32_e32 v141, v242
	v_add_co_u32_e32 v242, vcc, v70, v54
	v_addc_co_u32_e32 v243, vcc, 0, v29, vcc
	v_add_co_u32_e32 v244, vcc, v72, v54
	v_addc_co_u32_e32 v245, vcc, 0, v31, vcc
	v_pack_b32_f16 v19, v141, v19
	v_add_co_u32_e32 v64, vcc, s30, v64
	v_addc_co_u32_e32 v65, vcc, 0, v65, vcc
	v_add_co_u32_e32 v60, vcc, s30, v60
	v_addc_co_u32_e32 v61, vcc, 0, v61, vcc
	v_add_co_u32_e32 v66, vcc, s64, v66
	s_waitcnt vmcnt(0)
	ds_write_b128 v99, v[236:239]
	global_load_dwordx4 v[236:239], v[240:241], off
	s_waitcnt vmcnt(0)
	ds_write_b128 v171, v[236:239]
	global_load_dwordx4 v[236:239], v[242:243], off
	;; [unrolled: 3-line block ×3, first 2 shown]
	s_waitcnt vmcnt(0)
	ds_write_b128 v173, v[236:239]
	s_waitcnt lgkmcnt(0)
	s_barrier
	ds_read_u16 v141, v104 offset:544
	ds_read_u16 v142, v105
	ds_read_u16 v144, v105 offset:32
	v_cvt_f32_f16_e32 v236, v220
	v_cvt_f32_f16_sdwa v237, v220 dst_sel:DWORD dst_unused:UNUSED_PAD src0_sel:WORD_1
	v_cvt_f32_f16_e32 v238, v219
	s_waitcnt lgkmcnt(1)
	v_perm_b32 v241, v142, v141, s49
	ds_read_u16 v141, v102
	ds_read_u16 v142, v102 offset:32
	ds_read_u16 v145, v104 offset:272
	;; [unrolled: 1-line block ×3, first 2 shown]
	v_cvt_f32_f16_sdwa v239, v219 dst_sel:DWORD dst_unused:UNUSED_PAD src0_sel:WORD_1
	s_waitcnt lgkmcnt(1)
	v_perm_b32 v240, v145, v141, s49
	s_nop 1
	v_mfma_f32_16x16x16f16 v[236:239], v[240:241], v[24:25], v[236:239]
	ds_read_u16 v234, v102 offset:4352
	ds_read_u16 v240, v104 offset:4624
	ds_read_u16 v241, v106 offset:544
	ds_read_u16 v242, v105 offset:4352
	s_waitcnt lgkmcnt(2)
	v_perm_b32 v240, v240, v234, s49
	s_waitcnt lgkmcnt(0)
	v_perm_b32 v241, v242, v241, s49
	s_nop 2
	v_cvt_f16_f32_e32 v141, v236
	v_cvt_f16_f32_e32 v145, v237
	v_cvt_f16_f32_e32 v219, v238
	v_cvt_f16_f32_e32 v220, v239
	v_cvt_f32_f16_e32 v236, v141
	v_cvt_f32_f16_e32 v237, v145
	v_cvt_f32_f16_e32 v238, v219
	v_cvt_f32_f16_e32 v239, v220
	s_nop 1
	v_mfma_f32_16x16x16f16 v[236:239], v[240:241], v[22:23], v[236:239]
	ds_read_u16 v234, v102 offset:8704
	ds_read_u16 v240, v104 offset:8976
	ds_read_u16 v241, v107 offset:544
	ds_read_u16 v242, v105 offset:8704
	s_waitcnt lgkmcnt(2)
	v_perm_b32 v240, v240, v234, s49
	s_waitcnt lgkmcnt(0)
	v_perm_b32 v241, v242, v241, s49
	s_nop 2
	v_cvt_f16_f32_e32 v141, v236
	v_cvt_f16_f32_e32 v145, v237
	v_cvt_f16_f32_e32 v219, v238
	v_cvt_f16_f32_e32 v220, v239
	v_cvt_f32_f16_e32 v236, v141
	v_cvt_f32_f16_e32 v237, v145
	v_cvt_f32_f16_e32 v238, v219
	v_cvt_f32_f16_e32 v239, v220
	;; [unrolled: 19-line block ×3, first 2 shown]
	s_nop 1
	v_mfma_f32_16x16x16f16 v[236:239], v[240:241], v[18:19], v[236:239]
	v_perm_b32 v240, v146, v142, s49
	s_nop 7
	s_nop 1
	v_cvt_f16_f32_e32 v141, v236
	v_cvt_f16_f32_e32 v145, v237
	;; [unrolled: 1-line block ×4, first 2 shown]
	v_cvt_f32_f16_e32 v236, v222
	v_pack_b32_f16 v220, v141, v145
	ds_read_u16 v141, v111 offset:544
	v_cvt_f32_f16_sdwa v237, v222 dst_sel:DWORD dst_unused:UNUSED_PAD src0_sel:WORD_1
	v_cvt_f32_f16_e32 v238, v221
	v_cvt_f32_f16_sdwa v239, v221 dst_sel:DWORD dst_unused:UNUSED_PAD src0_sel:WORD_1
	v_pack_b32_f16 v219, v219, v234
	s_waitcnt lgkmcnt(0)
	v_perm_b32 v241, v144, v141, s49
	ds_read_u16 v146, v102 offset:4384
	ds_read_u16 v221, v104 offset:4656
	ds_read_u16 v222, v112 offset:544
	ds_read_u16 v234, v105 offset:4384
	v_mfma_f32_16x16x16f16 v[236:239], v[240:241], v[24:25], v[236:239]
	s_waitcnt lgkmcnt(0)
	v_perm_b32 v241, v234, v222, s49
	v_perm_b32 v240, v221, v146, s49
	ds_read_u16 v146, v102 offset:8736
	ds_read_u16 v221, v104 offset:9008
	;; [unrolled: 1-line block ×4, first 2 shown]
	s_nop 3
	v_cvt_f16_f32_e32 v141, v236
	v_cvt_f16_f32_e32 v142, v237
	;; [unrolled: 1-line block ×4, first 2 shown]
	v_cvt_f32_f16_e32 v236, v141
	v_cvt_f32_f16_e32 v237, v142
	;; [unrolled: 1-line block ×4, first 2 shown]
	s_nop 1
	v_mfma_f32_16x16x16f16 v[236:239], v[240:241], v[22:23], v[236:239]
	s_waitcnt lgkmcnt(0)
	v_perm_b32 v241, v234, v222, s49
	v_perm_b32 v240, v221, v146, s49
	ds_read_u16 v146, v102 offset:13088
	ds_read_u16 v221, v104 offset:13360
	;; [unrolled: 1-line block ×4, first 2 shown]
	s_nop 3
	v_cvt_f16_f32_e32 v141, v236
	v_cvt_f16_f32_e32 v142, v237
	;; [unrolled: 1-line block ×4, first 2 shown]
	v_cvt_f32_f16_e32 v236, v141
	v_cvt_f32_f16_e32 v237, v142
	;; [unrolled: 1-line block ×4, first 2 shown]
	s_nop 1
	v_mfma_f32_16x16x16f16 v[236:239], v[240:241], v[20:21], v[236:239]
	s_waitcnt lgkmcnt(0)
	v_perm_b32 v241, v234, v222, s49
	v_perm_b32 v240, v221, v146, s49
	s_nop 7
	v_cvt_f16_f32_e32 v141, v236
	v_cvt_f16_f32_e32 v142, v237
	;; [unrolled: 1-line block ×4, first 2 shown]
	v_cvt_f32_f16_e32 v236, v141
	v_cvt_f32_f16_e32 v237, v142
	;; [unrolled: 1-line block ×4, first 2 shown]
	s_nop 1
	v_mfma_f32_16x16x16f16 v[236:239], v[240:241], v[18:19], v[236:239]
	s_nop 7
	s_nop 2
	v_cvt_f16_f32_e32 v141, v236
	v_cvt_f16_f32_e32 v142, v237
	;; [unrolled: 1-line block ×4, first 2 shown]
	v_cvt_f32_f16_e32 v236, v224
	v_pack_b32_f16 v222, v141, v142
	v_cvt_f32_f16_sdwa v237, v224 dst_sel:DWORD dst_unused:UNUSED_PAD src0_sel:WORD_1
	v_pack_b32_f16 v221, v144, v145
	ds_read_u16 v141, v102 offset:64
	ds_read_u16 v142, v104 offset:336
	;; [unrolled: 1-line block ×4, first 2 shown]
	v_cvt_f32_f16_e32 v238, v223
	v_cvt_f32_f16_sdwa v239, v223 dst_sel:DWORD dst_unused:UNUSED_PAD src0_sel:WORD_1
	s_waitcnt lgkmcnt(2)
	v_perm_b32 v240, v142, v141, s49
	ds_read_u16 v146, v102 offset:4416
	ds_read_u16 v223, v104 offset:4688
	;; [unrolled: 1-line block ×4, first 2 shown]
	s_waitcnt lgkmcnt(4)
	v_perm_b32 v241, v145, v144, s49
	s_nop 1
	v_mfma_f32_16x16x16f16 v[236:239], v[240:241], v[24:25], v[236:239]
	s_waitcnt lgkmcnt(0)
	v_perm_b32 v241, v234, v224, s49
	v_perm_b32 v240, v223, v146, s49
	ds_read_u16 v146, v102 offset:8768
	ds_read_u16 v223, v104 offset:9040
	;; [unrolled: 1-line block ×4, first 2 shown]
	s_nop 3
	v_cvt_f16_f32_e32 v141, v236
	v_cvt_f16_f32_e32 v142, v237
	;; [unrolled: 1-line block ×4, first 2 shown]
	v_cvt_f32_f16_e32 v236, v141
	v_cvt_f32_f16_e32 v237, v142
	;; [unrolled: 1-line block ×4, first 2 shown]
	s_nop 1
	v_mfma_f32_16x16x16f16 v[236:239], v[240:241], v[22:23], v[236:239]
	s_waitcnt lgkmcnt(0)
	v_perm_b32 v241, v234, v224, s49
	v_perm_b32 v240, v223, v146, s49
	ds_read_u16 v146, v102 offset:13120
	ds_read_u16 v223, v104 offset:13392
	;; [unrolled: 1-line block ×4, first 2 shown]
	s_nop 3
	v_cvt_f16_f32_e32 v141, v236
	v_cvt_f16_f32_e32 v142, v237
	;; [unrolled: 1-line block ×4, first 2 shown]
	v_cvt_f32_f16_e32 v236, v141
	v_cvt_f32_f16_e32 v237, v142
	;; [unrolled: 1-line block ×4, first 2 shown]
	s_nop 1
	v_mfma_f32_16x16x16f16 v[236:239], v[240:241], v[20:21], v[236:239]
	s_waitcnt lgkmcnt(0)
	v_perm_b32 v241, v234, v224, s49
	v_perm_b32 v240, v223, v146, s49
	s_nop 7
	v_cvt_f16_f32_e32 v141, v236
	v_cvt_f16_f32_e32 v142, v237
	;; [unrolled: 1-line block ×4, first 2 shown]
	v_cvt_f32_f16_e32 v236, v141
	v_cvt_f32_f16_e32 v237, v142
	;; [unrolled: 1-line block ×4, first 2 shown]
	s_nop 1
	v_mfma_f32_16x16x16f16 v[236:239], v[240:241], v[18:19], v[236:239]
	s_nop 7
	s_nop 2
	v_cvt_f16_f32_e32 v141, v236
	v_cvt_f16_f32_e32 v142, v237
	;; [unrolled: 1-line block ×4, first 2 shown]
	v_cvt_f32_f16_e32 v236, v226
	v_pack_b32_f16 v224, v141, v142
	v_cvt_f32_f16_sdwa v237, v226 dst_sel:DWORD dst_unused:UNUSED_PAD src0_sel:WORD_1
	v_pack_b32_f16 v223, v144, v145
	ds_read_u16 v141, v102 offset:96
	ds_read_u16 v142, v104 offset:368
	;; [unrolled: 1-line block ×4, first 2 shown]
	v_cvt_f32_f16_e32 v238, v225
	v_cvt_f32_f16_sdwa v239, v225 dst_sel:DWORD dst_unused:UNUSED_PAD src0_sel:WORD_1
	s_waitcnt lgkmcnt(2)
	v_perm_b32 v240, v142, v141, s49
	ds_read_u16 v146, v102 offset:4448
	ds_read_u16 v225, v104 offset:4720
	;; [unrolled: 1-line block ×4, first 2 shown]
	s_waitcnt lgkmcnt(4)
	v_perm_b32 v241, v145, v144, s49
	s_nop 1
	v_mfma_f32_16x16x16f16 v[236:239], v[240:241], v[24:25], v[236:239]
	s_waitcnt lgkmcnt(0)
	v_perm_b32 v241, v234, v226, s49
	v_perm_b32 v240, v225, v146, s49
	ds_read_u16 v146, v102 offset:8800
	ds_read_u16 v225, v104 offset:9072
	;; [unrolled: 1-line block ×4, first 2 shown]
	s_nop 3
	v_cvt_f16_f32_e32 v141, v236
	v_cvt_f16_f32_e32 v142, v237
	;; [unrolled: 1-line block ×4, first 2 shown]
	v_cvt_f32_f16_e32 v236, v141
	v_cvt_f32_f16_e32 v237, v142
	;; [unrolled: 1-line block ×4, first 2 shown]
	s_nop 1
	v_mfma_f32_16x16x16f16 v[236:239], v[240:241], v[22:23], v[236:239]
	s_waitcnt lgkmcnt(0)
	v_perm_b32 v241, v234, v226, s49
	v_perm_b32 v240, v225, v146, s49
	ds_read_u16 v146, v102 offset:13152
	ds_read_u16 v225, v104 offset:13424
	;; [unrolled: 1-line block ×4, first 2 shown]
	s_nop 3
	v_cvt_f16_f32_e32 v141, v236
	v_cvt_f16_f32_e32 v142, v237
	;; [unrolled: 1-line block ×4, first 2 shown]
	v_cvt_f32_f16_e32 v236, v141
	v_cvt_f32_f16_e32 v237, v142
	;; [unrolled: 1-line block ×4, first 2 shown]
	s_nop 1
	v_mfma_f32_16x16x16f16 v[236:239], v[240:241], v[20:21], v[236:239]
	s_waitcnt lgkmcnt(0)
	v_perm_b32 v241, v234, v226, s49
	v_perm_b32 v240, v225, v146, s49
	s_nop 7
	v_cvt_f16_f32_e32 v141, v236
	v_cvt_f16_f32_e32 v142, v237
	;; [unrolled: 1-line block ×4, first 2 shown]
	v_cvt_f32_f16_e32 v236, v141
	v_cvt_f32_f16_e32 v237, v142
	;; [unrolled: 1-line block ×4, first 2 shown]
	s_nop 1
	v_mfma_f32_16x16x16f16 v[236:239], v[240:241], v[18:19], v[236:239]
	s_nop 7
	s_nop 2
	v_cvt_f16_f32_e32 v141, v236
	v_cvt_f16_f32_e32 v142, v237
	;; [unrolled: 1-line block ×4, first 2 shown]
	v_cvt_f32_f16_e32 v236, v228
	v_pack_b32_f16 v226, v141, v142
	v_cvt_f32_f16_sdwa v237, v228 dst_sel:DWORD dst_unused:UNUSED_PAD src0_sel:WORD_1
	v_pack_b32_f16 v225, v144, v145
	ds_read_u16 v141, v102 offset:128
	ds_read_u16 v142, v104 offset:400
	;; [unrolled: 1-line block ×4, first 2 shown]
	v_cvt_f32_f16_e32 v238, v227
	v_cvt_f32_f16_sdwa v239, v227 dst_sel:DWORD dst_unused:UNUSED_PAD src0_sel:WORD_1
	s_waitcnt lgkmcnt(2)
	v_perm_b32 v240, v142, v141, s49
	ds_read_u16 v146, v102 offset:4480
	ds_read_u16 v227, v104 offset:4752
	;; [unrolled: 1-line block ×4, first 2 shown]
	s_waitcnt lgkmcnt(4)
	v_perm_b32 v241, v145, v144, s49
	s_nop 1
	v_mfma_f32_16x16x16f16 v[236:239], v[240:241], v[24:25], v[236:239]
	s_waitcnt lgkmcnt(0)
	v_perm_b32 v241, v234, v228, s49
	v_perm_b32 v240, v227, v146, s49
	ds_read_u16 v146, v102 offset:8832
	ds_read_u16 v227, v104 offset:9104
	;; [unrolled: 1-line block ×4, first 2 shown]
	s_nop 3
	v_cvt_f16_f32_e32 v141, v236
	v_cvt_f16_f32_e32 v142, v237
	;; [unrolled: 1-line block ×4, first 2 shown]
	v_cvt_f32_f16_e32 v236, v141
	v_cvt_f32_f16_e32 v237, v142
	;; [unrolled: 1-line block ×4, first 2 shown]
	s_nop 1
	v_mfma_f32_16x16x16f16 v[236:239], v[240:241], v[22:23], v[236:239]
	s_waitcnt lgkmcnt(0)
	v_perm_b32 v241, v234, v228, s49
	v_perm_b32 v240, v227, v146, s49
	ds_read_u16 v146, v102 offset:13184
	ds_read_u16 v227, v104 offset:13456
	;; [unrolled: 1-line block ×4, first 2 shown]
	s_nop 3
	v_cvt_f16_f32_e32 v141, v236
	v_cvt_f16_f32_e32 v142, v237
	;; [unrolled: 1-line block ×4, first 2 shown]
	v_cvt_f32_f16_e32 v236, v141
	v_cvt_f32_f16_e32 v237, v142
	;; [unrolled: 1-line block ×4, first 2 shown]
	s_nop 1
	v_mfma_f32_16x16x16f16 v[236:239], v[240:241], v[20:21], v[236:239]
	s_waitcnt lgkmcnt(0)
	v_perm_b32 v241, v234, v228, s49
	v_perm_b32 v240, v227, v146, s49
	s_nop 7
	v_cvt_f16_f32_e32 v141, v236
	v_cvt_f16_f32_e32 v142, v237
	;; [unrolled: 1-line block ×4, first 2 shown]
	v_cvt_f32_f16_e32 v236, v141
	v_cvt_f32_f16_e32 v237, v142
	;; [unrolled: 1-line block ×4, first 2 shown]
	s_nop 1
	v_mfma_f32_16x16x16f16 v[236:239], v[240:241], v[18:19], v[236:239]
	s_nop 7
	s_nop 2
	v_cvt_f16_f32_e32 v141, v236
	v_cvt_f16_f32_e32 v142, v237
	;; [unrolled: 1-line block ×4, first 2 shown]
	v_cvt_f32_f16_e32 v236, v230
	v_pack_b32_f16 v228, v141, v142
	v_cvt_f32_f16_sdwa v237, v230 dst_sel:DWORD dst_unused:UNUSED_PAD src0_sel:WORD_1
	v_pack_b32_f16 v227, v144, v145
	ds_read_u16 v141, v102 offset:160
	ds_read_u16 v142, v104 offset:432
	;; [unrolled: 1-line block ×4, first 2 shown]
	v_cvt_f32_f16_e32 v238, v229
	v_cvt_f32_f16_sdwa v239, v229 dst_sel:DWORD dst_unused:UNUSED_PAD src0_sel:WORD_1
	s_waitcnt lgkmcnt(2)
	v_perm_b32 v240, v142, v141, s49
	ds_read_u16 v146, v102 offset:4512
	ds_read_u16 v229, v104 offset:4784
	;; [unrolled: 1-line block ×4, first 2 shown]
	s_waitcnt lgkmcnt(4)
	v_perm_b32 v241, v145, v144, s49
	s_nop 1
	v_mfma_f32_16x16x16f16 v[236:239], v[240:241], v[24:25], v[236:239]
	s_waitcnt lgkmcnt(0)
	v_perm_b32 v241, v234, v230, s49
	v_perm_b32 v240, v229, v146, s49
	ds_read_u16 v146, v102 offset:8864
	ds_read_u16 v229, v104 offset:9136
	;; [unrolled: 1-line block ×4, first 2 shown]
	s_nop 3
	v_cvt_f16_f32_e32 v141, v236
	v_cvt_f16_f32_e32 v142, v237
	v_cvt_f16_f32_e32 v144, v238
	v_cvt_f16_f32_e32 v145, v239
	v_cvt_f32_f16_e32 v236, v141
	v_cvt_f32_f16_e32 v237, v142
	v_cvt_f32_f16_e32 v238, v144
	v_cvt_f32_f16_e32 v239, v145
	s_nop 1
	v_mfma_f32_16x16x16f16 v[236:239], v[240:241], v[22:23], v[236:239]
	s_waitcnt lgkmcnt(0)
	v_perm_b32 v241, v234, v230, s49
	v_perm_b32 v240, v229, v146, s49
	ds_read_u16 v146, v102 offset:13216
	ds_read_u16 v229, v104 offset:13488
	ds_read_u16 v230, v130 offset:544
	ds_read_u16 v234, v105 offset:13216
	s_nop 3
	v_cvt_f16_f32_e32 v141, v236
	v_cvt_f16_f32_e32 v142, v237
	;; [unrolled: 1-line block ×4, first 2 shown]
	v_cvt_f32_f16_e32 v236, v141
	v_cvt_f32_f16_e32 v237, v142
	;; [unrolled: 1-line block ×4, first 2 shown]
	s_nop 1
	v_mfma_f32_16x16x16f16 v[236:239], v[240:241], v[20:21], v[236:239]
	s_waitcnt lgkmcnt(0)
	v_perm_b32 v241, v234, v230, s49
	v_perm_b32 v240, v229, v146, s49
	s_nop 7
	v_cvt_f16_f32_e32 v141, v236
	v_cvt_f16_f32_e32 v142, v237
	v_cvt_f16_f32_e32 v144, v238
	v_cvt_f16_f32_e32 v145, v239
	v_cvt_f32_f16_e32 v236, v141
	v_cvt_f32_f16_e32 v237, v142
	;; [unrolled: 1-line block ×4, first 2 shown]
	s_nop 1
	v_mfma_f32_16x16x16f16 v[236:239], v[240:241], v[18:19], v[236:239]
	s_nop 7
	s_nop 2
	v_cvt_f16_f32_e32 v141, v236
	v_cvt_f16_f32_e32 v142, v237
	v_cvt_f16_f32_e32 v144, v238
	v_cvt_f16_f32_e32 v145, v239
	v_cvt_f32_f16_e32 v236, v233
	v_pack_b32_f16 v230, v141, v142
	v_cvt_f32_f16_sdwa v237, v233 dst_sel:DWORD dst_unused:UNUSED_PAD src0_sel:WORD_1
	v_pack_b32_f16 v229, v144, v145
	ds_read_u16 v141, v102 offset:192
	ds_read_u16 v142, v104 offset:464
	;; [unrolled: 1-line block ×4, first 2 shown]
	v_cvt_f32_f16_e32 v238, v232
	v_cvt_f32_f16_sdwa v239, v232 dst_sel:DWORD dst_unused:UNUSED_PAD src0_sel:WORD_1
	s_waitcnt lgkmcnt(2)
	v_perm_b32 v232, v142, v141, s49
	s_waitcnt lgkmcnt(0)
	v_perm_b32 v233, v145, v144, s49
	s_nop 1
	v_mfma_f32_16x16x16f16 v[236:239], v[232:233], v[24:25], v[236:239]
	ds_read_u16 v146, v102 offset:4544
	ds_read_u16 v232, v104 offset:4816
	;; [unrolled: 1-line block ×4, first 2 shown]
	s_waitcnt lgkmcnt(2)
	v_perm_b32 v232, v232, v146, s49
	s_waitcnt lgkmcnt(0)
	v_perm_b32 v233, v234, v233, s49
	s_nop 2
	v_cvt_f16_f32_e32 v141, v236
	v_cvt_f16_f32_e32 v142, v237
	;; [unrolled: 1-line block ×4, first 2 shown]
	v_cvt_f32_f16_e32 v236, v141
	v_cvt_f32_f16_e32 v237, v142
	;; [unrolled: 1-line block ×4, first 2 shown]
	s_nop 1
	v_mfma_f32_16x16x16f16 v[236:239], v[232:233], v[22:23], v[236:239]
	ds_read_u16 v146, v102 offset:8896
	ds_read_u16 v232, v104 offset:9168
	;; [unrolled: 1-line block ×4, first 2 shown]
	s_waitcnt lgkmcnt(2)
	v_perm_b32 v232, v232, v146, s49
	s_waitcnt lgkmcnt(0)
	v_perm_b32 v233, v234, v233, s49
	s_nop 2
	v_cvt_f16_f32_e32 v141, v236
	v_cvt_f16_f32_e32 v142, v237
	;; [unrolled: 1-line block ×4, first 2 shown]
	v_cvt_f32_f16_e32 v236, v141
	v_cvt_f32_f16_e32 v237, v142
	v_cvt_f32_f16_e32 v238, v144
	v_cvt_f32_f16_e32 v239, v145
	s_nop 1
	v_mfma_f32_16x16x16f16 v[236:239], v[232:233], v[20:21], v[236:239]
	ds_read_u16 v146, v102 offset:13248
	ds_read_u16 v232, v104 offset:13520
	;; [unrolled: 1-line block ×4, first 2 shown]
	s_waitcnt lgkmcnt(2)
	v_perm_b32 v232, v232, v146, s49
	s_waitcnt lgkmcnt(0)
	v_perm_b32 v233, v234, v233, s49
	v_cvt_f32_f16_e32 v234, v235
	s_nop 1
	v_cvt_f16_f32_e32 v141, v236
	v_cvt_f16_f32_e32 v142, v237
	;; [unrolled: 1-line block ×4, first 2 shown]
	v_cvt_f32_f16_e32 v236, v141
	v_cvt_f32_f16_e32 v237, v142
	v_cvt_f32_f16_e32 v238, v144
	v_cvt_f32_f16_e32 v239, v145
	v_cvt_f32_f16_sdwa v235, v235 dst_sel:DWORD dst_unused:UNUSED_PAD src0_sel:WORD_1
	s_nop 0
	v_mfma_f32_16x16x16f16 v[236:239], v[232:233], v[18:19], v[236:239]
	s_nop 7
	s_nop 2
	v_cvt_f16_f32_e32 v141, v236
	v_cvt_f16_f32_e32 v142, v237
	;; [unrolled: 1-line block ×4, first 2 shown]
	v_cvt_f32_f16_e32 v236, v231
	v_pack_b32_f16 v233, v141, v142
	v_cvt_f32_f16_sdwa v237, v231 dst_sel:DWORD dst_unused:UNUSED_PAD src0_sel:WORD_1
	v_pack_b32_f16 v232, v144, v145
	ds_read_u16 v141, v102 offset:224
	ds_read_u16 v142, v104 offset:496
	;; [unrolled: 1-line block ×4, first 2 shown]
	s_waitcnt lgkmcnt(2)
	v_perm_b32 v238, v142, v141, s49
	s_waitcnt lgkmcnt(0)
	v_perm_b32 v239, v145, v144, s49
	ds_read_u16 v144, v102 offset:4576
	ds_read_u16 v145, v104 offset:4848
	ds_read_u16 v146, v136 offset:544
	ds_read_u16 v231, v105 offset:4576
	v_mfma_f32_16x16x16f16 v[234:237], v[238:239], v[24:25], v[234:237]
	s_nop 7
	s_nop 2
	v_cvt_f16_f32_e32 v24, v234
	v_cvt_f16_f32_e32 v25, v235
	;; [unrolled: 1-line block ×4, first 2 shown]
	v_cvt_f32_f16_e32 v234, v24
	v_cvt_f32_f16_e32 v235, v25
	s_waitcnt lgkmcnt(0)
	v_perm_b32 v25, v231, v146, s49
	v_perm_b32 v24, v145, v144, s49
	v_cvt_f32_f16_e32 v236, v141
	v_cvt_f32_f16_e32 v237, v142
	ds_read_u16 v141, v102 offset:8928
	ds_read_u16 v142, v104 offset:9200
	;; [unrolled: 1-line block ×4, first 2 shown]
	v_mfma_f32_16x16x16f16 v[22:25], v[24:25], v[22:23], v[234:237]
	s_waitcnt lgkmcnt(0)
	s_nop 5
	v_perm_b32 v235, v145, v144, s49
	v_perm_b32 v234, v142, v141, s49
	s_nop 1
	v_cvt_f16_f32_e32 v22, v22
	v_cvt_f16_f32_e32 v23, v23
	;; [unrolled: 1-line block ×4, first 2 shown]
	v_cvt_f32_f16_e32 v22, v22
	v_cvt_f32_f16_e32 v23, v23
	;; [unrolled: 1-line block ×4, first 2 shown]
	s_nop 1
	v_mfma_f32_16x16x16f16 v[20:23], v[234:235], v[20:21], v[22:25]
	s_nop 6
	ds_read_u16 v24, v102 offset:13280
	ds_read_u16 v141, v104 offset:13552
	;; [unrolled: 1-line block ×4, first 2 shown]
	s_waitcnt lgkmcnt(0)
	s_barrier
	v_perm_b32 v24, v141, v24, s49
	v_perm_b32 v25, v142, v25, s49
	v_cvt_f16_f32_e32 v20, v20
	v_cvt_f16_f32_e32 v21, v21
	v_cvt_f16_f32_e32 v22, v22
	v_cvt_f16_f32_e32 v23, v23
	v_cvt_f32_f16_e32 v20, v20
	v_cvt_f32_f16_e32 v21, v21
	;; [unrolled: 1-line block ×4, first 2 shown]
	s_nop 1
	v_mfma_f32_16x16x16f16 v[18:21], v[24:25], v[18:19], v[20:23]
	s_nop 7
	s_nop 2
	v_cvt_f16_f32_e32 v18, v18
	v_cvt_f16_f32_e32 v19, v19
	;; [unrolled: 1-line block ×4, first 2 shown]
	v_pack_b32_f16 v231, v18, v19
	v_mov_b32_e32 v18, s65
	v_addc_co_u32_e32 v1, vcc, v1, v18, vcc
	v_add_co_u32_e32 v68, vcc, s64, v68
	v_addc_co_u32_e32 v27, vcc, v27, v18, vcc
	v_add_co_u32_e32 v70, vcc, s64, v70
	;; [unrolled: 2-line block ×4, first 2 shown]
	v_mov_b32_e32 v18, s67
	v_addc_co_u32_e32 v33, vcc, v33, v18, vcc
	v_add_co_u32_e32 v76, vcc, s66, v76
	v_addc_co_u32_e32 v53, vcc, v53, v18, vcc
	v_add_co_u32_e32 v78, vcc, s66, v78
	;; [unrolled: 2-line block ×3, first 2 shown]
	v_pack_b32_f16 v234, v20, v21
	v_addc_co_u32_e32 v57, vcc, v57, v18, vcc
	s_cbranch_scc1 .LBB24_255
; %bb.256:                              ;   in Loop: Header=BB24_13 Depth=1
	s_lshl_b32 s62, s46, 6
	v_mad_i64_i32 v[18:19], s[38:39], v28, s40, 0
	v_mad_i64_i32 v[20:21], s[38:39], v62, s40, 0
	s_mov_b64 s[56:57], s[62:63]
.LBB24_257:                             ;   in Loop: Header=BB24_13 Depth=1
	s_lshl_b64 s[38:39], s[56:57], 1
	v_add_co_u32_e32 v1, vcc, s38, v199
	v_mov_b32_e32 v22, s39
	v_addc_co_u32_e32 v22, vcc, v198, v22, vcc
	v_lshlrev_b32_e32 v23, 1, v52
	v_add_co_u32_e32 v1, vcc, v1, v23
	v_addc_co_u32_e32 v22, vcc, 0, v22, vcc
	v_lshlrev_b64 v[18:19], 1, v[18:19]
	v_add_co_u32_e32 v18, vcc, v1, v18
	v_addc_co_u32_e32 v19, vcc, v22, v19, vcc
	global_load_dword v18, v[18:19], off
	v_add_u32_e32 v23, v170, v168
	s_mul_i32 s38, s56, s37
	s_mul_hi_u32 s39, s56, s36
	s_add_i32 s38, s39, s38
	s_mul_i32 s39, s57, s36
	s_add_i32 s39, s38, s39
	s_mul_i32 s38, s56, s36
	s_lshl_b64 s[38:39], s[38:39], 2
	s_add_u32 s38, s44, s38
	s_addc_u32 s39, s45, s39
	v_readlane_b32 s54, v255, 28
	s_waitcnt vmcnt(0)
	ds_write_b32 v23, v18 offset:17408
	v_lshlrev_b64 v[18:19], 1, v[20:21]
	v_add_co_u32_e32 v18, vcc, v1, v18
	v_addc_co_u32_e32 v19, vcc, v22, v19, vcc
	global_load_dword v1, v[18:19], off
	v_mov_b32_e32 v18, s39
	s_waitcnt vmcnt(0)
	ds_write_b32 v23, v1 offset:18560
	v_add_co_u32_e32 v1, vcc, s38, v44
	v_addc_co_u32_e32 v19, vcc, v18, v45, vcc
	v_add_co_u32_e32 v18, vcc, v1, v110
	v_addc_co_u32_e32 v19, vcc, 0, v19, vcc
	global_load_dwordx4 v[18:21], v[18:19], off
	v_add_co_u32_e32 v1, vcc, s38, v46
	s_waitcnt vmcnt(0)
	ds_write_b128 v99, v[18:21]
	v_mov_b32_e32 v18, s39
	v_addc_co_u32_e32 v19, vcc, v18, v47, vcc
	v_add_co_u32_e32 v18, vcc, v1, v110
	v_addc_co_u32_e32 v19, vcc, 0, v19, vcc
	global_load_dwordx4 v[18:21], v[18:19], off
	v_add_co_u32_e32 v1, vcc, s38, v48
	s_waitcnt vmcnt(0)
	ds_write_b128 v171, v[18:21]
	v_mov_b32_e32 v18, s39
	v_addc_co_u32_e32 v19, vcc, v18, v49, vcc
	v_add_co_u32_e32 v18, vcc, v1, v110
	v_addc_co_u32_e32 v19, vcc, 0, v19, vcc
	global_load_dwordx4 v[18:21], v[18:19], off
	v_add_co_u32_e32 v1, vcc, s38, v50
	s_mul_i32 s38, s56, s27
	s_waitcnt vmcnt(0)
	ds_write_b128 v172, v[18:21]
	v_mov_b32_e32 v18, s39
	v_addc_co_u32_e32 v19, vcc, v18, v51, vcc
	v_add_co_u32_e32 v18, vcc, v1, v110
	v_addc_co_u32_e32 v19, vcc, 0, v19, vcc
	global_load_dwordx4 v[18:21], v[18:19], off
	v_add_u32_e32 v1, 0x1000, v95
	v_cmp_lt_i32_e32 vcc, v214, v67
	s_mul_hi_u32 s39, s56, s26
	s_add_i32 s38, s39, s38
	s_mul_i32 s39, s57, s26
	s_add_i32 s39, s38, s39
	s_mul_i32 s38, s56, s26
	s_lshl_b64 s[38:39], s[38:39], 2
	s_add_u32 s38, s42, s38
	s_addc_u32 s39, s43, s39
	s_cmp_lg_u64 s[68:69], 0
	s_waitcnt vmcnt(0)
	ds_write_b128 v173, v[18:21]
	s_waitcnt lgkmcnt(0)
	s_barrier
	ds_read2_b64 v[18:21], v95 offset1:4
	s_waitcnt lgkmcnt(0)
	v_mfma_f32_16x16x16f16 v[22:25], v[18:19], v[14:15], 0
	v_mfma_f32_16x16x16f16 v[18:21], v[20:21], v[16:17], v[22:25]
	s_nop 7
	s_nop 1
	ds_read2_b64 v[22:25], v95 offset0:8 offset1:12
	s_waitcnt lgkmcnt(0)
	v_mfma_f32_16x16x16f16 v[18:21], v[22:23], v[10:11], v[18:21]
	v_mfma_f32_16x16x16f16 v[18:21], v[24:25], v[12:13], v[18:21]
	ds_read2_b64 v[22:25], v95 offset0:16 offset1:20
	s_waitcnt lgkmcnt(0)
	v_mfma_f32_16x16x16f16 v[18:21], v[22:23], v[6:7], v[18:21]
	v_mfma_f32_16x16x16f16 v[18:21], v[24:25], v[8:9], v[18:21]
	;; [unrolled: 4-line block ×4, first 2 shown]
	s_nop 7
	s_nop 1
	ds_read2_b64 v[236:239], v1 offset0:40 offset1:44
	s_waitcnt lgkmcnt(0)
	v_mfma_f32_16x16x16f16 v[22:25], v[236:237], v[10:11], v[22:25]
	v_mfma_f32_16x16x16f16 v[22:25], v[238:239], v[12:13], v[22:25]
	ds_read2_b64 v[236:239], v1 offset0:48 offset1:52
	s_waitcnt lgkmcnt(0)
	v_mfma_f32_16x16x16f16 v[22:25], v[236:237], v[6:7], v[22:25]
	v_mfma_f32_16x16x16f16 v[22:25], v[238:239], v[8:9], v[22:25]
	ds_read2_b64 v[236:239], v1 offset0:56 offset1:60
	v_add_u32_e32 v1, 0x2000, v95
	s_waitcnt lgkmcnt(0)
	v_mfma_f32_16x16x16f16 v[22:25], v[236:237], v[2:3], v[22:25]
	v_mfma_f32_16x16x16f16 v[22:25], v[238:239], v[4:5], v[22:25]
	ds_read2_b64 v[236:239], v1 offset0:64 offset1:68
	s_waitcnt lgkmcnt(0)
	v_mfma_f32_16x16x16f16 v[240:243], v[236:237], v[14:15], 0
	v_mfma_f32_16x16x16f16 v[236:239], v[238:239], v[16:17], v[240:243]
	s_nop 7
	s_nop 1
	ds_read2_b64 v[240:243], v1 offset0:72 offset1:76
	s_waitcnt lgkmcnt(0)
	v_mfma_f32_16x16x16f16 v[236:239], v[240:241], v[10:11], v[236:239]
	v_mfma_f32_16x16x16f16 v[236:239], v[242:243], v[12:13], v[236:239]
	ds_read2_b64 v[240:243], v1 offset0:80 offset1:84
	s_waitcnt lgkmcnt(0)
	v_mfma_f32_16x16x16f16 v[236:239], v[240:241], v[6:7], v[236:239]
	v_mfma_f32_16x16x16f16 v[236:239], v[242:243], v[8:9], v[236:239]
	ds_read2_b64 v[240:243], v1 offset0:88 offset1:92
	v_add_u32_e32 v1, 0x3000, v95
	s_waitcnt lgkmcnt(0)
	v_mfma_f32_16x16x16f16 v[236:239], v[240:241], v[2:3], v[236:239]
	v_mfma_f32_16x16x16f16 v[236:239], v[242:243], v[4:5], v[236:239]
	ds_read2_b64 v[240:243], v1 offset0:96 offset1:100
	s_waitcnt lgkmcnt(0)
	v_mfma_f32_16x16x16f16 v[244:247], v[240:241], v[14:15], 0
	v_mfma_f32_16x16x16f16 v[14:17], v[242:243], v[16:17], v[244:247]
	ds_read2_b64 v[240:243], v1 offset0:104 offset1:108
	s_waitcnt lgkmcnt(0)
	v_mfma_f32_16x16x16f16 v[14:17], v[240:241], v[10:11], v[14:17]
	v_mfma_f32_16x16x16f16 v[10:13], v[242:243], v[12:13], v[14:17]
	s_nop 7
	s_nop 1
	ds_read2_b64 v[14:17], v1 offset0:112 offset1:116
	s_waitcnt lgkmcnt(0)
	v_mfma_f32_16x16x16f16 v[10:13], v[14:15], v[6:7], v[10:13]
	v_mfma_f32_16x16x16f16 v[6:9], v[16:17], v[8:9], v[10:13]
	s_nop 7
	s_nop 1
	ds_read2_b64 v[10:13], v1 offset0:120 offset1:124
	s_waitcnt lgkmcnt(0)
	v_mfma_f32_16x16x16f16 v[6:9], v[10:11], v[2:3], v[6:9]
	v_add_u32_e32 v1, 0x4400, v174
	s_barrier
	ds_read_b32 v2, v100 offset:17408
	ds_read_b32 v27, v101 offset:17408
	ds_read2_b32 v[14:15], v1 offset1:1
	v_add_u32_e32 v1, 0x4400, v175
	ds_read2_b32 v[10:11], v1 offset1:1
	v_add_u32_e32 v1, 0x4400, v176
	v_mfma_f32_16x16x16f16 v[6:9], v[12:13], v[4:5], v[6:9]
	ds_read2_b32 v[12:13], v1 offset1:1
	s_waitcnt lgkmcnt(2)
	v_cvt_f32_f16_e32 v16, v14
	v_cvt_f32_f16_sdwa v17, v14 dst_sel:DWORD dst_unused:UNUSED_PAD src0_sel:WORD_1
	v_cvt_f32_f16_e32 v14, v27
	v_cndmask_b32_e32 v1, v63, v214, vcc
	s_waitcnt lgkmcnt(0)
	v_cvt_f32_f16_e32 v4, v13
	v_cvt_f32_f16_sdwa v5, v13 dst_sel:DWORD dst_unused:UNUSED_PAD src0_sel:WORD_1
	v_cvt_f32_f16_sdwa v13, v10 dst_sel:DWORD dst_unused:UNUSED_PAD src0_sel:WORD_1
	v_pk_add_f32 v[16:17], v[22:23], v[16:17]
	v_add_f32_e32 v22, 0x40051340, v16
	v_pk_add_f32 v[4:5], v[8:9], v[4:5]
	v_cvt_f32_f16_e32 v8, v12
	v_cvt_f32_f16_sdwa v9, v12 dst_sel:DWORD dst_unused:UNUSED_PAD src0_sel:WORD_1
	v_cvt_f32_f16_e32 v12, v10
	v_add_f32_e32 v23, 0x40051340, v17
	v_add_f32_e32 v28, 0x40051340, v4
	v_pk_add_f32 v[6:7], v[6:7], v[8:9]
	v_cvt_f32_f16_e32 v8, v11
	v_cvt_f32_f16_sdwa v9, v11 dst_sel:DWORD dst_unused:UNUSED_PAD src0_sel:WORD_1
	v_pk_add_f32 v[10:11], v[236:237], v[12:13]
	v_cvt_f32_f16_e32 v12, v15
	v_cvt_f32_f16_sdwa v13, v15 dst_sel:DWORD dst_unused:UNUSED_PAD src0_sel:WORD_1
	v_cvt_f32_f16_sdwa v15, v27 dst_sel:DWORD dst_unused:UNUSED_PAD src0_sel:WORD_1
	v_pk_add_f32 v[8:9], v[238:239], v[8:9]
	v_add_f32_e32 v57, 0x40051340, v10
	v_pk_add_f32 v[12:13], v[24:25], v[12:13]
	v_pk_add_f32 v[20:21], v[20:21], v[14:15]
	v_cvt_f32_f16_sdwa v15, v2 dst_sel:DWORD dst_unused:UNUSED_PAD src0_sel:WORD_1
	v_cvt_f32_f16_e32 v14, v2
	v_add_f32_e32 v27, 0x40051340, v20
	v_add_f32_e32 v61, 0x40051340, v21
	;; [unrolled: 1-line block ×3, first 2 shown]
	v_pk_add_f32 v[14:15], v[18:19], v[14:15]
	v_add_f32_e32 v2, 0x40051340, v14
	v_add_f32_e32 v18, 0x40051340, v15
	v_max3_f32 v2, v26, v2, v18
	v_max3_f32 v2, v2, v27, v61
	v_add_f32_e32 v25, 0x40051340, v13
	v_max3_f32 v2, v2, v22, v23
	v_add_f32_e32 v60, 0x40051340, v11
	;; [unrolled: 2-line block ×3, first 2 shown]
	v_add_f32_e32 v55, 0x40051340, v9
	v_max3_f32 v2, v2, v57, v60
	v_add_f32_e32 v31, 0x40051340, v6
	v_add_f32_e32 v33, 0x40051340, v7
	v_max3_f32 v2, v2, v53, v55
	v_add_f32_e32 v29, 0x40051340, v5
	v_max3_f32 v2, v2, v31, v33
	v_lshlrev_b32_e32 v3, 2, v1
	v_max3_f32 v2, v2, v28, v29
	ds_bpermute_b32 v18, v3, v2
	v_cmp_lt_i32_e32 vcc, v215, v67
	v_cndmask_b32_e32 v1, v63, v215, vcc
	v_lshlrev_b32_e32 v1, 2, v1
	s_waitcnt lgkmcnt(0)
	v_max_f32_e32 v18, v18, v18
	v_max_f32_e32 v2, v2, v18
	ds_bpermute_b32 v18, v1, v2
	s_waitcnt lgkmcnt(0)
	v_max_f32_e32 v18, v18, v18
	v_max_f32_e32 v2, v2, v18
	v_pk_add_f32 v[18:19], v[14:15], v[2:3] op_sel_hi:[1,0] neg_lo:[0,1] neg_hi:[0,1]
	v_mul_f32_e32 v14, 0x3fb8aa3b, v19
	v_fma_f32 v15, v19, s41, -v14
	v_rndne_f32_e32 v22, v14
	v_fmac_f32_e32 v15, 0x32a5705f, v19
	v_sub_f32_e32 v14, v14, v22
	v_add_f32_e32 v14, v14, v15
	v_exp_f32_e32 v14, v14
	v_cvt_i32_f32_e32 v15, v22
	v_cmp_ngt_f32_e32 vcc, s60, v19
	v_pk_add_f32 v[16:17], v[16:17], v[2:3] op_sel_hi:[1,0] neg_lo:[0,1] neg_hi:[0,1]
	v_pk_add_f32 v[12:13], v[12:13], v[2:3] op_sel_hi:[1,0] neg_lo:[0,1] neg_hi:[0,1]
	v_ldexp_f32 v14, v14, v15
	v_mul_f32_e32 v15, 0x3fb8aa3b, v18
	v_cndmask_b32_e32 v14, 0, v14, vcc
	v_cmp_nlt_f32_e32 vcc, s61, v19
	v_fma_f32 v19, v18, s41, -v15
	v_rndne_f32_e32 v22, v15
	v_fmac_f32_e32 v19, 0x32a5705f, v18
	v_sub_f32_e32 v15, v15, v22
	v_add_f32_e32 v15, v15, v19
	v_exp_f32_e32 v15, v15
	v_cvt_i32_f32_e32 v19, v22
	v_cndmask_b32_e32 v14, v197, v14, vcc
	v_cmp_ngt_f32_e32 vcc, s60, v18
	v_pk_add_f32 v[10:11], v[10:11], v[2:3] op_sel_hi:[1,0] neg_lo:[0,1] neg_hi:[0,1]
	v_ldexp_f32 v15, v15, v19
	v_cndmask_b32_e32 v15, 0, v15, vcc
	v_cmp_nlt_f32_e32 vcc, s61, v18
	v_pk_add_f32 v[18:19], v[20:21], v[2:3] op_sel_hi:[1,0] neg_lo:[0,1] neg_hi:[0,1]
	v_mul_f32_e32 v20, 0x3fb8aa3b, v19
	v_fma_f32 v21, v19, s41, -v20
	v_rndne_f32_e32 v22, v20
	v_fmac_f32_e32 v21, 0x32a5705f, v19
	v_sub_f32_e32 v20, v20, v22
	v_add_f32_e32 v20, v20, v21
	v_exp_f32_e32 v20, v20
	v_cvt_i32_f32_e32 v21, v22
	v_cndmask_b32_e32 v15, v197, v15, vcc
	v_cmp_ngt_f32_e32 vcc, s60, v19
	v_pk_add_f32 v[8:9], v[8:9], v[2:3] op_sel_hi:[1,0] neg_lo:[0,1] neg_hi:[0,1]
	v_ldexp_f32 v20, v20, v21
	v_cndmask_b32_e32 v20, 0, v20, vcc
	v_cmp_nlt_f32_e32 vcc, s61, v19
	v_cndmask_b32_e32 v19, v197, v20, vcc
	v_mul_f32_e32 v20, 0x3fb8aa3b, v18
	v_fma_f32 v21, v18, s41, -v20
	v_rndne_f32_e32 v22, v20
	v_fmac_f32_e32 v21, 0x32a5705f, v18
	v_sub_f32_e32 v20, v20, v22
	v_add_f32_e32 v20, v20, v21
	v_exp_f32_e32 v20, v20
	v_cvt_i32_f32_e32 v21, v22
	v_cmp_ngt_f32_e32 vcc, s60, v18
	v_pk_add_f32 v[6:7], v[6:7], v[2:3] op_sel_hi:[1,0] neg_lo:[0,1] neg_hi:[0,1]
	v_pk_add_f32 v[4:5], v[4:5], v[2:3] op_sel_hi:[1,0] neg_lo:[0,1] neg_hi:[0,1]
	v_ldexp_f32 v20, v20, v21
	v_cndmask_b32_e32 v20, 0, v20, vcc
	v_cmp_nlt_f32_e32 vcc, s61, v18
	v_mul_f32_e32 v18, 0x3fb8aa3b, v17
	v_cndmask_b32_e32 v29, v197, v20, vcc
	v_fma_f32 v20, v17, s41, -v18
	v_rndne_f32_e32 v21, v18
	v_fmac_f32_e32 v20, 0x32a5705f, v17
	v_sub_f32_e32 v18, v18, v21
	v_add_f32_e32 v18, v18, v20
	v_exp_f32_e32 v18, v18
	v_cvt_i32_f32_e32 v20, v21
	v_cmp_ngt_f32_e32 vcc, s60, v17
	v_ldexp_f32 v18, v18, v20
	v_cndmask_b32_e32 v18, 0, v18, vcc
	v_cmp_nlt_f32_e32 vcc, s61, v17
	v_mul_f32_e32 v17, 0x3fb8aa3b, v16
	v_cndmask_b32_e32 v31, v197, v18, vcc
	v_fma_f32 v18, v16, s41, -v17
	v_rndne_f32_e32 v20, v17
	v_fmac_f32_e32 v18, 0x32a5705f, v16
	v_sub_f32_e32 v17, v17, v20
	v_add_f32_e32 v17, v17, v18
	v_exp_f32_e32 v17, v17
	v_cvt_i32_f32_e32 v18, v20
	v_cmp_ngt_f32_e32 vcc, s60, v16
	;; [unrolled: 13-line block ×3, first 2 shown]
	v_ldexp_f32 v16, v16, v17
	v_cndmask_b32_e32 v16, 0, v16, vcc
	v_cmp_nlt_f32_e32 vcc, s61, v13
	v_cndmask_b32_e32 v13, v197, v16, vcc
	v_mul_f32_e32 v16, 0x3fb8aa3b, v12
	v_fma_f32 v17, v12, s41, -v16
	v_rndne_f32_e32 v18, v16
	v_fmac_f32_e32 v17, 0x32a5705f, v12
	v_sub_f32_e32 v16, v16, v18
	v_add_f32_e32 v16, v16, v17
	v_exp_f32_e32 v16, v16
	v_cvt_i32_f32_e32 v17, v18
	v_cmp_ngt_f32_e32 vcc, s60, v12
	v_ldexp_f32 v16, v16, v17
	v_cndmask_b32_e32 v16, 0, v16, vcc
	v_cmp_nlt_f32_e32 vcc, s61, v12
	v_cndmask_b32_e32 v12, v197, v16, vcc
	v_mul_f32_e32 v16, 0x3fb8aa3b, v11
	v_fma_f32 v17, v11, s41, -v16
	v_rndne_f32_e32 v18, v16
	v_fmac_f32_e32 v17, 0x32a5705f, v11
	v_sub_f32_e32 v16, v16, v18
	v_add_f32_e32 v16, v16, v17
	v_exp_f32_e32 v16, v16
	v_cvt_i32_f32_e32 v17, v18
	v_cmp_ngt_f32_e32 vcc, s60, v11
	v_ldexp_f32 v16, v16, v17
	v_cndmask_b32_e32 v16, 0, v16, vcc
	v_cmp_nlt_f32_e32 vcc, s61, v11
	v_mul_f32_e32 v11, 0x3fb8aa3b, v10
	v_cndmask_b32_e32 v53, v197, v16, vcc
	v_fma_f32 v16, v10, s41, -v11
	v_rndne_f32_e32 v17, v11
	v_fmac_f32_e32 v16, 0x32a5705f, v10
	v_sub_f32_e32 v11, v11, v17
	v_add_f32_e32 v11, v11, v16
	v_exp_f32_e32 v11, v11
	v_cvt_i32_f32_e32 v16, v17
	v_cmp_ngt_f32_e32 vcc, s60, v10
	v_ldexp_f32 v11, v11, v16
	v_cndmask_b32_e32 v11, 0, v11, vcc
	v_cmp_nlt_f32_e32 vcc, s61, v10
	v_mul_f32_e32 v10, 0x3fb8aa3b, v9
	v_cndmask_b32_e32 v55, v197, v11, vcc
	;; [unrolled: 13-line block ×6, first 2 shown]
	v_fma_f32 v7, v5, s41, -v6
	v_rndne_f32_e32 v8, v6
	v_fmac_f32_e32 v7, 0x32a5705f, v5
	v_sub_f32_e32 v6, v6, v8
	v_add_f32_e32 v6, v6, v7
	v_exp_f32_e32 v6, v6
	v_cvt_i32_f32_e32 v7, v8
	v_cmp_ngt_f32_e32 vcc, s60, v5
	v_ldexp_f32 v6, v6, v7
	v_cndmask_b32_e32 v6, 0, v6, vcc
	v_cmp_nlt_f32_e32 vcc, s61, v5
	v_cndmask_b32_e32 v5, v197, v6, vcc
	v_mul_f32_e32 v6, 0x3fb8aa3b, v4
	v_fma_f32 v7, v4, s41, -v6
	v_rndne_f32_e32 v8, v6
	v_fmac_f32_e32 v7, 0x32a5705f, v4
	v_sub_f32_e32 v6, v6, v8
	v_add_f32_e32 v6, v6, v7
	v_exp_f32_e32 v6, v6
	v_cvt_i32_f32_e32 v7, v8
	v_cmp_ngt_f32_e32 vcc, s60, v4
	v_ldexp_f32 v6, v6, v7
	v_cndmask_b32_e32 v6, 0, v6, vcc
	v_cmp_nlt_f32_e32 vcc, s61, v4
	v_add_f32_e32 v4, v15, v14
	v_add_f32_e32 v4, v29, v4
	;; [unrolled: 1-line block ×12, first 2 shown]
	v_cndmask_b32_e32 v63, v197, v6, vcc
	v_add_f32_e32 v4, v61, v4
	v_add_f32_e32 v4, v63, v4
	;; [unrolled: 1-line block ×3, first 2 shown]
	v_sub_f32_e32 v4, v26, v2
	v_mul_f32_e32 v6, 0x3fb8aa3b, v4
	v_fma_f32 v7, v4, s41, -v6
	v_rndne_f32_e32 v8, v6
	v_fmac_f32_e32 v7, 0x32a5705f, v4
	v_sub_f32_e32 v6, v6, v8
	v_add_f32_e32 v6, v6, v7
	v_exp_f32_e32 v6, v6
	v_cvt_i32_f32_e32 v7, v8
	v_cmp_ngt_f32_e32 vcc, s60, v4
	v_cvt_f16_f32_e32 v12, v12
	v_cvt_f16_f32_e32 v5, v5
	v_ldexp_f32 v6, v6, v7
	v_cndmask_b32_e32 v6, 0, v6, vcc
	v_cmp_nlt_f32_e32 vcc, s61, v4
	v_cndmask_b32_e32 v6, v197, v6, vcc
	v_cmp_le_f32_e32 vcc, s48, v4
	v_cndmask_b32_e32 v4, 0, v6, vcc
	v_fmac_f32_e32 v27, v216, v4
	v_cvt_f16_f32_e32 v4, v4
	ds_bpermute_b32 v3, v3, v27
	v_pk_mul_f16 v7, v4, v220 op_sel_hi:[0,1]
	v_pk_mul_f16 v6, v4, v219 op_sel_hi:[0,1]
	v_pk_mul_f16 v9, v4, v222 op_sel_hi:[0,1]
	v_pk_mul_f16 v8, v4, v221 op_sel_hi:[0,1]
	v_pk_mul_f16 v11, v4, v224 op_sel_hi:[0,1]
	v_pk_mul_f16 v10, v4, v223 op_sel_hi:[0,1]
	v_pk_mul_f16 v17, v4, v226 op_sel_hi:[0,1]
	v_pk_mul_f16 v16, v4, v225 op_sel_hi:[0,1]
	v_pk_mul_f16 v21, v4, v228 op_sel_hi:[0,1]
	v_pk_mul_f16 v20, v4, v227 op_sel_hi:[0,1]
	v_pk_mul_f16 v23, v4, v230 op_sel_hi:[0,1]
	v_pk_mul_f16 v22, v4, v229 op_sel_hi:[0,1]
	v_pk_mul_f16 v25, v4, v233 op_sel_hi:[0,1]
	v_pk_mul_f16 v24, v4, v232 op_sel_hi:[0,1]
	v_pk_mul_f16 v28, v4, v231 op_sel_hi:[0,1]
	v_pk_mul_f16 v26, v4, v234 op_sel_hi:[0,1]
	v_cvt_f16_f32_e32 v4, v14
	v_cvt_f16_f32_e32 v14, v15
	s_waitcnt lgkmcnt(0)
	v_add_f32_e32 v3, v27, v3
	ds_bpermute_b32 v1, v1, v3
	v_pack_b32_f16 v18, v14, v4
	v_cvt_f16_f32_e32 v4, v19
	v_cvt_f16_f32_e32 v14, v29
	;; [unrolled: 1-line block ×3, first 2 shown]
	s_waitcnt lgkmcnt(0)
	v_add_f32_e32 v3, v3, v1
	v_pack_b32_f16 v19, v14, v4
	v_cvt_f16_f32_e32 v4, v31
	v_cvt_f16_f32_e32 v14, v33
	v_mov_b32_e32 v31, s39
	v_pack_b32_f16 v14, v14, v4
	v_cvt_f16_f32_e32 v4, v13
	v_cvt_f16_f32_e32 v13, v60
	v_pack_b32_f16 v15, v12, v4
	v_cvt_f16_f32_e32 v4, v53
	v_cvt_f16_f32_e32 v12, v55
	v_pack_b32_f16 v12, v12, v4
	v_cvt_f16_f32_e32 v4, v57
	v_pack_b32_f16 v13, v13, v4
	;; [unrolled: 2-line block ×4, first 2 shown]
	v_add_co_u32_e32 v29, vcc, s38, v36
	v_addc_co_u32_e32 v31, vcc, v31, v37, vcc
	v_add_co_u32_e32 v60, vcc, v29, v110
	v_addc_co_u32_e32 v61, vcc, 0, v31, vcc
	global_load_dwordx4 v[60:63], v[60:61], off
	v_add_co_u32_e32 v29, vcc, s38, v38
	v_mov_b32_e32 v31, s39
	v_addc_co_u32_e32 v31, vcc, v31, v39, vcc
	v_add_co_u32_e32 v64, vcc, v29, v110
	v_addc_co_u32_e32 v65, vcc, 0, v31, vcc
	v_add_co_u32_e32 v29, vcc, s38, v40
	v_mov_b32_e32 v31, s39
	v_addc_co_u32_e32 v31, vcc, v31, v41, vcc
	v_add_co_u32_e32 v66, vcc, v29, v110
	v_addc_co_u32_e32 v67, vcc, 0, v31, vcc
	;; [unrolled: 5-line block ×3, first 2 shown]
	v_add_u32_e32 v29, v103, v98
	v_add_u32_e32 v31, v103, v97
	s_waitcnt vmcnt(0)
	ds_write_b128 v99, v[60:63]
	global_load_dwordx4 v[60:63], v[64:65], off
	s_waitcnt vmcnt(0)
	ds_write_b128 v171, v[60:63]
	global_load_dwordx4 v[60:63], v[66:67], off
	;; [unrolled: 3-line block ×3, first 2 shown]
	s_waitcnt vmcnt(0)
	ds_write_b128 v173, v[60:63]
	s_waitcnt lgkmcnt(0)
	s_barrier
	ds_read_u16 v33, v104 offset:544
	v_cvt_f32_f16_e32 v62, v6
	v_cvt_f32_f16_sdwa v63, v6 dst_sel:DWORD dst_unused:UNUSED_PAD src0_sel:WORD_1
	ds_read_u16 v6, v29
	ds_read_u16 v53, v29 offset:32
	v_cvt_f32_f16_e32 v60, v7
	v_cvt_f32_f16_sdwa v61, v7 dst_sel:DWORD dst_unused:UNUSED_PAD src0_sel:WORD_1
	s_waitcnt lgkmcnt(1)
	v_perm_b32 v7, v6, v33, s49
	ds_read_u16 v6, v102
	ds_read_u16 v33, v102 offset:32
	ds_read_u16 v55, v31 offset:272
	;; [unrolled: 1-line block ×7, first 2 shown]
	s_waitcnt lgkmcnt(5)
	v_perm_b32 v6, v55, v6, s49
	s_nop 1
	v_mfma_f32_16x16x16f16 v[60:63], v[6:7], v[18:19], v[60:63]
	s_nop 7
	s_nop 2
	v_cvt_f16_f32_e32 v6, v60
	v_cvt_f16_f32_e32 v7, v61
	v_cvt_f16_f32_e32 v55, v62
	v_cvt_f16_f32_e32 v63, v63
	v_cvt_f32_f16_e32 v60, v6
	v_cvt_f32_f16_e32 v61, v7
	s_waitcnt lgkmcnt(0)
	v_perm_b32 v7, v67, v66, s49
	v_perm_b32 v6, v65, v64, s49
	v_cvt_f32_f16_e32 v62, v55
	v_cvt_f32_f16_e32 v63, v63
	ds_read_u16 v64, v102 offset:8704
	ds_read_u16 v65, v31 offset:8976
	;; [unrolled: 1-line block ×4, first 2 shown]
	v_mfma_f32_16x16x16f16 v[60:63], v[6:7], v[14:15], v[60:63]
	s_nop 7
	s_nop 2
	v_cvt_f16_f32_e32 v6, v60
	v_cvt_f16_f32_e32 v7, v61
	;; [unrolled: 1-line block ×4, first 2 shown]
	v_cvt_f32_f16_e32 v60, v6
	v_cvt_f32_f16_e32 v61, v7
	s_waitcnt lgkmcnt(0)
	v_perm_b32 v7, v67, v66, s49
	v_perm_b32 v6, v65, v64, s49
	v_cvt_f32_f16_e32 v62, v55
	v_cvt_f32_f16_e32 v63, v63
	ds_read_u16 v64, v102 offset:13056
	ds_read_u16 v65, v31 offset:13328
	;; [unrolled: 1-line block ×4, first 2 shown]
	v_mfma_f32_16x16x16f16 v[60:63], v[6:7], v[12:13], v[60:63]
	s_nop 7
	s_nop 2
	v_cvt_f16_f32_e32 v6, v60
	v_cvt_f16_f32_e32 v7, v61
	;; [unrolled: 1-line block ×4, first 2 shown]
	v_cvt_f32_f16_e32 v60, v6
	v_cvt_f32_f16_e32 v61, v7
	s_waitcnt lgkmcnt(0)
	v_perm_b32 v7, v67, v66, s49
	v_perm_b32 v6, v65, v64, s49
	v_cvt_f32_f16_e32 v62, v55
	v_cvt_f32_f16_e32 v63, v63
	s_nop 1
	v_mfma_f32_16x16x16f16 v[60:63], v[6:7], v[4:5], v[60:63]
	s_nop 7
	s_nop 2
	v_cvt_f16_f32_e32 v6, v60
	v_cvt_f16_f32_e32 v7, v61
	;; [unrolled: 1-line block ×4, first 2 shown]
	v_cvt_f32_f16_sdwa v61, v9 dst_sel:DWORD dst_unused:UNUSED_PAD src0_sel:WORD_1
	v_pack_b32_f16 v6, v6, v7
	v_cvt_f32_f16_e32 v62, v8
	v_pack_b32_f16 v7, v55, v60
	ds_read_u16 v55, v111 offset:544
	v_cvt_f32_f16_e32 v60, v9
	v_cvt_f32_f16_sdwa v63, v8 dst_sel:DWORD dst_unused:UNUSED_PAD src0_sel:WORD_1
	v_perm_b32 v8, v57, v33, s49
	s_waitcnt lgkmcnt(0)
	v_perm_b32 v9, v53, v55, s49
	ds_read_u16 v55, v102 offset:4384
	ds_read_u16 v57, v31 offset:4656
	ds_read_u16 v64, v112 offset:544
	ds_read_u16 v65, v29 offset:4384
	v_mfma_f32_16x16x16f16 v[60:63], v[8:9], v[18:19], v[60:63]
	s_nop 7
	s_nop 2
	v_cvt_f16_f32_e32 v8, v60
	v_cvt_f16_f32_e32 v9, v61
	v_cvt_f16_f32_e32 v33, v62
	v_cvt_f16_f32_e32 v53, v63
	v_cvt_f32_f16_e32 v60, v8
	v_cvt_f32_f16_e32 v61, v9
	s_waitcnt lgkmcnt(0)
	v_perm_b32 v9, v65, v64, s49
	v_perm_b32 v8, v57, v55, s49
	v_cvt_f32_f16_e32 v62, v33
	v_cvt_f32_f16_e32 v63, v53
	ds_read_u16 v55, v102 offset:8736
	ds_read_u16 v57, v31 offset:9008
	ds_read_u16 v64, v113 offset:544
	ds_read_u16 v65, v29 offset:8736
	v_mfma_f32_16x16x16f16 v[60:63], v[8:9], v[14:15], v[60:63]
	s_nop 7
	s_nop 2
	v_cvt_f16_f32_e32 v8, v60
	v_cvt_f16_f32_e32 v9, v61
	v_cvt_f16_f32_e32 v33, v62
	v_cvt_f16_f32_e32 v53, v63
	v_cvt_f32_f16_e32 v60, v8
	v_cvt_f32_f16_e32 v61, v9
	s_waitcnt lgkmcnt(0)
	v_perm_b32 v9, v65, v64, s49
	v_perm_b32 v8, v57, v55, s49
	v_cvt_f32_f16_e32 v62, v33
	v_cvt_f32_f16_e32 v63, v53
	;; [unrolled: 18-line block ×3, first 2 shown]
	s_nop 1
	v_mfma_f32_16x16x16f16 v[60:63], v[8:9], v[4:5], v[60:63]
	s_nop 7
	s_nop 2
	v_cvt_f16_f32_e32 v8, v60
	v_cvt_f16_f32_e32 v9, v61
	;; [unrolled: 1-line block ×4, first 2 shown]
	v_cvt_f32_f16_e32 v60, v11
	v_pack_b32_f16 v8, v8, v9
	v_cvt_f32_f16_sdwa v61, v11 dst_sel:DWORD dst_unused:UNUSED_PAD src0_sel:WORD_1
	v_pack_b32_f16 v9, v33, v53
	ds_read_u16 v33, v102 offset:64
	ds_read_u16 v53, v31 offset:336
	;; [unrolled: 1-line block ×4, first 2 shown]
	v_cvt_f32_f16_e32 v62, v10
	v_cvt_f32_f16_sdwa v63, v10 dst_sel:DWORD dst_unused:UNUSED_PAD src0_sel:WORD_1
	s_waitcnt lgkmcnt(2)
	v_perm_b32 v10, v53, v33, s49
	s_waitcnt lgkmcnt(0)
	v_perm_b32 v11, v57, v55, s49
	ds_read_u16 v55, v102 offset:4416
	ds_read_u16 v57, v31 offset:4688
	ds_read_u16 v64, v116 offset:544
	ds_read_u16 v65, v29 offset:4416
	v_mfma_f32_16x16x16f16 v[60:63], v[10:11], v[18:19], v[60:63]
	s_nop 7
	s_nop 2
	v_cvt_f16_f32_e32 v10, v60
	v_cvt_f16_f32_e32 v11, v61
	v_cvt_f16_f32_e32 v33, v62
	v_cvt_f16_f32_e32 v53, v63
	v_cvt_f32_f16_e32 v60, v10
	v_cvt_f32_f16_e32 v61, v11
	s_waitcnt lgkmcnt(0)
	v_perm_b32 v11, v65, v64, s49
	v_perm_b32 v10, v57, v55, s49
	v_cvt_f32_f16_e32 v62, v33
	v_cvt_f32_f16_e32 v63, v53
	ds_read_u16 v55, v102 offset:8768
	ds_read_u16 v57, v31 offset:9040
	ds_read_u16 v64, v117 offset:544
	ds_read_u16 v65, v29 offset:8768
	v_mfma_f32_16x16x16f16 v[60:63], v[10:11], v[14:15], v[60:63]
	s_nop 7
	s_nop 2
	v_cvt_f16_f32_e32 v10, v60
	v_cvt_f16_f32_e32 v11, v61
	v_cvt_f16_f32_e32 v33, v62
	v_cvt_f16_f32_e32 v53, v63
	v_cvt_f32_f16_e32 v60, v10
	v_cvt_f32_f16_e32 v61, v11
	s_waitcnt lgkmcnt(0)
	v_perm_b32 v11, v65, v64, s49
	v_perm_b32 v10, v57, v55, s49
	v_cvt_f32_f16_e32 v62, v33
	v_cvt_f32_f16_e32 v63, v53
	;; [unrolled: 18-line block ×3, first 2 shown]
	s_nop 1
	v_mfma_f32_16x16x16f16 v[60:63], v[10:11], v[4:5], v[60:63]
	s_nop 7
	s_nop 2
	v_cvt_f16_f32_e32 v10, v60
	v_cvt_f16_f32_e32 v11, v61
	;; [unrolled: 1-line block ×4, first 2 shown]
	v_cvt_f32_f16_e32 v60, v17
	v_pack_b32_f16 v10, v10, v11
	v_cvt_f32_f16_sdwa v61, v17 dst_sel:DWORD dst_unused:UNUSED_PAD src0_sel:WORD_1
	v_pack_b32_f16 v11, v33, v53
	ds_read_u16 v33, v102 offset:96
	ds_read_u16 v53, v31 offset:368
	;; [unrolled: 1-line block ×4, first 2 shown]
	v_cvt_f32_f16_e32 v62, v16
	v_cvt_f32_f16_sdwa v63, v16 dst_sel:DWORD dst_unused:UNUSED_PAD src0_sel:WORD_1
	s_waitcnt lgkmcnt(2)
	v_perm_b32 v16, v53, v33, s49
	s_waitcnt lgkmcnt(0)
	v_perm_b32 v17, v57, v55, s49
	ds_read_u16 v55, v102 offset:4448
	ds_read_u16 v57, v31 offset:4720
	ds_read_u16 v64, v120 offset:544
	ds_read_u16 v65, v29 offset:4448
	v_mfma_f32_16x16x16f16 v[60:63], v[16:17], v[18:19], v[60:63]
	s_nop 7
	s_nop 2
	v_cvt_f16_f32_e32 v16, v60
	v_cvt_f16_f32_e32 v17, v61
	v_cvt_f16_f32_e32 v33, v62
	v_cvt_f16_f32_e32 v53, v63
	v_cvt_f32_f16_e32 v60, v16
	v_cvt_f32_f16_e32 v61, v17
	s_waitcnt lgkmcnt(0)
	v_perm_b32 v17, v65, v64, s49
	v_perm_b32 v16, v57, v55, s49
	v_cvt_f32_f16_e32 v62, v33
	v_cvt_f32_f16_e32 v63, v53
	ds_read_u16 v55, v102 offset:8800
	ds_read_u16 v57, v31 offset:9072
	ds_read_u16 v64, v121 offset:544
	ds_read_u16 v65, v29 offset:8800
	v_mfma_f32_16x16x16f16 v[60:63], v[16:17], v[14:15], v[60:63]
	s_nop 7
	s_nop 2
	v_cvt_f16_f32_e32 v16, v60
	v_cvt_f16_f32_e32 v17, v61
	v_cvt_f16_f32_e32 v33, v62
	v_cvt_f16_f32_e32 v53, v63
	v_cvt_f32_f16_e32 v60, v16
	v_cvt_f32_f16_e32 v61, v17
	s_waitcnt lgkmcnt(0)
	v_perm_b32 v17, v65, v64, s49
	v_perm_b32 v16, v57, v55, s49
	v_cvt_f32_f16_e32 v62, v33
	v_cvt_f32_f16_e32 v63, v53
	;; [unrolled: 18-line block ×3, first 2 shown]
	s_nop 1
	v_mfma_f32_16x16x16f16 v[60:63], v[16:17], v[4:5], v[60:63]
	s_nop 7
	s_nop 2
	v_cvt_f16_f32_e32 v16, v60
	v_cvt_f16_f32_e32 v17, v61
	;; [unrolled: 1-line block ×4, first 2 shown]
	v_cvt_f32_f16_e32 v60, v21
	v_pack_b32_f16 v16, v16, v17
	v_cvt_f32_f16_sdwa v61, v21 dst_sel:DWORD dst_unused:UNUSED_PAD src0_sel:WORD_1
	v_pack_b32_f16 v17, v33, v53
	ds_read_u16 v33, v102 offset:128
	ds_read_u16 v53, v31 offset:400
	;; [unrolled: 1-line block ×4, first 2 shown]
	v_cvt_f32_f16_e32 v62, v20
	v_cvt_f32_f16_sdwa v63, v20 dst_sel:DWORD dst_unused:UNUSED_PAD src0_sel:WORD_1
	s_waitcnt lgkmcnt(2)
	v_perm_b32 v20, v53, v33, s49
	s_waitcnt lgkmcnt(0)
	v_perm_b32 v21, v57, v55, s49
	ds_read_u16 v55, v102 offset:4480
	ds_read_u16 v57, v31 offset:4752
	ds_read_u16 v64, v124 offset:544
	ds_read_u16 v65, v29 offset:4480
	v_mfma_f32_16x16x16f16 v[60:63], v[20:21], v[18:19], v[60:63]
	s_nop 7
	s_nop 2
	v_cvt_f16_f32_e32 v20, v60
	v_cvt_f16_f32_e32 v21, v61
	v_cvt_f16_f32_e32 v33, v62
	v_cvt_f16_f32_e32 v53, v63
	v_cvt_f32_f16_e32 v60, v20
	v_cvt_f32_f16_e32 v61, v21
	s_waitcnt lgkmcnt(0)
	v_perm_b32 v21, v65, v64, s49
	v_perm_b32 v20, v57, v55, s49
	v_cvt_f32_f16_e32 v62, v33
	v_cvt_f32_f16_e32 v63, v53
	ds_read_u16 v55, v102 offset:8832
	ds_read_u16 v57, v31 offset:9104
	ds_read_u16 v64, v125 offset:544
	ds_read_u16 v65, v29 offset:8832
	v_mfma_f32_16x16x16f16 v[60:63], v[20:21], v[14:15], v[60:63]
	s_nop 7
	s_nop 2
	v_cvt_f16_f32_e32 v20, v60
	v_cvt_f16_f32_e32 v21, v61
	v_cvt_f16_f32_e32 v33, v62
	v_cvt_f16_f32_e32 v53, v63
	v_cvt_f32_f16_e32 v60, v20
	v_cvt_f32_f16_e32 v61, v21
	s_waitcnt lgkmcnt(0)
	v_perm_b32 v21, v65, v64, s49
	v_perm_b32 v20, v57, v55, s49
	v_cvt_f32_f16_e32 v62, v33
	v_cvt_f32_f16_e32 v63, v53
	;; [unrolled: 18-line block ×3, first 2 shown]
	s_nop 1
	v_mfma_f32_16x16x16f16 v[60:63], v[20:21], v[4:5], v[60:63]
	s_nop 7
	s_nop 2
	v_cvt_f16_f32_e32 v20, v60
	v_cvt_f16_f32_e32 v21, v61
	;; [unrolled: 1-line block ×4, first 2 shown]
	v_cvt_f32_f16_e32 v60, v23
	v_pack_b32_f16 v20, v20, v21
	v_cvt_f32_f16_sdwa v61, v23 dst_sel:DWORD dst_unused:UNUSED_PAD src0_sel:WORD_1
	v_pack_b32_f16 v21, v33, v53
	ds_read_u16 v33, v102 offset:160
	ds_read_u16 v53, v31 offset:432
	;; [unrolled: 1-line block ×4, first 2 shown]
	v_cvt_f32_f16_e32 v62, v22
	v_cvt_f32_f16_sdwa v63, v22 dst_sel:DWORD dst_unused:UNUSED_PAD src0_sel:WORD_1
	s_waitcnt lgkmcnt(2)
	v_perm_b32 v22, v53, v33, s49
	s_waitcnt lgkmcnt(0)
	v_perm_b32 v23, v57, v55, s49
	ds_read_u16 v55, v102 offset:4512
	ds_read_u16 v57, v31 offset:4784
	ds_read_u16 v64, v128 offset:544
	ds_read_u16 v65, v29 offset:4512
	v_mfma_f32_16x16x16f16 v[60:63], v[22:23], v[18:19], v[60:63]
	s_nop 7
	s_nop 2
	v_cvt_f16_f32_e32 v22, v60
	v_cvt_f16_f32_e32 v23, v61
	v_cvt_f16_f32_e32 v33, v62
	v_cvt_f16_f32_e32 v53, v63
	v_cvt_f32_f16_e32 v60, v22
	v_cvt_f32_f16_e32 v61, v23
	s_waitcnt lgkmcnt(0)
	v_perm_b32 v23, v65, v64, s49
	v_perm_b32 v22, v57, v55, s49
	v_cvt_f32_f16_e32 v62, v33
	v_cvt_f32_f16_e32 v63, v53
	ds_read_u16 v55, v102 offset:8864
	ds_read_u16 v57, v31 offset:9136
	ds_read_u16 v64, v129 offset:544
	ds_read_u16 v65, v29 offset:8864
	v_mfma_f32_16x16x16f16 v[60:63], v[22:23], v[14:15], v[60:63]
	s_nop 7
	s_nop 2
	v_cvt_f16_f32_e32 v22, v60
	v_cvt_f16_f32_e32 v23, v61
	v_cvt_f16_f32_e32 v33, v62
	v_cvt_f16_f32_e32 v53, v63
	v_cvt_f32_f16_e32 v60, v22
	v_cvt_f32_f16_e32 v61, v23
	s_waitcnt lgkmcnt(0)
	v_perm_b32 v23, v65, v64, s49
	v_perm_b32 v22, v57, v55, s49
	v_cvt_f32_f16_e32 v62, v33
	v_cvt_f32_f16_e32 v63, v53
	ds_read_u16 v55, v102 offset:13216
	ds_read_u16 v57, v31 offset:13488
	ds_read_u16 v64, v130 offset:544
	ds_read_u16 v65, v29 offset:13216
	v_mfma_f32_16x16x16f16 v[60:63], v[22:23], v[12:13], v[60:63]
	s_nop 7
	s_nop 2
	v_cvt_f16_f32_e32 v22, v60
	v_cvt_f16_f32_e32 v23, v61
	v_cvt_f16_f32_e32 v33, v62
	v_cvt_f16_f32_e32 v53, v63
	v_cvt_f32_f16_e32 v60, v22
	v_cvt_f32_f16_e32 v61, v23
	s_waitcnt lgkmcnt(0)
	v_perm_b32 v23, v65, v64, s49
	v_perm_b32 v22, v57, v55, s49
	v_cvt_f32_f16_e32 v62, v33
	v_cvt_f32_f16_e32 v63, v53
	s_nop 1
	v_mfma_f32_16x16x16f16 v[60:63], v[22:23], v[4:5], v[60:63]
	s_nop 7
	s_nop 2
	v_cvt_f16_f32_e32 v22, v60
	v_cvt_f16_f32_e32 v23, v61
	;; [unrolled: 1-line block ×4, first 2 shown]
	v_cvt_f32_f16_e32 v60, v25
	v_pack_b32_f16 v22, v22, v23
	v_cvt_f32_f16_sdwa v61, v25 dst_sel:DWORD dst_unused:UNUSED_PAD src0_sel:WORD_1
	v_pack_b32_f16 v23, v33, v53
	ds_read_u16 v33, v102 offset:192
	ds_read_u16 v53, v31 offset:464
	;; [unrolled: 1-line block ×4, first 2 shown]
	v_cvt_f32_f16_e32 v62, v24
	v_cvt_f32_f16_sdwa v63, v24 dst_sel:DWORD dst_unused:UNUSED_PAD src0_sel:WORD_1
	s_waitcnt lgkmcnt(2)
	v_perm_b32 v24, v53, v33, s49
	s_waitcnt lgkmcnt(0)
	v_perm_b32 v25, v57, v55, s49
	ds_read_u16 v55, v102 offset:4544
	ds_read_u16 v57, v31 offset:4816
	ds_read_u16 v64, v132 offset:544
	ds_read_u16 v65, v29 offset:4544
	v_mfma_f32_16x16x16f16 v[60:63], v[24:25], v[18:19], v[60:63]
	s_nop 7
	s_nop 2
	v_cvt_f16_f32_e32 v24, v60
	v_cvt_f16_f32_e32 v25, v61
	v_cvt_f16_f32_e32 v33, v62
	v_cvt_f16_f32_e32 v53, v63
	v_cvt_f32_f16_e32 v60, v24
	v_cvt_f32_f16_e32 v61, v25
	s_waitcnt lgkmcnt(0)
	v_perm_b32 v25, v65, v64, s49
	v_perm_b32 v24, v57, v55, s49
	v_cvt_f32_f16_e32 v62, v33
	v_cvt_f32_f16_e32 v63, v53
	ds_read_u16 v55, v102 offset:8896
	ds_read_u16 v57, v31 offset:9168
	ds_read_u16 v64, v133 offset:544
	ds_read_u16 v65, v29 offset:8896
	v_mfma_f32_16x16x16f16 v[60:63], v[24:25], v[14:15], v[60:63]
	s_nop 7
	s_nop 2
	v_cvt_f16_f32_e32 v24, v60
	v_cvt_f16_f32_e32 v25, v61
	v_cvt_f16_f32_e32 v33, v62
	v_cvt_f16_f32_e32 v53, v63
	v_cvt_f32_f16_e32 v60, v24
	v_cvt_f32_f16_e32 v61, v25
	s_waitcnt lgkmcnt(0)
	v_perm_b32 v25, v65, v64, s49
	v_perm_b32 v24, v57, v55, s49
	v_cvt_f32_f16_e32 v62, v33
	v_cvt_f32_f16_e32 v63, v53
	;; [unrolled: 18-line block ×3, first 2 shown]
	s_nop 1
	v_mfma_f32_16x16x16f16 v[60:63], v[24:25], v[4:5], v[60:63]
	s_nop 7
	s_nop 2
	v_cvt_f16_f32_e32 v24, v60
	v_cvt_f16_f32_e32 v25, v61
	;; [unrolled: 1-line block ×4, first 2 shown]
	v_cvt_f32_f16_e32 v60, v28
	v_pack_b32_f16 v24, v24, v25
	v_cvt_f32_f16_sdwa v61, v28 dst_sel:DWORD dst_unused:UNUSED_PAD src0_sel:WORD_1
	v_pack_b32_f16 v25, v33, v53
	ds_read_u16 v33, v102 offset:224
	ds_read_u16 v53, v31 offset:496
	;; [unrolled: 1-line block ×4, first 2 shown]
	v_cvt_f32_f16_e32 v62, v26
	v_cvt_f32_f16_sdwa v63, v26 dst_sel:DWORD dst_unused:UNUSED_PAD src0_sel:WORD_1
	s_waitcnt lgkmcnt(2)
	v_perm_b32 v64, v53, v33, s49
	s_waitcnt lgkmcnt(0)
	v_perm_b32 v65, v57, v55, s49
	ds_read_u16 v33, v102 offset:4576
	ds_read_u16 v53, v31 offset:4848
	;; [unrolled: 1-line block ×4, first 2 shown]
	v_mfma_f32_16x16x16f16 v[60:63], v[64:65], v[18:19], v[60:63]
	s_nop 7
	s_nop 2
	v_cvt_f16_f32_e32 v18, v60
	v_cvt_f16_f32_e32 v19, v61
	v_cvt_f16_f32_e32 v26, v62
	v_cvt_f16_f32_e32 v28, v63
	v_cvt_f32_f16_e32 v60, v18
	v_cvt_f32_f16_e32 v61, v19
	s_waitcnt lgkmcnt(0)
	v_perm_b32 v19, v57, v55, s49
	v_perm_b32 v18, v53, v33, s49
	v_cvt_f32_f16_e32 v62, v26
	v_cvt_f32_f16_e32 v63, v28
	ds_read_u16 v26, v102 offset:8928
	ds_read_u16 v28, v31 offset:9200
	;; [unrolled: 1-line block ×4, first 2 shown]
	v_mfma_f32_16x16x16f16 v[60:63], v[18:19], v[14:15], v[60:63]
	s_nop 7
	s_nop 2
	v_cvt_f16_f32_e32 v14, v60
	v_cvt_f16_f32_e32 v15, v61
	;; [unrolled: 1-line block ×4, first 2 shown]
	v_cvt_f32_f16_e32 v60, v14
	v_cvt_f32_f16_e32 v61, v15
	s_waitcnt lgkmcnt(0)
	v_perm_b32 v15, v53, v33, s49
	v_perm_b32 v14, v28, v26, s49
	v_cvt_f32_f16_e32 v62, v18
	v_cvt_f32_f16_e32 v63, v19
	s_nop 1
	v_mfma_f32_16x16x16f16 v[60:63], v[14:15], v[12:13], v[60:63]
	ds_read_u16 v12, v102 offset:13280
	ds_read_u16 v13, v31 offset:13552
	;; [unrolled: 1-line block ×4, first 2 shown]
	s_waitcnt lgkmcnt(0)
	s_barrier
	s_nop 4
	v_cvt_f16_f32_e32 v15, v60
	v_cvt_f16_f32_e32 v18, v61
	;; [unrolled: 1-line block ×4, first 2 shown]
	v_cvt_f32_f16_e32 v60, v15
	v_perm_b32 v15, v28, v14, s49
	v_perm_b32 v14, v13, v12, s49
	v_cvt_f32_f16_e32 v61, v18
	v_cvt_f32_f16_e32 v62, v19
	;; [unrolled: 1-line block ×3, first 2 shown]
	s_nop 1
	v_mfma_f32_16x16x16f16 v[12:15], v[14:15], v[4:5], v[60:63]
	s_nop 7
	s_nop 2
	v_cvt_f16_f32_e32 v4, v12
	v_cvt_f16_f32_e32 v5, v13
	;; [unrolled: 1-line block ×4, first 2 shown]
	v_pack_b32_f16 v4, v4, v5
	v_pack_b32_f16 v5, v12, v13
	s_cbranch_scc0 .LBB24_260
; %bb.258:                              ;   in Loop: Header=BB24_13 Depth=1
	v_lshlrev_b32_e32 v1, 2, v56
	global_load_dword v1, v1, s[68:69]
	v_max_f32_e32 v12, v2, v2
	s_mov_b64 s[56:57], 0
	s_waitcnt vmcnt(0)
	v_max_f32_e32 v13, v1, v1
	v_max_f32_e32 v12, v12, v13
	v_sub_f32_e32 v13, v2, v12
	v_sub_f32_e32 v1, v1, v12
	v_mul_f32_e32 v14, 0x3fb8aa3b, v13
	v_mul_f32_e32 v15, 0x3fb8aa3b, v1
	v_fma_f32 v18, v13, s41, -v14
	v_rndne_f32_e32 v19, v14
	v_fma_f32 v26, v1, s41, -v15
	v_rndne_f32_e32 v27, v15
	v_fmac_f32_e32 v18, 0x32a5705f, v13
	v_sub_f32_e32 v14, v14, v19
	v_fmac_f32_e32 v26, 0x32a5705f, v1
	v_sub_f32_e32 v15, v15, v27
	v_add_f32_e32 v14, v14, v18
	v_cvt_i32_f32_e32 v19, v19
	v_add_f32_e32 v15, v15, v26
	v_exp_f32_e32 v14, v14
	v_cvt_i32_f32_e32 v27, v27
	v_exp_f32_e32 v15, v15
	v_cmp_ngt_f32_e32 vcc, s60, v13
	v_ldexp_f32 v14, v14, v19
	v_cndmask_b32_e32 v14, 0, v14, vcc
	v_ldexp_f32 v15, v15, v27
	v_cmp_ngt_f32_e32 vcc, s60, v1
	v_cndmask_b32_e32 v15, 0, v15, vcc
	v_cmp_nlt_f32_e32 vcc, s61, v13
	v_cndmask_b32_e32 v14, v197, v14, vcc
	v_cmp_le_f32_e32 vcc, s48, v13
	v_cndmask_b32_e32 v14, 0, v14, vcc
	v_cvt_f16_f32_e32 v31, v14
	v_cmp_nlt_f32_e32 vcc, s61, v1
	v_cndmask_b32_e32 v13, v197, v15, vcc
	v_fmac_f32_e32 v13, v3, v14
	v_pk_mul_f16 v14, v31, v6 op_sel_hi:[0,1]
	v_pk_mul_f16 v15, v31, v7 op_sel_hi:[0,1]
	;; [unrolled: 1-line block ×16, first 2 shown]
	s_branch .LBB24_261
.LBB24_259:                             ;   in Loop: Header=BB24_13 Depth=1
                                        ; implicit-def: $vgpr12_vgpr13
                                        ; implicit-def: $vgpr14_vgpr15
                                        ; implicit-def: $vgpr18_vgpr19
                                        ; implicit-def: $vgpr26_vgpr27
                                        ; implicit-def: $vgpr28_vgpr29
                                        ; implicit-def: $vgpr62_vgpr63
                                        ; implicit-def: $vgpr64_vgpr65
                                        ; implicit-def: $vgpr66_vgpr67
                                        ; implicit-def: $vgpr68_vgpr69
	s_branch .LBB24_90
.LBB24_260:                             ;   in Loop: Header=BB24_13 Depth=1
	s_mov_b64 s[56:57], -1
                                        ; implicit-def: $vgpr12_vgpr13
                                        ; implicit-def: $vgpr14_vgpr15
                                        ; implicit-def: $vgpr18_vgpr19
                                        ; implicit-def: $vgpr26_vgpr27
                                        ; implicit-def: $vgpr28_vgpr29
                                        ; implicit-def: $vgpr60_vgpr61
                                        ; implicit-def: $vgpr62_vgpr63
                                        ; implicit-def: $vgpr64_vgpr65
                                        ; implicit-def: $vgpr66_vgpr67
.LBB24_261:                             ;   in Loop: Header=BB24_13 Depth=1
	v_readlane_b32 s42, v255, 24
	v_readlane_b32 s43, v255, 25
	;; [unrolled: 1-line block ×3, first 2 shown]
	s_andn2_b64 vcc, exec, s[56:57]
	v_readlane_b32 s45, v255, 27
	s_cbranch_vccnz .LBB24_263
; %bb.262:                              ;   in Loop: Header=BB24_13 Depth=1
	v_pk_mov_b32 v[66:67], v[4:5], v[4:5] op_sel:[0,1]
	v_pk_mov_b32 v[64:65], v[24:25], v[24:25] op_sel:[0,1]
	;; [unrolled: 1-line block ×9, first 2 shown]
.LBB24_263:                             ;   in Loop: Header=BB24_13 Depth=1
	s_mov_b64 s[56:57], exec
	v_readlane_b32 s38, v255, 29
	v_readlane_b32 s39, v255, 30
	s_and_b64 s[38:39], s[56:57], s[38:39]
	s_mov_b64 exec, s[38:39]
	s_cbranch_execz .LBB24_265
; %bb.264:                              ;   in Loop: Header=BB24_13 Depth=1
	ds_write2_b32 v165, v12, v13 offset0:64 offset1:65
.LBB24_265:                             ;   in Loop: Header=BB24_13 Depth=1
	s_or_b64 exec, exec, s[56:57]
	v_mov_b32_e32 v1, 50
	s_waitcnt lgkmcnt(0)
	s_barrier
	ds_write2_b32 v166, v14, v15 offset1:1
	ds_write2_b32 v166, v18, v19 offset0:8 offset1:9
	ds_write2_b32 v166, v26, v27 offset0:16 offset1:17
	;; [unrolled: 1-line block ×7, first 2 shown]
	s_waitcnt lgkmcnt(0)
	s_barrier
	s_and_saveexec_b64 s[56:57], s[34:35]
	s_cbranch_execz .LBB24_267
; %bb.266:                              ;   in Loop: Header=BB24_13 Depth=1
	ds_read_b32 v1, v143 offset:260
	ds_read_b32 v4, v139
	v_mad_u64_u32 v[2:3], s[34:35], v213, s25, v[30:31]
	v_lshl_add_u32 v2, v2, 6, v32
	v_ashrrev_i32_e32 v3, 31, v2
	v_lshlrev_b64 v[2:3], 3, v[2:3]
	v_add_co_u32_e32 v2, vcc, s0, v2
	v_mov_b32_e32 v5, s1
	v_addc_co_u32_e32 v3, vcc, v5, v3, vcc
	s_waitcnt lgkmcnt(0)
	v_cvt_f32_f16_sdwa v5, v4 dst_sel:DWORD dst_unused:UNUSED_PAD src0_sel:WORD_1
	v_cvt_f32_f16_e32 v4, v4
	v_pk_add_f32 v[4:5], v[4:5], 0 op_sel_hi:[1,0]
	v_div_scale_f32 v6, s[34:35], v1, v1, v5
	v_rcp_f32_e32 v7, v6
	v_fma_f32 v8, -v6, v7, 1.0
	v_fmac_f32_e32 v7, v8, v7
	v_div_scale_f32 v8, vcc, v5, v1, v5
	v_mul_f32_e32 v9, v8, v7
	v_fma_f32 v10, -v6, v9, v8
	v_fmac_f32_e32 v9, v10, v7
	v_fma_f32 v6, -v6, v9, v8
	v_div_fmas_f32 v6, v6, v7, v9
	v_div_fixup_f32 v5, v6, v1, v5
	v_div_scale_f32 v6, s[34:35], v1, v1, v4
	v_rcp_f32_e32 v7, v6
	v_fma_f32 v8, -v6, v7, 1.0
	v_fmac_f32_e32 v7, v8, v7
	v_div_scale_f32 v8, vcc, v4, v1, v4
	v_mul_f32_e32 v9, v8, v7
	v_fma_f32 v10, -v6, v9, v8
	v_fmac_f32_e32 v9, v10, v7
	v_fma_f32 v6, -v6, v9, v8
	v_div_fmas_f32 v6, v6, v7, v9
	v_div_fixup_f32 v4, v6, v1, v4
	v_mov_b32_e32 v1, 0
	global_store_dwordx2 v[2:3], v[4:5], off
.LBB24_267:                             ;   in Loop: Header=BB24_13 Depth=1
	s_or_b64 exec, exec, s[56:57]
	v_cmp_gt_i32_e32 vcc, 50, v1
	s_mov_b64 s[56:57], -1
	s_and_saveexec_b64 s[34:35], vcc
; %bb.268:                              ;   in Loop: Header=BB24_13 Depth=1
	v_cmp_eq_u32_e32 vcc, 0, v1
	s_orn2_b64 s[56:57], vcc, exec
; %bb.269:                              ;   in Loop: Header=BB24_13 Depth=1
	s_or_b64 exec, exec, s[34:35]
                                        ; implicit-def: $vgpr2_vgpr3
	s_and_saveexec_b64 s[34:35], s[56:57]
	s_cbranch_execz .LBB24_357
; %bb.270:                              ;   in Loop: Header=BB24_13 Depth=1
	v_mov_b32_e32 v1, 50
	s_and_saveexec_b64 s[56:57], s[52:53]
	s_cbranch_execz .LBB24_272
; %bb.271:                              ;   in Loop: Header=BB24_13 Depth=1
	ds_read_b32 v1, v143 offset:1348
	ds_read_b32 v4, v178
	v_mad_u64_u32 v[2:3], s[38:39], v212, s25, v[30:31]
	v_lshl_add_u32 v2, v2, 6, v32
	v_ashrrev_i32_e32 v3, 31, v2
	v_lshlrev_b64 v[2:3], 3, v[2:3]
	v_add_co_u32_e32 v2, vcc, s0, v2
	v_mov_b32_e32 v5, s1
	v_addc_co_u32_e32 v3, vcc, v5, v3, vcc
	s_waitcnt lgkmcnt(0)
	v_cvt_f32_f16_sdwa v5, v4 dst_sel:DWORD dst_unused:UNUSED_PAD src0_sel:WORD_1
	v_cvt_f32_f16_e32 v4, v4
	v_pk_add_f32 v[4:5], v[4:5], 0 op_sel_hi:[1,0]
	v_div_scale_f32 v6, s[38:39], v1, v1, v5
	v_rcp_f32_e32 v7, v6
	v_fma_f32 v8, -v6, v7, 1.0
	v_fmac_f32_e32 v7, v8, v7
	v_div_scale_f32 v8, vcc, v5, v1, v5
	v_mul_f32_e32 v9, v8, v7
	v_fma_f32 v10, -v6, v9, v8
	v_fmac_f32_e32 v9, v10, v7
	v_fma_f32 v6, -v6, v9, v8
	v_div_fmas_f32 v6, v6, v7, v9
	v_div_fixup_f32 v5, v6, v1, v5
	v_div_scale_f32 v6, s[38:39], v1, v1, v4
	v_rcp_f32_e32 v7, v6
	v_fma_f32 v8, -v6, v7, 1.0
	v_fmac_f32_e32 v7, v8, v7
	v_div_scale_f32 v8, vcc, v4, v1, v4
	v_mul_f32_e32 v9, v8, v7
	v_fma_f32 v10, -v6, v9, v8
	v_fmac_f32_e32 v9, v10, v7
	v_fma_f32 v6, -v6, v9, v8
	v_div_fmas_f32 v6, v6, v7, v9
	v_div_fixup_f32 v4, v6, v1, v4
	v_mov_b32_e32 v1, 0
	global_store_dwordx2 v[2:3], v[4:5], off
.LBB24_272:                             ;   in Loop: Header=BB24_13 Depth=1
	s_or_b64 exec, exec, s[56:57]
	v_cmp_gt_i32_e32 vcc, 50, v1
	s_mov_b64 s[68:69], -1
	s_and_saveexec_b64 s[52:53], vcc
; %bb.273:                              ;   in Loop: Header=BB24_13 Depth=1
	v_cmp_eq_u32_e32 vcc, 0, v1
	s_orn2_b64 s[68:69], vcc, exec
; %bb.274:                              ;   in Loop: Header=BB24_13 Depth=1
	s_or_b64 exec, exec, s[52:53]
	s_mov_b64 s[56:57], s[4:5]
                                        ; implicit-def: $vgpr2_vgpr3
	s_and_saveexec_b64 s[52:53], s[68:69]
	s_cbranch_execz .LBB24_356
; %bb.275:                              ;   in Loop: Header=BB24_13 Depth=1
	v_mov_b32_e32 v1, 50
	s_and_saveexec_b64 s[56:57], s[94:95]
	s_cbranch_execz .LBB24_277
; %bb.276:                              ;   in Loop: Header=BB24_13 Depth=1
	ds_read_b32 v1, v143 offset:2436
	ds_read_b32 v4, v180
	v_mad_u64_u32 v[2:3], s[38:39], v211, s25, v[30:31]
	v_lshl_add_u32 v2, v2, 6, v32
	v_ashrrev_i32_e32 v3, 31, v2
	v_lshlrev_b64 v[2:3], 3, v[2:3]
	v_add_co_u32_e32 v2, vcc, s0, v2
	v_mov_b32_e32 v5, s1
	v_addc_co_u32_e32 v3, vcc, v5, v3, vcc
	s_waitcnt lgkmcnt(0)
	v_cvt_f32_f16_sdwa v5, v4 dst_sel:DWORD dst_unused:UNUSED_PAD src0_sel:WORD_1
	v_cvt_f32_f16_e32 v4, v4
	v_pk_add_f32 v[4:5], v[4:5], 0 op_sel_hi:[1,0]
	v_div_scale_f32 v6, s[38:39], v1, v1, v5
	v_rcp_f32_e32 v7, v6
	v_fma_f32 v8, -v6, v7, 1.0
	v_fmac_f32_e32 v7, v8, v7
	v_div_scale_f32 v8, vcc, v5, v1, v5
	v_mul_f32_e32 v9, v8, v7
	v_fma_f32 v10, -v6, v9, v8
	v_fmac_f32_e32 v9, v10, v7
	v_fma_f32 v6, -v6, v9, v8
	v_div_fmas_f32 v6, v6, v7, v9
	v_div_fixup_f32 v5, v6, v1, v5
	v_div_scale_f32 v6, s[38:39], v1, v1, v4
	v_rcp_f32_e32 v7, v6
	v_fma_f32 v8, -v6, v7, 1.0
	v_fmac_f32_e32 v7, v8, v7
	v_div_scale_f32 v8, vcc, v4, v1, v4
	v_mul_f32_e32 v9, v8, v7
	v_fma_f32 v10, -v6, v9, v8
	v_fmac_f32_e32 v9, v10, v7
	v_fma_f32 v6, -v6, v9, v8
	v_div_fmas_f32 v6, v6, v7, v9
	v_div_fixup_f32 v4, v6, v1, v4
	v_mov_b32_e32 v1, 0
	global_store_dwordx2 v[2:3], v[4:5], off
.LBB24_277:                             ;   in Loop: Header=BB24_13 Depth=1
	s_or_b64 exec, exec, s[56:57]
	v_cmp_gt_i32_e32 vcc, 50, v1
	s_mov_b64 s[94:95], -1
	s_and_saveexec_b64 s[56:57], vcc
; %bb.278:                              ;   in Loop: Header=BB24_13 Depth=1
	v_cmp_eq_u32_e32 vcc, 0, v1
	s_orn2_b64 s[94:95], vcc, exec
; %bb.279:                              ;   in Loop: Header=BB24_13 Depth=1
	s_or_b64 exec, exec, s[56:57]
	s_mov_b64 s[56:57], s[4:5]
	;; [unrolled: 56-line block ×3, first 2 shown]
                                        ; implicit-def: $vgpr2_vgpr3
	s_and_saveexec_b64 s[92:93], s[94:95]
	s_cbranch_execz .LBB24_354
; %bb.285:                              ;   in Loop: Header=BB24_13 Depth=1
	v_mov_b32_e32 v1, 50
	s_and_saveexec_b64 s[56:57], s[90:91]
	s_cbranch_execz .LBB24_287
; %bb.286:                              ;   in Loop: Header=BB24_13 Depth=1
	buffer_load_dword v1, off, s[96:99], 0  ; 4-byte Folded Reload
	v_mad_u64_u32 v[2:3], s[38:39], v209, s25, v[30:31]
	v_lshl_add_u32 v2, v2, 6, v32
	v_ashrrev_i32_e32 v3, 31, v2
	v_lshlrev_b64 v[2:3], 3, v[2:3]
	v_add_co_u32_e32 v2, vcc, s0, v2
	v_mov_b32_e32 v5, s1
	v_addc_co_u32_e32 v3, vcc, v5, v3, vcc
	ds_read_b32 v4, v140
	s_waitcnt lgkmcnt(0)
	v_cvt_f32_f16_sdwa v5, v4 dst_sel:DWORD dst_unused:UNUSED_PAD src0_sel:WORD_1
	v_cvt_f32_f16_e32 v4, v4
	v_pk_add_f32 v[4:5], v[4:5], 0 op_sel_hi:[1,0]
	s_waitcnt vmcnt(0)
	ds_read_b32 v1, v1 offset:260
	s_waitcnt lgkmcnt(0)
	v_div_scale_f32 v6, s[38:39], v1, v1, v5
	v_rcp_f32_e32 v7, v6
	v_fma_f32 v8, -v6, v7, 1.0
	v_fmac_f32_e32 v7, v8, v7
	v_div_scale_f32 v8, vcc, v5, v1, v5
	v_mul_f32_e32 v9, v8, v7
	v_fma_f32 v10, -v6, v9, v8
	v_fmac_f32_e32 v9, v10, v7
	v_fma_f32 v6, -v6, v9, v8
	v_div_fmas_f32 v6, v6, v7, v9
	v_div_fixup_f32 v5, v6, v1, v5
	v_div_scale_f32 v6, s[38:39], v1, v1, v4
	v_rcp_f32_e32 v7, v6
	v_fma_f32 v8, -v6, v7, 1.0
	v_fmac_f32_e32 v7, v8, v7
	v_div_scale_f32 v8, vcc, v4, v1, v4
	v_mul_f32_e32 v9, v8, v7
	v_fma_f32 v10, -v6, v9, v8
	v_fmac_f32_e32 v9, v10, v7
	v_fma_f32 v6, -v6, v9, v8
	v_div_fmas_f32 v6, v6, v7, v9
	v_div_fixup_f32 v4, v6, v1, v4
	v_mov_b32_e32 v1, 0
	global_store_dwordx2 v[2:3], v[4:5], off
.LBB24_287:                             ;   in Loop: Header=BB24_13 Depth=1
	s_or_b64 exec, exec, s[56:57]
	v_cmp_gt_i32_e32 vcc, 50, v1
	s_mov_b64 s[94:95], -1
	s_and_saveexec_b64 s[56:57], vcc
; %bb.288:                              ;   in Loop: Header=BB24_13 Depth=1
	v_cmp_eq_u32_e32 vcc, 0, v1
	s_orn2_b64 s[94:95], vcc, exec
; %bb.289:                              ;   in Loop: Header=BB24_13 Depth=1
	s_or_b64 exec, exec, s[56:57]
	s_mov_b64 s[56:57], s[4:5]
                                        ; implicit-def: $vgpr2_vgpr3
	s_and_saveexec_b64 s[90:91], s[94:95]
	s_cbranch_execz .LBB24_353
; %bb.290:                              ;   in Loop: Header=BB24_13 Depth=1
	v_mov_b32_e32 v1, 50
	s_and_saveexec_b64 s[56:57], s[72:73]
	s_cbranch_execz .LBB24_292
; %bb.291:                              ;   in Loop: Header=BB24_13 Depth=1
	ds_read_b32 v1, v143 offset:5700
	ds_read_b32 v4, v182 offset:2176
	v_mad_u64_u32 v[2:3], s[38:39], v208, s25, v[30:31]
	v_lshl_add_u32 v2, v2, 6, v32
	v_ashrrev_i32_e32 v3, 31, v2
	v_lshlrev_b64 v[2:3], 3, v[2:3]
	v_add_co_u32_e32 v2, vcc, s0, v2
	v_mov_b32_e32 v5, s1
	v_addc_co_u32_e32 v3, vcc, v5, v3, vcc
	s_waitcnt lgkmcnt(0)
	v_cvt_f32_f16_sdwa v5, v4 dst_sel:DWORD dst_unused:UNUSED_PAD src0_sel:WORD_1
	v_cvt_f32_f16_e32 v4, v4
	v_pk_add_f32 v[4:5], v[4:5], 0 op_sel_hi:[1,0]
	v_div_scale_f32 v6, s[38:39], v1, v1, v5
	v_rcp_f32_e32 v7, v6
	v_fma_f32 v8, -v6, v7, 1.0
	v_fmac_f32_e32 v7, v8, v7
	v_div_scale_f32 v8, vcc, v5, v1, v5
	v_mul_f32_e32 v9, v8, v7
	v_fma_f32 v10, -v6, v9, v8
	v_fmac_f32_e32 v9, v10, v7
	v_fma_f32 v6, -v6, v9, v8
	v_div_fmas_f32 v6, v6, v7, v9
	v_div_fixup_f32 v5, v6, v1, v5
	v_div_scale_f32 v6, s[38:39], v1, v1, v4
	v_rcp_f32_e32 v7, v6
	v_fma_f32 v8, -v6, v7, 1.0
	v_fmac_f32_e32 v7, v8, v7
	v_div_scale_f32 v8, vcc, v4, v1, v4
	v_mul_f32_e32 v9, v8, v7
	v_fma_f32 v10, -v6, v9, v8
	v_fmac_f32_e32 v9, v10, v7
	v_fma_f32 v6, -v6, v9, v8
	v_div_fmas_f32 v6, v6, v7, v9
	v_div_fixup_f32 v4, v6, v1, v4
	v_mov_b32_e32 v1, 0
	global_store_dwordx2 v[2:3], v[4:5], off
.LBB24_292:                             ;   in Loop: Header=BB24_13 Depth=1
	s_or_b64 exec, exec, s[56:57]
	v_cmp_gt_i32_e32 vcc, 50, v1
	s_mov_b64 s[94:95], -1
	s_and_saveexec_b64 s[56:57], vcc
; %bb.293:                              ;   in Loop: Header=BB24_13 Depth=1
	v_cmp_eq_u32_e32 vcc, 0, v1
	s_orn2_b64 s[94:95], vcc, exec
; %bb.294:                              ;   in Loop: Header=BB24_13 Depth=1
	s_or_b64 exec, exec, s[56:57]
	s_mov_b64 s[88:89], s[4:5]
                                        ; implicit-def: $vgpr2_vgpr3
	s_and_saveexec_b64 s[56:57], s[94:95]
	s_cbranch_execz .LBB24_352
; %bb.295:                              ;   in Loop: Header=BB24_13 Depth=1
	v_mov_b32_e32 v1, 50
	s_and_saveexec_b64 s[88:89], s[70:71]
	s_cbranch_execz .LBB24_297
; %bb.296:                              ;   in Loop: Header=BB24_13 Depth=1
	ds_read_b32 v1, v143 offset:6788
	ds_read_b32 v4, v182 offset:3264
	v_mad_u64_u32 v[2:3], s[38:39], v207, s25, v[30:31]
	v_lshl_add_u32 v2, v2, 6, v32
	v_ashrrev_i32_e32 v3, 31, v2
	v_lshlrev_b64 v[2:3], 3, v[2:3]
	v_add_co_u32_e32 v2, vcc, s0, v2
	v_mov_b32_e32 v5, s1
	v_addc_co_u32_e32 v3, vcc, v5, v3, vcc
	s_waitcnt lgkmcnt(0)
	v_cvt_f32_f16_sdwa v5, v4 dst_sel:DWORD dst_unused:UNUSED_PAD src0_sel:WORD_1
	v_cvt_f32_f16_e32 v4, v4
	v_pk_add_f32 v[4:5], v[4:5], 0 op_sel_hi:[1,0]
	v_div_scale_f32 v6, s[38:39], v1, v1, v5
	v_rcp_f32_e32 v7, v6
	v_fma_f32 v8, -v6, v7, 1.0
	v_fmac_f32_e32 v7, v8, v7
	v_div_scale_f32 v8, vcc, v5, v1, v5
	v_mul_f32_e32 v9, v8, v7
	v_fma_f32 v10, -v6, v9, v8
	v_fmac_f32_e32 v9, v10, v7
	v_fma_f32 v6, -v6, v9, v8
	v_div_fmas_f32 v6, v6, v7, v9
	v_div_fixup_f32 v5, v6, v1, v5
	v_div_scale_f32 v6, s[38:39], v1, v1, v4
	v_rcp_f32_e32 v7, v6
	v_fma_f32 v8, -v6, v7, 1.0
	v_fmac_f32_e32 v7, v8, v7
	v_div_scale_f32 v8, vcc, v4, v1, v4
	v_mul_f32_e32 v9, v8, v7
	v_fma_f32 v10, -v6, v9, v8
	v_fmac_f32_e32 v9, v10, v7
	v_fma_f32 v6, -v6, v9, v8
	v_div_fmas_f32 v6, v6, v7, v9
	v_div_fixup_f32 v4, v6, v1, v4
	v_mov_b32_e32 v1, 0
	global_store_dwordx2 v[2:3], v[4:5], off
.LBB24_297:                             ;   in Loop: Header=BB24_13 Depth=1
	;; [unrolled: 56-line block ×3, first 2 shown]
	s_or_b64 exec, exec, s[88:89]
	v_cmp_gt_i32_e32 vcc, 50, v1
	s_mov_b64 s[94:95], -1
	s_and_saveexec_b64 s[84:85], vcc
; %bb.303:                              ;   in Loop: Header=BB24_13 Depth=1
	v_cmp_eq_u32_e32 vcc, 0, v1
	s_orn2_b64 s[94:95], vcc, exec
; %bb.304:                              ;   in Loop: Header=BB24_13 Depth=1
	s_or_b64 exec, exec, s[84:85]
	s_mov_b64 s[88:89], s[4:5]
                                        ; implicit-def: $vgpr2_vgpr3
	s_and_saveexec_b64 s[84:85], s[94:95]
	s_cbranch_execz .LBB24_350
; %bb.305:                              ;   in Loop: Header=BB24_13 Depth=1
	v_mov_b32_e32 v1, 50
	s_and_saveexec_b64 s[88:89], s[82:83]
	s_cbranch_execz .LBB24_307
; %bb.306:                              ;   in Loop: Header=BB24_13 Depth=1
	v_mad_u64_u32 v[2:3], s[38:39], v205, s25, v[30:31]
	buffer_load_dword v1, off, s[96:99], 0 offset:8 ; 4-byte Folded Reload
	buffer_load_dword v3, off, s[96:99], 0 offset:4 ; 4-byte Folded Reload
	v_lshl_add_u32 v2, v2, 6, v32
	v_mov_b32_e32 v5, s1
	s_waitcnt vmcnt(1)
	ds_read_b32 v1, v1 offset:260
	s_waitcnt vmcnt(0)
	ds_read_b32 v4, v3
	v_ashrrev_i32_e32 v3, 31, v2
	v_lshlrev_b64 v[2:3], 3, v[2:3]
	v_add_co_u32_e32 v2, vcc, s0, v2
	v_addc_co_u32_e32 v3, vcc, v5, v3, vcc
	s_waitcnt lgkmcnt(0)
	v_cvt_f32_f16_sdwa v5, v4 dst_sel:DWORD dst_unused:UNUSED_PAD src0_sel:WORD_1
	v_cvt_f32_f16_e32 v4, v4
	v_pk_add_f32 v[4:5], v[4:5], 0 op_sel_hi:[1,0]
	v_div_scale_f32 v6, s[38:39], v1, v1, v5
	v_rcp_f32_e32 v7, v6
	v_fma_f32 v8, -v6, v7, 1.0
	v_fmac_f32_e32 v7, v8, v7
	v_div_scale_f32 v8, vcc, v5, v1, v5
	v_mul_f32_e32 v9, v8, v7
	v_fma_f32 v10, -v6, v9, v8
	v_fmac_f32_e32 v9, v10, v7
	v_fma_f32 v6, -v6, v9, v8
	v_div_fmas_f32 v6, v6, v7, v9
	v_div_fixup_f32 v5, v6, v1, v5
	v_div_scale_f32 v6, s[38:39], v1, v1, v4
	v_rcp_f32_e32 v7, v6
	v_fma_f32 v8, -v6, v7, 1.0
	v_fmac_f32_e32 v7, v8, v7
	v_div_scale_f32 v8, vcc, v4, v1, v4
	v_mul_f32_e32 v9, v8, v7
	v_fma_f32 v10, -v6, v9, v8
	v_fmac_f32_e32 v9, v10, v7
	v_fma_f32 v6, -v6, v9, v8
	v_div_fmas_f32 v6, v6, v7, v9
	v_div_fixup_f32 v4, v6, v1, v4
	v_mov_b32_e32 v1, 0
	global_store_dwordx2 v[2:3], v[4:5], off
.LBB24_307:                             ;   in Loop: Header=BB24_13 Depth=1
	s_or_b64 exec, exec, s[88:89]
	v_cmp_gt_i32_e32 vcc, 50, v1
	s_mov_b64 s[94:95], -1
	s_and_saveexec_b64 s[82:83], vcc
; %bb.308:                              ;   in Loop: Header=BB24_13 Depth=1
	v_cmp_eq_u32_e32 vcc, 0, v1
	s_orn2_b64 s[94:95], vcc, exec
; %bb.309:                              ;   in Loop: Header=BB24_13 Depth=1
	s_or_b64 exec, exec, s[82:83]
	s_mov_b64 s[88:89], s[4:5]
                                        ; implicit-def: $vgpr2_vgpr3
	s_and_saveexec_b64 s[82:83], s[94:95]
	s_cbranch_execz .LBB24_349
; %bb.310:                              ;   in Loop: Header=BB24_13 Depth=1
	v_mov_b32_e32 v1, 50
	s_and_saveexec_b64 s[88:89], s[80:81]
	s_cbranch_execz .LBB24_312
; %bb.311:                              ;   in Loop: Header=BB24_13 Depth=1
	ds_read_b32 v1, v143 offset:10052
	ds_read_b32 v4, v182 offset:6528
	v_mad_u64_u32 v[2:3], s[38:39], v204, s25, v[30:31]
	v_lshl_add_u32 v2, v2, 6, v32
	v_ashrrev_i32_e32 v3, 31, v2
	v_lshlrev_b64 v[2:3], 3, v[2:3]
	v_add_co_u32_e32 v2, vcc, s0, v2
	v_mov_b32_e32 v5, s1
	v_addc_co_u32_e32 v3, vcc, v5, v3, vcc
	s_waitcnt lgkmcnt(0)
	v_cvt_f32_f16_sdwa v5, v4 dst_sel:DWORD dst_unused:UNUSED_PAD src0_sel:WORD_1
	v_cvt_f32_f16_e32 v4, v4
	v_pk_add_f32 v[4:5], v[4:5], 0 op_sel_hi:[1,0]
	v_div_scale_f32 v6, s[38:39], v1, v1, v5
	v_rcp_f32_e32 v7, v6
	v_fma_f32 v8, -v6, v7, 1.0
	v_fmac_f32_e32 v7, v8, v7
	v_div_scale_f32 v8, vcc, v5, v1, v5
	v_mul_f32_e32 v9, v8, v7
	v_fma_f32 v10, -v6, v9, v8
	v_fmac_f32_e32 v9, v10, v7
	v_fma_f32 v6, -v6, v9, v8
	v_div_fmas_f32 v6, v6, v7, v9
	v_div_fixup_f32 v5, v6, v1, v5
	v_div_scale_f32 v6, s[38:39], v1, v1, v4
	v_rcp_f32_e32 v7, v6
	v_fma_f32 v8, -v6, v7, 1.0
	v_fmac_f32_e32 v7, v8, v7
	v_div_scale_f32 v8, vcc, v4, v1, v4
	v_mul_f32_e32 v9, v8, v7
	v_fma_f32 v10, -v6, v9, v8
	v_fmac_f32_e32 v9, v10, v7
	v_fma_f32 v6, -v6, v9, v8
	v_div_fmas_f32 v6, v6, v7, v9
	v_div_fixup_f32 v4, v6, v1, v4
	v_mov_b32_e32 v1, 0
	global_store_dwordx2 v[2:3], v[4:5], off
.LBB24_312:                             ;   in Loop: Header=BB24_13 Depth=1
	s_or_b64 exec, exec, s[88:89]
	v_cmp_gt_i32_e32 vcc, 50, v1
	s_mov_b64 s[94:95], -1
	s_and_saveexec_b64 s[80:81], vcc
; %bb.313:                              ;   in Loop: Header=BB24_13 Depth=1
	v_cmp_eq_u32_e32 vcc, 0, v1
	s_orn2_b64 s[94:95], vcc, exec
; %bb.314:                              ;   in Loop: Header=BB24_13 Depth=1
	s_or_b64 exec, exec, s[80:81]
	s_mov_b64 s[88:89], s[4:5]
                                        ; implicit-def: $vgpr2_vgpr3
	s_and_saveexec_b64 s[80:81], s[94:95]
	s_cbranch_execz .LBB24_348
; %bb.315:                              ;   in Loop: Header=BB24_13 Depth=1
	v_mov_b32_e32 v1, 50
	s_and_saveexec_b64 s[88:89], s[78:79]
	s_cbranch_execz .LBB24_317
; %bb.316:                              ;   in Loop: Header=BB24_13 Depth=1
	ds_read_b32 v1, v143 offset:11140
	ds_read_b32 v4, v182 offset:7616
	v_mad_u64_u32 v[2:3], s[38:39], v203, s25, v[30:31]
	v_lshl_add_u32 v2, v2, 6, v32
	v_ashrrev_i32_e32 v3, 31, v2
	v_lshlrev_b64 v[2:3], 3, v[2:3]
	v_add_co_u32_e32 v2, vcc, s0, v2
	v_mov_b32_e32 v5, s1
	v_addc_co_u32_e32 v3, vcc, v5, v3, vcc
	s_waitcnt lgkmcnt(0)
	v_cvt_f32_f16_sdwa v5, v4 dst_sel:DWORD dst_unused:UNUSED_PAD src0_sel:WORD_1
	v_cvt_f32_f16_e32 v4, v4
	v_pk_add_f32 v[4:5], v[4:5], 0 op_sel_hi:[1,0]
	v_div_scale_f32 v6, s[38:39], v1, v1, v5
	v_rcp_f32_e32 v7, v6
	v_fma_f32 v8, -v6, v7, 1.0
	v_fmac_f32_e32 v7, v8, v7
	v_div_scale_f32 v8, vcc, v5, v1, v5
	v_mul_f32_e32 v9, v8, v7
	v_fma_f32 v10, -v6, v9, v8
	v_fmac_f32_e32 v9, v10, v7
	v_fma_f32 v6, -v6, v9, v8
	v_div_fmas_f32 v6, v6, v7, v9
	v_div_fixup_f32 v5, v6, v1, v5
	v_div_scale_f32 v6, s[38:39], v1, v1, v4
	v_rcp_f32_e32 v7, v6
	v_fma_f32 v8, -v6, v7, 1.0
	v_fmac_f32_e32 v7, v8, v7
	v_div_scale_f32 v8, vcc, v4, v1, v4
	v_mul_f32_e32 v9, v8, v7
	v_fma_f32 v10, -v6, v9, v8
	v_fmac_f32_e32 v9, v10, v7
	v_fma_f32 v6, -v6, v9, v8
	v_div_fmas_f32 v6, v6, v7, v9
	v_div_fixup_f32 v4, v6, v1, v4
	v_mov_b32_e32 v1, 0
	global_store_dwordx2 v[2:3], v[4:5], off
.LBB24_317:                             ;   in Loop: Header=BB24_13 Depth=1
	s_or_b64 exec, exec, s[88:89]
	v_cmp_gt_i32_e32 vcc, 50, v1
	s_mov_b64 s[94:95], -1
	s_and_saveexec_b64 s[78:79], vcc
; %bb.318:                              ;   in Loop: Header=BB24_13 Depth=1
	v_cmp_eq_u32_e32 vcc, 0, v1
	s_orn2_b64 s[94:95], vcc, exec
; %bb.319:                              ;   in Loop: Header=BB24_13 Depth=1
	s_or_b64 exec, exec, s[78:79]
	s_mov_b64 s[88:89], s[4:5]
                                        ; implicit-def: $vgpr2_vgpr3
	s_and_saveexec_b64 s[78:79], s[94:95]
	s_cbranch_execz .LBB24_347
; %bb.320:                              ;   in Loop: Header=BB24_13 Depth=1
	v_mov_b32_e32 v1, 50
	s_mov_b64 s[88:89], exec
	v_readlane_b32 s38, v255, 41
	v_readlane_b32 s39, v255, 42
	s_and_b64 s[38:39], s[88:89], s[38:39]
	s_mov_b64 exec, s[38:39]
	s_cbranch_execz .LBB24_322
; %bb.321:                              ;   in Loop: Header=BB24_13 Depth=1
	ds_read_b32 v1, v143 offset:12228
	ds_read_b32 v4, v182 offset:8704
	v_mad_u64_u32 v[2:3], s[38:39], v202, s25, v[30:31]
	v_lshl_add_u32 v2, v2, 6, v32
	v_ashrrev_i32_e32 v3, 31, v2
	v_lshlrev_b64 v[2:3], 3, v[2:3]
	v_add_co_u32_e32 v2, vcc, s0, v2
	v_mov_b32_e32 v5, s1
	v_addc_co_u32_e32 v3, vcc, v5, v3, vcc
	s_waitcnt lgkmcnt(0)
	v_cvt_f32_f16_sdwa v5, v4 dst_sel:DWORD dst_unused:UNUSED_PAD src0_sel:WORD_1
	v_cvt_f32_f16_e32 v4, v4
	v_pk_add_f32 v[4:5], v[4:5], 0 op_sel_hi:[1,0]
	v_div_scale_f32 v6, s[38:39], v1, v1, v5
	v_rcp_f32_e32 v7, v6
	v_fma_f32 v8, -v6, v7, 1.0
	v_fmac_f32_e32 v7, v8, v7
	v_div_scale_f32 v8, vcc, v5, v1, v5
	v_mul_f32_e32 v9, v8, v7
	v_fma_f32 v10, -v6, v9, v8
	v_fmac_f32_e32 v9, v10, v7
	v_fma_f32 v6, -v6, v9, v8
	v_div_fmas_f32 v6, v6, v7, v9
	v_div_fixup_f32 v5, v6, v1, v5
	v_div_scale_f32 v6, s[38:39], v1, v1, v4
	v_rcp_f32_e32 v7, v6
	v_fma_f32 v8, -v6, v7, 1.0
	v_fmac_f32_e32 v7, v8, v7
	v_div_scale_f32 v8, vcc, v4, v1, v4
	v_mul_f32_e32 v9, v8, v7
	v_fma_f32 v10, -v6, v9, v8
	v_fmac_f32_e32 v9, v10, v7
	v_fma_f32 v6, -v6, v9, v8
	v_div_fmas_f32 v6, v6, v7, v9
	v_div_fixup_f32 v4, v6, v1, v4
	v_mov_b32_e32 v1, 0
	global_store_dwordx2 v[2:3], v[4:5], off
.LBB24_322:                             ;   in Loop: Header=BB24_13 Depth=1
	s_or_b64 exec, exec, s[88:89]
	v_cmp_gt_i32_e32 vcc, 50, v1
	s_mov_b64 s[94:95], -1
	s_and_saveexec_b64 s[76:77], vcc
; %bb.323:                              ;   in Loop: Header=BB24_13 Depth=1
	v_cmp_eq_u32_e32 vcc, 0, v1
	s_orn2_b64 s[94:95], vcc, exec
; %bb.324:                              ;   in Loop: Header=BB24_13 Depth=1
	s_or_b64 exec, exec, s[76:77]
	s_mov_b64 s[88:89], s[4:5]
                                        ; implicit-def: $vgpr2_vgpr3
	s_and_saveexec_b64 s[76:77], s[94:95]
	s_cbranch_execz .LBB24_346
; %bb.325:                              ;   in Loop: Header=BB24_13 Depth=1
	v_mov_b32_e32 v1, 50
	s_mov_b64 s[88:89], exec
	v_readlane_b32 s38, v255, 43
	v_readlane_b32 s39, v255, 44
	s_and_b64 s[38:39], s[88:89], s[38:39]
	s_mov_b64 exec, s[38:39]
	s_cbranch_execz .LBB24_327
; %bb.326:                              ;   in Loop: Header=BB24_13 Depth=1
	v_mad_u64_u32 v[2:3], s[38:39], v201, s25, v[30:31]
	buffer_load_dword v1, off, s[96:99], 0 offset:16 ; 4-byte Folded Reload
	buffer_load_dword v3, off, s[96:99], 0 offset:12 ; 4-byte Folded Reload
	v_lshl_add_u32 v2, v2, 6, v32
	v_mov_b32_e32 v5, s1
	s_waitcnt vmcnt(1)
	ds_read_b32 v1, v1 offset:260
	s_waitcnt vmcnt(0)
	ds_read_b32 v4, v3
	v_ashrrev_i32_e32 v3, 31, v2
	v_lshlrev_b64 v[2:3], 3, v[2:3]
	v_add_co_u32_e32 v2, vcc, s0, v2
	v_addc_co_u32_e32 v3, vcc, v5, v3, vcc
	s_waitcnt lgkmcnt(0)
	v_cvt_f32_f16_sdwa v5, v4 dst_sel:DWORD dst_unused:UNUSED_PAD src0_sel:WORD_1
	v_cvt_f32_f16_e32 v4, v4
	v_pk_add_f32 v[4:5], v[4:5], 0 op_sel_hi:[1,0]
	v_div_scale_f32 v6, s[38:39], v1, v1, v5
	v_rcp_f32_e32 v7, v6
	v_fma_f32 v8, -v6, v7, 1.0
	v_fmac_f32_e32 v7, v8, v7
	v_div_scale_f32 v8, vcc, v5, v1, v5
	v_mul_f32_e32 v9, v8, v7
	v_fma_f32 v10, -v6, v9, v8
	v_fmac_f32_e32 v9, v10, v7
	v_fma_f32 v6, -v6, v9, v8
	v_div_fmas_f32 v6, v6, v7, v9
	v_div_fixup_f32 v5, v6, v1, v5
	v_div_scale_f32 v6, s[38:39], v1, v1, v4
	v_rcp_f32_e32 v7, v6
	v_fma_f32 v8, -v6, v7, 1.0
	v_fmac_f32_e32 v7, v8, v7
	v_div_scale_f32 v8, vcc, v4, v1, v4
	v_mul_f32_e32 v9, v8, v7
	v_fma_f32 v10, -v6, v9, v8
	v_fmac_f32_e32 v9, v10, v7
	v_fma_f32 v6, -v6, v9, v8
	v_div_fmas_f32 v6, v6, v7, v9
	v_div_fixup_f32 v4, v6, v1, v4
	v_mov_b32_e32 v1, 0
	global_store_dwordx2 v[2:3], v[4:5], off
.LBB24_327:                             ;   in Loop: Header=BB24_13 Depth=1
	s_or_b64 exec, exec, s[88:89]
	v_cmp_gt_i32_e32 vcc, 50, v1
	s_mov_b64 s[94:95], -1
	s_and_saveexec_b64 s[74:75], vcc
; %bb.328:                              ;   in Loop: Header=BB24_13 Depth=1
	v_cmp_eq_u32_e32 vcc, 0, v1
	s_orn2_b64 s[94:95], vcc, exec
; %bb.329:                              ;   in Loop: Header=BB24_13 Depth=1
	s_or_b64 exec, exec, s[74:75]
	s_mov_b64 s[88:89], s[4:5]
                                        ; implicit-def: $vgpr2_vgpr3
	s_and_saveexec_b64 s[74:75], s[94:95]
	s_cbranch_execz .LBB24_345
; %bb.330:                              ;   in Loop: Header=BB24_13 Depth=1
	v_mov_b32_e32 v1, 50
	s_mov_b64 s[88:89], exec
	v_readlane_b32 s38, v255, 45
	v_readlane_b32 s39, v255, 46
	s_and_b64 s[38:39], s[88:89], s[38:39]
	s_mov_b64 exec, s[38:39]
	s_cbranch_execz .LBB24_332
; %bb.331:                              ;   in Loop: Header=BB24_13 Depth=1
	ds_read_b32 v1, v143 offset:14404
	ds_read_b32 v4, v182 offset:10880
	v_mad_u64_u32 v[2:3], s[38:39], v200, s25, v[30:31]
	v_lshl_add_u32 v2, v2, 6, v32
	v_ashrrev_i32_e32 v3, 31, v2
	v_lshlrev_b64 v[2:3], 3, v[2:3]
	v_add_co_u32_e32 v2, vcc, s0, v2
	v_mov_b32_e32 v5, s1
	v_addc_co_u32_e32 v3, vcc, v5, v3, vcc
	s_waitcnt lgkmcnt(0)
	v_cvt_f32_f16_sdwa v5, v4 dst_sel:DWORD dst_unused:UNUSED_PAD src0_sel:WORD_1
	v_cvt_f32_f16_e32 v4, v4
	v_pk_add_f32 v[4:5], v[4:5], 0 op_sel_hi:[1,0]
	v_div_scale_f32 v6, s[38:39], v1, v1, v5
	v_rcp_f32_e32 v7, v6
	v_fma_f32 v8, -v6, v7, 1.0
	v_fmac_f32_e32 v7, v8, v7
	v_div_scale_f32 v8, vcc, v5, v1, v5
	v_mul_f32_e32 v9, v8, v7
	v_fma_f32 v10, -v6, v9, v8
	v_fmac_f32_e32 v9, v10, v7
	v_fma_f32 v6, -v6, v9, v8
	v_div_fmas_f32 v6, v6, v7, v9
	v_div_fixup_f32 v5, v6, v1, v5
	v_div_scale_f32 v6, s[38:39], v1, v1, v4
	v_rcp_f32_e32 v7, v6
	v_fma_f32 v8, -v6, v7, 1.0
	v_fmac_f32_e32 v7, v8, v7
	v_div_scale_f32 v8, vcc, v4, v1, v4
	v_mul_f32_e32 v9, v8, v7
	v_fma_f32 v10, -v6, v9, v8
	v_fmac_f32_e32 v9, v10, v7
	v_fma_f32 v6, -v6, v9, v8
	v_div_fmas_f32 v6, v6, v7, v9
	v_div_fixup_f32 v4, v6, v1, v4
	v_mov_b32_e32 v1, 0
	global_store_dwordx2 v[2:3], v[4:5], off
.LBB24_332:                             ;   in Loop: Header=BB24_13 Depth=1
	s_or_b64 exec, exec, s[88:89]
	v_cmp_gt_i32_e32 vcc, 50, v1
	s_mov_b64 s[94:95], -1
	s_and_saveexec_b64 s[72:73], vcc
; %bb.333:                              ;   in Loop: Header=BB24_13 Depth=1
	v_cmp_eq_u32_e32 vcc, 0, v1
	s_orn2_b64 s[94:95], vcc, exec
; %bb.334:                              ;   in Loop: Header=BB24_13 Depth=1
	s_or_b64 exec, exec, s[72:73]
	s_mov_b64 s[88:89], s[4:5]
                                        ; implicit-def: $vgpr2_vgpr3
	s_and_saveexec_b64 s[72:73], s[94:95]
	s_cbranch_execz .LBB24_344
; %bb.335:                              ;   in Loop: Header=BB24_13 Depth=1
	v_mov_b32_e32 v1, 50
	s_mov_b64 s[88:89], exec
	v_readlane_b32 s38, v255, 47
	v_readlane_b32 s39, v255, 48
	s_and_b64 s[38:39], s[88:89], s[38:39]
	s_mov_b64 exec, s[38:39]
	s_cbranch_execz .LBB24_337
; %bb.336:                              ;   in Loop: Header=BB24_13 Depth=1
	ds_read_b32 v1, v143 offset:15492
	ds_read_b32 v4, v182 offset:11968
	v_mad_u64_u32 v[2:3], s[38:39], v69, s25, v[30:31]
	v_lshl_add_u32 v2, v2, 6, v32
	v_ashrrev_i32_e32 v3, 31, v2
	v_lshlrev_b64 v[2:3], 3, v[2:3]
	v_add_co_u32_e32 v2, vcc, s0, v2
	v_mov_b32_e32 v5, s1
	v_addc_co_u32_e32 v3, vcc, v5, v3, vcc
	s_waitcnt lgkmcnt(0)
	v_cvt_f32_f16_sdwa v5, v4 dst_sel:DWORD dst_unused:UNUSED_PAD src0_sel:WORD_1
	v_cvt_f32_f16_e32 v4, v4
	v_pk_add_f32 v[4:5], v[4:5], 0 op_sel_hi:[1,0]
	v_div_scale_f32 v6, s[38:39], v1, v1, v5
	v_rcp_f32_e32 v7, v6
	v_fma_f32 v8, -v6, v7, 1.0
	v_fmac_f32_e32 v7, v8, v7
	v_div_scale_f32 v8, vcc, v5, v1, v5
	v_mul_f32_e32 v9, v8, v7
	v_fma_f32 v10, -v6, v9, v8
	v_fmac_f32_e32 v9, v10, v7
	v_fma_f32 v6, -v6, v9, v8
	v_div_fmas_f32 v6, v6, v7, v9
	v_div_fixup_f32 v5, v6, v1, v5
	v_div_scale_f32 v6, s[38:39], v1, v1, v4
	v_rcp_f32_e32 v7, v6
	v_fma_f32 v8, -v6, v7, 1.0
	v_fmac_f32_e32 v7, v8, v7
	v_div_scale_f32 v8, vcc, v4, v1, v4
	v_mul_f32_e32 v9, v8, v7
	v_fma_f32 v10, -v6, v9, v8
	v_fmac_f32_e32 v9, v10, v7
	v_fma_f32 v6, -v6, v9, v8
	v_div_fmas_f32 v6, v6, v7, v9
	v_div_fixup_f32 v4, v6, v1, v4
	v_mov_b32_e32 v1, 0
	global_store_dwordx2 v[2:3], v[4:5], off
.LBB24_337:                             ;   in Loop: Header=BB24_13 Depth=1
	s_or_b64 exec, exec, s[88:89]
	v_cmp_gt_i32_e32 vcc, 50, v1
	s_mov_b64 s[94:95], -1
	s_and_saveexec_b64 s[70:71], vcc
; %bb.338:                              ;   in Loop: Header=BB24_13 Depth=1
	v_cmp_eq_u32_e32 vcc, 0, v1
	s_orn2_b64 s[94:95], vcc, exec
; %bb.339:                              ;   in Loop: Header=BB24_13 Depth=1
	s_or_b64 exec, exec, s[70:71]
	s_mov_b64 s[88:89], s[4:5]
                                        ; implicit-def: $vgpr2_vgpr3
	s_and_saveexec_b64 s[70:71], s[94:95]
	s_cbranch_execz .LBB24_343
; %bb.340:                              ;   in Loop: Header=BB24_13 Depth=1
	s_mov_b64 s[94:95], s[4:5]
                                        ; implicit-def: $vgpr2_vgpr3
	s_and_saveexec_b64 s[88:89], s[2:3]
	s_cbranch_execz .LBB24_342
; %bb.341:                              ;   in Loop: Header=BB24_13 Depth=1
	ds_read_b32 v1, v143 offset:16580
	ds_read_b32 v2, v182 offset:13056
	s_or_b64 s[94:95], s[4:5], exec
	s_waitcnt lgkmcnt(0)
	v_cvt_f32_f16_sdwa v3, v2 dst_sel:DWORD dst_unused:UNUSED_PAD src0_sel:WORD_1
	v_cvt_f32_f16_e32 v2, v2
	v_pk_add_f32 v[2:3], v[2:3], 0 op_sel_hi:[1,0]
	v_div_scale_f32 v4, s[2:3], v1, v1, v3
	v_rcp_f32_e32 v5, v4
	v_fma_f32 v6, -v4, v5, 1.0
	v_fmac_f32_e32 v5, v6, v5
	v_div_scale_f32 v6, vcc, v3, v1, v3
	v_mul_f32_e32 v7, v6, v5
	v_fma_f32 v8, -v4, v7, v6
	v_fmac_f32_e32 v7, v8, v5
	v_fma_f32 v4, -v4, v7, v6
	v_div_fmas_f32 v4, v4, v5, v7
	v_div_fixup_f32 v3, v4, v1, v3
	v_div_scale_f32 v4, s[2:3], v1, v1, v2
	v_rcp_f32_e32 v5, v4
	v_fma_f32 v6, -v4, v5, 1.0
	v_fmac_f32_e32 v5, v6, v5
	v_div_scale_f32 v6, vcc, v2, v1, v2
	v_mul_f32_e32 v7, v6, v5
	v_fma_f32 v8, -v4, v7, v6
	v_fmac_f32_e32 v7, v8, v5
	v_fma_f32 v4, -v4, v7, v6
	v_div_fmas_f32 v4, v4, v5, v7
	v_div_fixup_f32 v2, v4, v1, v2
.LBB24_342:                             ;   in Loop: Header=BB24_13 Depth=1
	s_or_b64 exec, exec, s[88:89]
	s_andn2_b64 s[2:3], s[4:5], exec
	s_and_b64 s[38:39], s[94:95], exec
	s_or_b64 s[88:89], s[2:3], s[38:39]
.LBB24_343:                             ;   in Loop: Header=BB24_13 Depth=1
	s_or_b64 exec, exec, s[70:71]
	s_andn2_b64 s[2:3], s[4:5], exec
	s_and_b64 s[38:39], s[88:89], exec
	s_or_b64 s[88:89], s[2:3], s[38:39]
.LBB24_344:                             ;   in Loop: Header=BB24_13 Depth=1
	s_or_b64 exec, exec, s[72:73]
	s_andn2_b64 s[2:3], s[4:5], exec
	s_and_b64 s[38:39], s[88:89], exec
	s_or_b64 s[88:89], s[2:3], s[38:39]
.LBB24_345:                             ;   in Loop: Header=BB24_13 Depth=1
	s_or_b64 exec, exec, s[74:75]
	s_andn2_b64 s[2:3], s[4:5], exec
	s_and_b64 s[38:39], s[88:89], exec
	s_or_b64 s[88:89], s[2:3], s[38:39]
.LBB24_346:                             ;   in Loop: Header=BB24_13 Depth=1
	s_or_b64 exec, exec, s[76:77]
	s_andn2_b64 s[2:3], s[4:5], exec
	s_and_b64 s[38:39], s[88:89], exec
	s_or_b64 s[88:89], s[2:3], s[38:39]
.LBB24_347:                             ;   in Loop: Header=BB24_13 Depth=1
	s_or_b64 exec, exec, s[78:79]
	s_andn2_b64 s[2:3], s[4:5], exec
	s_and_b64 s[38:39], s[88:89], exec
	s_or_b64 s[88:89], s[2:3], s[38:39]
.LBB24_348:                             ;   in Loop: Header=BB24_13 Depth=1
	s_or_b64 exec, exec, s[80:81]
	s_andn2_b64 s[2:3], s[4:5], exec
	s_and_b64 s[38:39], s[88:89], exec
	s_or_b64 s[88:89], s[2:3], s[38:39]
.LBB24_349:                             ;   in Loop: Header=BB24_13 Depth=1
	s_or_b64 exec, exec, s[82:83]
	s_andn2_b64 s[2:3], s[4:5], exec
	s_and_b64 s[38:39], s[88:89], exec
	s_or_b64 s[88:89], s[2:3], s[38:39]
.LBB24_350:                             ;   in Loop: Header=BB24_13 Depth=1
	s_or_b64 exec, exec, s[84:85]
	s_andn2_b64 s[2:3], s[4:5], exec
	s_and_b64 s[38:39], s[88:89], exec
	s_or_b64 s[88:89], s[2:3], s[38:39]
.LBB24_351:                             ;   in Loop: Header=BB24_13 Depth=1
	s_or_b64 exec, exec, s[86:87]
	s_andn2_b64 s[2:3], s[4:5], exec
	s_and_b64 s[38:39], s[88:89], exec
	s_or_b64 s[88:89], s[2:3], s[38:39]
.LBB24_352:                             ;   in Loop: Header=BB24_13 Depth=1
	s_or_b64 exec, exec, s[56:57]
	s_andn2_b64 s[2:3], s[4:5], exec
	s_and_b64 s[38:39], s[88:89], exec
	s_or_b64 s[56:57], s[2:3], s[38:39]
.LBB24_353:                             ;   in Loop: Header=BB24_13 Depth=1
	s_or_b64 exec, exec, s[90:91]
	s_andn2_b64 s[2:3], s[4:5], exec
	s_and_b64 s[38:39], s[56:57], exec
	s_or_b64 s[56:57], s[2:3], s[38:39]
.LBB24_354:                             ;   in Loop: Header=BB24_13 Depth=1
	s_or_b64 exec, exec, s[92:93]
	s_andn2_b64 s[2:3], s[4:5], exec
	s_and_b64 s[38:39], s[56:57], exec
	s_or_b64 s[56:57], s[2:3], s[38:39]
.LBB24_355:                             ;   in Loop: Header=BB24_13 Depth=1
	s_or_b64 exec, exec, s[68:69]
	s_andn2_b64 s[2:3], s[4:5], exec
	s_and_b64 s[38:39], s[56:57], exec
	s_or_b64 s[56:57], s[2:3], s[38:39]
.LBB24_356:                             ;   in Loop: Header=BB24_13 Depth=1
	s_or_b64 exec, exec, s[52:53]
	s_andn2_b64 s[2:3], s[4:5], exec
	s_and_b64 s[4:5], s[56:57], exec
	s_or_b64 s[4:5], s[2:3], s[4:5]
.LBB24_357:                             ;   in Loop: Header=BB24_13 Depth=1
	s_or_b64 exec, exec, s[34:35]
	s_and_saveexec_b64 s[2:3], s[4:5]
	s_cbranch_execz .LBB24_12
.LBB24_358:                             ;   in Loop: Header=BB24_13 Depth=1
	v_mad_u64_u32 v[4:5], s[4:5], v59, s25, v[30:31]
	v_lshl_add_u32 v4, v4, 6, v32
	v_ashrrev_i32_e32 v5, 31, v4
	v_lshlrev_b64 v[4:5], 3, v[4:5]
	v_mov_b32_e32 v1, s1
	v_add_co_u32_e32 v4, vcc, s0, v4
	v_addc_co_u32_e32 v5, vcc, v1, v5, vcc
	global_store_dwordx2 v[4:5], v[2:3], off
	s_branch .LBB24_12
.LBB24_359:
	s_andn2_b64 vcc, exec, s[2:3]
	s_cbranch_vccnz .LBB24_435
; %bb.360:
	v_readlane_b32 s6, v255, 3
	s_abs_i32 s0, s6
	v_cvt_f32_u32_e32 v1, s0
	s_sub_i32 s3, 0, s0
	s_abs_i32 s2, s50
	s_xor_b32 s1, s50, s6
	v_rcp_iflag_f32_e32 v1, v1
	s_ashr_i32 s1, s1, 31
	v_readlane_b32 s16, v255, 2
	v_readlane_b32 s17, v255, 1
	v_mul_f32_e32 v1, 0x4f7ffffe, v1
	v_cvt_u32_f32_e32 v1, v1
	v_mov_b32_e32 v16, s46
	v_readfirstlane_b32 s4, v1
	s_mul_i32 s3, s3, s4
	s_mul_hi_u32 s3, s4, s3
	s_add_i32 s4, s4, s3
	s_mul_hi_u32 s3, s2, s4
	s_mul_i32 s4, s3, s0
	s_sub_i32 s2, s2, s4
	s_add_i32 s5, s3, 1
	s_sub_i32 s4, s2, s0
	s_cmp_ge_u32 s2, s0
	s_cselect_b32 s3, s5, s3
	s_cselect_b32 s2, s4, s2
	s_add_i32 s4, s3, 1
	s_cmp_ge_u32 s2, s0
	s_cselect_b32 s0, s4, s3
	s_abs_i32 s2, s16
	v_cvt_f32_u32_e32 v1, s2
	s_xor_b32 s0, s0, s1
	s_sub_i32 s4, s0, s1
	s_sub_i32 s3, 0, s2
	v_rcp_iflag_f32_e32 v1, v1
	s_mul_i32 s0, s4, s6
	s_sub_i32 s0, s50, s0
	s_abs_i32 s5, s0
	v_mul_f32_e32 v1, 0x4f7ffffe, v1
	v_cvt_u32_f32_e32 v1, v1
	s_xor_b32 s1, s0, s16
	s_ashr_i32 s1, s1, 31
	v_readfirstlane_b32 s6, v1
	s_mul_i32 s3, s3, s6
	s_mul_hi_u32 s3, s6, s3
	s_add_i32 s6, s6, s3
	s_mul_hi_u32 s3, s5, s6
	s_mul_i32 s6, s3, s2
	s_sub_i32 s5, s5, s6
	s_add_i32 s7, s3, 1
	s_sub_i32 s6, s5, s2
	s_cmp_ge_u32 s5, s2
	s_cselect_b32 s3, s7, s3
	s_cselect_b32 s5, s6, s5
	s_add_i32 s6, s3, 1
	s_cmp_ge_u32 s5, s2
	s_cselect_b32 s2, s6, s3
	s_abs_i32 s3, s17
	v_cvt_f32_u32_e32 v1, s3
	s_xor_b32 s2, s2, s1
	s_sub_i32 s6, 0, s3
	s_sub_i32 s5, s2, s1
	v_rcp_iflag_f32_e32 v1, v1
	s_mul_i32 s1, s5, s16
	s_sub_i32 s1, s0, s1
	s_abs_i32 s2, s1
	v_mul_f32_e32 v1, 0x4f7ffffe, v1
	v_cvt_u32_f32_e32 v1, v1
	s_xor_b32 s0, s1, s17
	s_ashr_i32 s0, s0, 31
	v_readfirstlane_b32 s7, v1
	s_mul_i32 s6, s6, s7
	s_mul_hi_u32 s6, s7, s6
	s_add_i32 s7, s7, s6
	s_mul_hi_u32 s6, s2, s7
	s_mul_i32 s7, s6, s3
	s_sub_i32 s2, s2, s7
	s_add_i32 s16, s6, 1
	s_sub_i32 s7, s2, s3
	s_cmp_ge_u32 s2, s3
	s_cselect_b32 s6, s16, s6
	s_cselect_b32 s2, s7, s2
	s_add_i32 s7, s6, 1
	s_cmp_ge_u32 s2, s3
	s_cselect_b32 s2, s7, s6
	s_xor_b32 s2, s2, s0
	s_sub_i32 s0, s2, s0
	s_mul_i32 s2, s0, s17
	s_sub_i32 s1, s1, s2
	s_ashr_i32 s2, s1, 31
	v_readlane_b32 s3, v255, 18
	s_abs_i32 s1, s1
	s_xor_b32 s2, s2, s3
	s_mul_hi_u32 s3, s1, s54
	s_mul_i32 s6, s3, s55
	s_sub_i32 s1, s1, s6
	s_add_i32 s6, s3, 1
	s_sub_i32 s7, s1, s55
	s_cmp_ge_u32 s1, s55
	s_cselect_b32 s3, s6, s3
	s_cselect_b32 s1, s7, s1
	s_add_i32 s6, s3, 1
	s_cmp_ge_u32 s1, s55
	s_cselect_b32 s1, s6, s3
	s_abs_i32 s6, s44
	v_cvt_f32_u32_e32 v1, s6
	s_xor_b32 s1, s1, s2
	s_sub_i32 s1, s1, s2
	s_cmp_eq_u64 s[18:19], 0
	v_rcp_iflag_f32_e32 v1, v1
	v_mul_f32_e32 v1, 0x4f7ffffe, v1
	v_cvt_u32_f32_e32 v1, v1
	v_readfirstlane_b32 s17, v1
	s_cbranch_scc1 .LBB24_362
; %bb.361:
	v_readlane_b32 s2, v255, 0
	s_mul_i32 s2, s4, s2
	s_add_i32 s2, s1, s2
	s_ashr_i32 s3, s2, 31
	s_lshl_b64 s[2:3], s[2:3], 2
	s_add_u32 s2, s18, s2
	s_addc_u32 s3, s19, s3
	v_mov_b32_e32 v1, 0
	global_load_dword v1, v1, s[2:3]
	s_waitcnt vmcnt(0)
	v_ashrrev_i32_e32 v2, 31, v1
	v_lshrrev_b32_e32 v2, 26, v2
	v_add_u32_e32 v1, v1, v2
	v_ashrrev_i32_e32 v1, 6, v1
	v_min_i32_e32 v16, s46, v1
.LBB24_362:
	v_readlane_b32 s18, v255, 6
	v_readlane_b32 s19, v255, 7
	s_mul_i32 s2, s5, s33
	s_lshl_b32 s0, s0, 2
	s_mul_i32 s3, s4, s19
	s_add_i32 s2, s0, s2
	s_ashr_i32 s7, s3, 31
	s_add_u32 s3, s8, s3
	s_mul_i32 s2, s2, s18
	s_addc_u32 s8, s9, s7
	s_ashr_i32 s9, s2, 31
	s_add_u32 s7, s3, s2
	s_addc_u32 s8, s8, s9
	s_lshl_b32 s16, s1, 4
	v_or_b32_e32 v1, s0, v30
	v_and_b32_e32 v50, 0x3ff, v0
	v_add_u32_e32 v0, s16, v94
	v_cmp_gt_i32_e64 s[0:1], s33, v1
	v_cmp_le_i32_e32 vcc, s24, v0
	s_xor_b64 s[0:1], s[0:1], -1
	s_or_b64 s[2:3], vcc, s[0:1]
	s_and_saveexec_b64 s[18:19], s[2:3]
	s_xor_b64 s[2:3], exec, s[18:19]
	s_cbranch_execz .LBB24_364
; %bb.363:
	s_movk_i32 s9, 0x44
	v_mad_u32_u24 v0, v92, s9, v50
	v_lshl_add_u32 v0, v0, 2, 0
	v_mov_b32_e32 v1, 0
	ds_write_b32 v0, v1
                                        ; implicit-def: $vgpr0
.LBB24_364:
	s_or_saveexec_b64 s[2:3], s[2:3]
	v_readlane_b32 s25, v255, 19
	s_xor_b64 exec, exec, s[2:3]
	s_cbranch_execz .LBB24_366
; %bb.365:
	v_mul_lo_u32 v0, v0, s51
	v_mul_lo_u32 v1, v30, s25
	v_add3_u32 v0, v1, v50, v0
	v_ashrrev_i32_e32 v1, 31, v0
	v_lshlrev_b64 v[0:1], 3, v[0:1]
	v_mov_b32_e32 v2, s8
	v_add_co_u32_e32 v0, vcc, s7, v0
	v_addc_co_u32_e32 v1, vcc, v2, v1, vcc
	global_load_dwordx2 v[0:1], v[0:1], off
	s_movk_i32 s9, 0x44
	v_mad_u32_u24 v2, v92, s9, v50
	s_waitcnt vmcnt(0)
	v_cvt_f16_f32_e32 v0, v0
	v_cvt_f16_f32_e32 v1, v1
	v_pack_b32_f16 v0, v0, v1
	v_pk_mul_f16 v0, v93, v0
	v_lshl_add_u32 v1, v2, 2, 0
	ds_write_b32 v1, v0
.LBB24_366:
	s_or_b64 exec, exec, s[2:3]
	v_lshrrev_b32_e32 v0, 2, v91
	v_add_u32_e32 v0, s16, v0
	v_cmp_le_i32_e32 vcc, s24, v0
	s_or_b64 s[2:3], vcc, s[0:1]
	s_and_saveexec_b64 s[18:19], s[2:3]
	s_xor_b64 s[2:3], exec, s[18:19]
	s_cbranch_execz .LBB24_368
; %bb.367:
	s_movk_i32 s9, 0x44
	v_mad_u32_u24 v0, v91, s9, v50
	v_lshl_add_u32 v0, v0, 2, 0
	v_mov_b32_e32 v1, 0
	ds_write_b32 v0, v1
                                        ; implicit-def: $vgpr0
.LBB24_368:
	s_andn2_saveexec_b64 s[2:3], s[2:3]
	s_cbranch_execz .LBB24_370
; %bb.369:
	v_mul_lo_u32 v0, v0, s51
	v_mul_lo_u32 v1, v30, s25
	v_add3_u32 v0, v1, v50, v0
	v_ashrrev_i32_e32 v1, 31, v0
	v_lshlrev_b64 v[0:1], 3, v[0:1]
	v_mov_b32_e32 v2, s8
	v_add_co_u32_e32 v0, vcc, s7, v0
	v_addc_co_u32_e32 v1, vcc, v2, v1, vcc
	global_load_dwordx2 v[0:1], v[0:1], off
	s_movk_i32 s9, 0x44
	v_mad_u32_u24 v2, v91, s9, v50
	s_waitcnt vmcnt(0)
	v_cvt_f16_f32_e32 v0, v0
	v_cvt_f16_f32_e32 v1, v1
	v_pack_b32_f16 v0, v0, v1
	v_pk_mul_f16 v0, v93, v0
	v_lshl_add_u32 v1, v2, 2, 0
	ds_write_b32 v1, v0
.LBB24_370:
	s_or_b64 exec, exec, s[2:3]
	v_lshrrev_b32_e32 v0, 2, v90
	v_add_u32_e32 v0, s16, v0
	v_cmp_le_i32_e32 vcc, s24, v0
	s_or_b64 s[2:3], vcc, s[0:1]
	s_and_saveexec_b64 s[18:19], s[2:3]
	s_xor_b64 s[2:3], exec, s[18:19]
	s_cbranch_execz .LBB24_372
; %bb.371:
	s_movk_i32 s9, 0x44
	v_mad_u32_u24 v0, v90, s9, v50
	v_lshl_add_u32 v0, v0, 2, 0
	v_mov_b32_e32 v1, 0
	ds_write_b32 v0, v1
                                        ; implicit-def: $vgpr0
.LBB24_372:
	s_andn2_saveexec_b64 s[2:3], s[2:3]
	;; [unrolled: 38-line block ×12, first 2 shown]
	s_cbranch_execz .LBB24_414
; %bb.413:
	v_mul_lo_u32 v0, v0, s51
	v_mul_lo_u32 v1, v30, s25
	v_add3_u32 v0, v1, v50, v0
	v_ashrrev_i32_e32 v1, 31, v0
	v_lshlrev_b64 v[0:1], 3, v[0:1]
	v_mov_b32_e32 v2, s8
	v_add_co_u32_e32 v0, vcc, s7, v0
	v_addc_co_u32_e32 v1, vcc, v2, v1, vcc
	global_load_dwordx2 v[0:1], v[0:1], off
	s_movk_i32 s9, 0x44
	v_mad_u32_u24 v2, v77, s9, v50
	s_waitcnt vmcnt(0)
	v_cvt_f16_f32_e32 v0, v0
	v_cvt_f16_f32_e32 v1, v1
	v_pack_b32_f16 v0, v0, v1
	v_pk_mul_f16 v0, v93, v0
	v_lshl_add_u32 v1, v2, 2, 0
	ds_write_b32 v1, v0
.LBB24_414:
	s_or_b64 exec, exec, s[2:3]
	v_lshrrev_b32_e32 v0, 2, v75
	v_add_u32_e32 v0, s16, v0
	v_cmp_le_i32_e32 vcc, s24, v0
	s_sub_i32 s9, 0, s6
	s_or_b64 s[2:3], vcc, s[0:1]
	s_and_saveexec_b64 s[18:19], s[2:3]
	s_xor_b64 s[2:3], exec, s[18:19]
	s_cbranch_execz .LBB24_416
; %bb.415:
	s_movk_i32 s18, 0x44
	v_mad_u32_u24 v0, v75, s18, v50
	v_lshl_add_u32 v0, v0, 2, 0
	v_mov_b32_e32 v1, 0
	ds_write_b32 v0, v1
                                        ; implicit-def: $vgpr0
.LBB24_416:
	s_or_saveexec_b64 s[2:3], s[2:3]
	s_mul_i32 s9, s9, s17
	s_xor_b64 exec, exec, s[2:3]
	s_cbranch_execz .LBB24_418
; %bb.417:
	v_mul_lo_u32 v0, v0, s51
	v_mul_lo_u32 v1, v30, s25
	v_add3_u32 v0, v1, v50, v0
	v_ashrrev_i32_e32 v1, 31, v0
	v_lshlrev_b64 v[0:1], 3, v[0:1]
	v_mov_b32_e32 v2, s8
	v_add_co_u32_e32 v0, vcc, s7, v0
	v_addc_co_u32_e32 v1, vcc, v2, v1, vcc
	global_load_dwordx2 v[0:1], v[0:1], off
	s_movk_i32 s18, 0x44
	v_mad_u32_u24 v2, v75, s18, v50
	s_waitcnt vmcnt(0)
	v_cvt_f16_f32_e32 v0, v0
	v_cvt_f16_f32_e32 v1, v1
	v_pack_b32_f16 v0, v0, v1
	v_pk_mul_f16 v0, v93, v0
	v_lshl_add_u32 v1, v2, 2, 0
	ds_write_b32 v1, v0
.LBB24_418:
	s_or_b64 exec, exec, s[2:3]
	v_lshrrev_b32_e32 v0, 2, v73
	v_add_u32_e32 v0, s16, v0
	v_cmp_le_i32_e32 vcc, s24, v0
	s_mul_hi_u32 s9, s17, s9
	s_or_b64 s[2:3], vcc, s[0:1]
	s_and_saveexec_b64 s[18:19], s[2:3]
	s_xor_b64 s[2:3], exec, s[18:19]
	s_cbranch_execz .LBB24_420
; %bb.419:
	s_movk_i32 s18, 0x44
	v_mad_u32_u24 v0, v73, s18, v50
	v_lshl_add_u32 v0, v0, 2, 0
	v_mov_b32_e32 v1, 0
	ds_write_b32 v0, v1
                                        ; implicit-def: $vgpr0
.LBB24_420:
	s_or_saveexec_b64 s[2:3], s[2:3]
	s_abs_i32 s18, s4
	s_add_i32 s17, s17, s9
	s_xor_b64 exec, exec, s[2:3]
	s_cbranch_execz .LBB24_422
; %bb.421:
	v_mul_lo_u32 v0, v0, s51
	v_mul_lo_u32 v1, v30, s25
	v_add3_u32 v0, v1, v50, v0
	v_ashrrev_i32_e32 v1, 31, v0
	v_lshlrev_b64 v[0:1], 3, v[0:1]
	v_mov_b32_e32 v2, s8
	v_add_co_u32_e32 v0, vcc, s7, v0
	v_addc_co_u32_e32 v1, vcc, v2, v1, vcc
	global_load_dwordx2 v[0:1], v[0:1], off
	s_movk_i32 s9, 0x44
	v_mad_u32_u24 v2, v73, s9, v50
	s_waitcnt vmcnt(0)
	v_cvt_f16_f32_e32 v0, v0
	v_cvt_f16_f32_e32 v1, v1
	v_pack_b32_f16 v0, v0, v1
	v_pk_mul_f16 v0, v93, v0
	v_lshl_add_u32 v1, v2, 2, 0
	ds_write_b32 v1, v0
.LBB24_422:
	s_or_b64 exec, exec, s[2:3]
	v_lshrrev_b32_e32 v0, 2, v71
	v_add_u32_e32 v0, s16, v0
	v_cmp_le_i32_e32 vcc, s24, v0
	s_mul_hi_u32 s2, s18, s17
	s_or_b64 s[0:1], vcc, s[0:1]
	s_and_saveexec_b64 s[20:21], s[0:1]
	s_xor_b64 s[0:1], exec, s[20:21]
	s_cbranch_execz .LBB24_424
; %bb.423:
	s_movk_i32 s3, 0x44
	v_mad_u32_u24 v0, v71, s3, v50
	v_lshl_add_u32 v0, v0, 2, 0
	v_mov_b32_e32 v1, 0
	ds_write_b32 v0, v1
                                        ; implicit-def: $vgpr0
                                        ; implicit-def: $vgpr30
                                        ; implicit-def: $vgpr93
.LBB24_424:
	s_or_saveexec_b64 s[0:1], s[0:1]
	s_ashr_i32 s3, s4, 31
	s_xor_b64 exec, exec, s[0:1]
	s_cbranch_execz .LBB24_426
; %bb.425:
	v_mul_lo_u32 v0, v0, s51
	v_mul_lo_u32 v1, v30, s25
	v_add3_u32 v0, v1, v50, v0
	v_ashrrev_i32_e32 v1, 31, v0
	v_lshlrev_b64 v[0:1], 3, v[0:1]
	v_mov_b32_e32 v2, s8
	v_add_co_u32_e32 v0, vcc, s7, v0
	v_addc_co_u32_e32 v1, vcc, v2, v1, vcc
	global_load_dwordx2 v[0:1], v[0:1], off
	s_movk_i32 s7, 0x44
	v_mad_u32_u24 v2, v71, s7, v50
	s_waitcnt vmcnt(0)
	v_cvt_f16_f32_e32 v0, v0
	v_cvt_f16_f32_e32 v1, v1
	v_pack_b32_f16 v0, v0, v1
	v_pk_mul_f16 v0, v93, v0
	v_lshl_add_u32 v1, v2, 2, 0
	ds_write_b32 v1, v0
.LBB24_426:
	s_or_b64 exec, exec, s[0:1]
	s_mul_i32 s0, s4, s29
	s_mul_hi_u32 s1, s4, s28
	s_add_i32 s0, s1, s0
	s_mul_i32 s1, s3, s28
	v_readlane_b32 s8, v255, 16
	s_add_i32 s0, s0, s1
	s_mul_i32 s1, s4, s28
	v_readlane_b32 s9, v255, 17
	s_add_u32 s1, s10, s1
	s_mul_i32 s7, s5, s9
	s_addc_u32 s0, s11, s0
	s_ashr_i32 s9, s7, 31
	s_add_u32 s8, s1, s7
	s_mul_i32 s2, s2, s6
	s_addc_u32 s9, s0, s9
	s_sub_i32 s0, s18, s2
	s_sub_i32 s1, s0, s6
	s_cmp_ge_u32 s0, s6
	s_cselect_b32 s0, s1, s0
	s_sub_i32 s1, s0, s6
	s_cmp_ge_u32 s0, s6
	s_cselect_b32 s0, s1, s0
	s_xor_b32 s0, s0, s3
	v_readlane_b32 s10, v255, 14
	s_sub_i32 s0, s0, s3
	v_readlane_b32 s11, v255, 15
	s_ashr_i32 s1, s0, 31
	s_mul_i32 s2, s0, s11
	s_mul_hi_u32 s6, s0, s10
	s_add_i32 s2, s6, s2
	s_mul_i32 s1, s1, s10
	v_readlane_b32 s6, v255, 12
	s_add_i32 s2, s2, s1
	s_mul_i32 s0, s0, s10
	v_readlane_b32 s7, v255, 13
	s_add_u32 s10, s14, s0
	s_mul_i32 s0, s4, s7
	s_mul_hi_u32 s1, s4, s6
	s_addc_u32 s11, s15, s2
	s_add_i32 s0, s1, s0
	s_mul_i32 s3, s3, s6
	s_add_i32 s0, s0, s3
	s_mul_i32 s4, s4, s6
	s_add_u32 s1, s12, s4
	s_mul_i32 s5, s5, s31
	s_addc_u32 s0, s13, s0
	s_ashr_i32 s2, s5, 31
	s_add_u32 s6, s1, s5
	v_lshrrev_b32_e32 v17, 3, v50
	s_addc_u32 s7, s0, s2
	s_movk_i32 s0, 0x1100
	v_and_b32_e32 v51, 15, v50
	v_and_b32_e32 v52, 0x7e, v17
	v_mad_u32_u24 v0, v92, s0, 0
	v_mul_u32_u24_e32 v60, 0x110, v51
	v_lshlrev_b32_e32 v61, 2, v52
	v_add3_u32 v0, v0, v60, v61
	s_waitcnt lgkmcnt(0)
	s_barrier
	ds_read2_b64 v[12:15], v0 offset1:4
	ds_read2_b64 v[8:11], v0 offset0:8 offset1:12
	ds_read2_b64 v[4:7], v0 offset0:16 offset1:20
	;; [unrolled: 1-line block ×3, first 2 shown]
	v_add_u32_e32 v98, -1, v16
	v_cmp_lt_i32_e32 vcc, s34, v98
	v_lshlrev_b32_e32 v16, 1, v50
	s_mov_b32 s12, 0
	s_movk_i32 s0, 0x110
	v_and_b32_e32 v18, 62, v16
	v_mov_b32_e32 v37, 0
	s_waitcnt lgkmcnt(0)
	s_barrier
	s_cbranch_vccnz .LBB24_428
; %bb.427:
	v_lshrrev_b32_e32 v16, 5, v50
	v_lshl_add_u32 v16, v92, 1, v16
	v_add_u32_e32 v19, s16, v16
	v_mul_hi_u32 v20, s42, v19
	v_add_u32_e32 v20, v19, v20
	v_lshrrev_b32_e32 v20, s43, v20
	v_mul_lo_u32 v20, v20, s24
	v_sub_u32_e32 v20, v19, v20
	v_add_u32_e32 v19, 8, v19
	v_mad_i64_i32 v[38:39], s[2:3], v20, s40, 0
	v_mul_hi_u32 v20, s42, v19
	v_add_u32_e32 v20, v19, v20
	v_lshrrev_b32_e32 v20, s43, v20
	v_mul_lo_u32 v20, v20, s24
	s_movk_i32 s1, 0x90
	v_sub_u32_e32 v19, v19, v20
	v_mov_b32_e32 v20, 0x480
	v_mul_u32_u24_e32 v65, 0x90, v16
	v_mad_u32_u24 v66, v16, s1, v20
	v_mad_i64_i32 v[40:41], s[2:3], v19, s40, 0
	v_lshrrev_b32_e32 v16, 4, v50
	v_lshlrev_b32_e32 v19, 2, v50
	v_lshl_add_u32 v16, v92, 2, v16
	v_and_b32_e32 v36, 60, v19
	v_mov_b32_e32 v19, 0x1100
	v_mad_u32_u24 v78, v16, s0, v19
	v_mov_b32_e32 v19, 0x2200
	v_mad_u32_u24 v96, v16, s0, v19
	v_mov_b32_e32 v19, 0x3300
	v_lshlrev_b32_e32 v53, 4, v92
	v_mad_u32_u24 v97, v16, s0, v19
	v_lshrrev_b32_e32 v19, 2, v50
	v_and_or_b32 v21, v50, 12, v53
	v_and_b32_e32 v20, 0xfc, v19
	v_lshrrev_b32_e32 v21, 2, v21
	v_mul_u32_u24_e32 v68, 0x90, v21
	v_add_u32_e32 v21, 16, v20
	v_lshrrev_b32_e32 v72, 1, v21
	v_add_u32_e32 v21, 18, v20
	v_lshrrev_b32_e32 v74, 1, v21
	;; [unrolled: 2-line block ×4, first 2 shown]
	v_add_u32_e32 v21, 48, v20
	v_mul_lo_u32 v42, s36, v16
	s_lshl_b32 s1, s36, 4
	v_lshrrev_b32_e32 v94, 1, v21
	v_add_u32_e32 v21, 50, v20
	v_mul_lo_u32 v28, s26, v16
	s_lshl_b32 s0, s26, 4
	v_add_u32_e32 v44, s1, v42
	v_lshrrev_b32_e32 v95, 1, v21
	v_mbcnt_lo_u32_b32 v21, -1, 0
	v_add_u32_e32 v30, s0, v28
	v_mul_u32_u24_e32 v67, 0x110, v16
	v_add_u32_e32 v46, s1, v44
	v_mbcnt_hi_u32_b32 v62, -1, v21
	v_add_u32_e32 v32, s0, v30
	v_mul_u32_u24_e32 v16, 0x88, v20
	v_add_u32_e32 v48, s1, v46
	v_and_b32_e32 v21, 64, v62
	v_add_u32_e32 v34, s0, v32
	v_or_b32_e32 v56, v16, v51
	v_or_b32_e32 v16, 3, v19
	s_ashr_i32 s3, s36, 31
	v_ashrrev_i32_e32 v43, 31, v42
	v_ashrrev_i32_e32 v45, 31, v44
	;; [unrolled: 1-line block ×4, first 2 shown]
	v_lshrrev_b32_e32 v69, 1, v20
	v_or_b32_e32 v70, 1, v17
	v_add_u32_e32 v63, 64, v21
	v_xor_b32_e32 v93, 32, v62
	v_xor_b32_e32 v64, 16, v62
	s_ashr_i32 s1, s26, 31
	v_ashrrev_i32_e32 v29, 31, v28
	v_ashrrev_i32_e32 v31, 31, v30
	;; [unrolled: 1-line block ×4, first 2 shown]
	v_mul_u32_u24_e32 v57, 0x110, v20
	v_add_u32_e32 v58, 0x110, v56
	v_mul_u32_u24_e32 v59, 0x110, v16
	s_mov_b64 s[4:5], 0
	s_mov_b32 s13, 0xfeffffff
	s_branch .LBB24_429
.LBB24_428:
	s_mov_b64 s[4:5], -1
                                        ; implicit-def: $sgpr12
                                        ; implicit-def: $sgpr13
                                        ; implicit-def: $vgpr65
                                        ; implicit-def: $vgpr38_vgpr39
                                        ; implicit-def: $vgpr66
                                        ; implicit-def: $vgpr40_vgpr41
                                        ; implicit-def: $vgpr67
                                        ; implicit-def: $vgpr36
                                        ; implicit-def: $vgpr42_vgpr43
                                        ; implicit-def: $vgpr78
                                        ; implicit-def: $vgpr44_vgpr45
                                        ; implicit-def: $vgpr96
                                        ; implicit-def: $vgpr46_vgpr47
                                        ; implicit-def: $vgpr97
                                        ; implicit-def: $vgpr48_vgpr49
                                        ; implicit-def: $vgpr53
                                        ; implicit-def: $vgpr68
                                        ; implicit-def: $vgpr69
                                        ; implicit-def: $vgpr70
                                        ; implicit-def: $vgpr72
                                        ; implicit-def: $vgpr74
                                        ; implicit-def: $vgpr76
                                        ; implicit-def: $vgpr80
                                        ; implicit-def: $vgpr94
                                        ; implicit-def: $vgpr95
                                        ; implicit-def: $vgpr62
                                        ; implicit-def: $vgpr63
                                        ; implicit-def: $vgpr93
                                        ; implicit-def: $vgpr64
                                        ; implicit-def: $vgpr28_vgpr29
                                        ; implicit-def: $vgpr30_vgpr31
                                        ; implicit-def: $vgpr32_vgpr33
                                        ; implicit-def: $vgpr34_vgpr35
                                        ; implicit-def: $vgpr56
                                        ; implicit-def: $vgpr57
                                        ; implicit-def: $vgpr58
                                        ; implicit-def: $vgpr59
                                        ; implicit-def: $sgpr2_sgpr3
                                        ; implicit-def: $sgpr0_sgpr1
.LBB24_429:
	s_andn2_b64 vcc, exec, s[4:5]
	v_mov_b32_e32 v164, s12
	v_mov_b32_e32 v55, s12
	;; [unrolled: 1-line block ×3, first 2 shown]
	v_lshlrev_b32_e32 v99, 1, v18
	v_lshlrev_b32_e32 v54, 1, v51
	v_mov_b32_e32 v165, s12
	v_mov_b32_e32 v100, s12
	;; [unrolled: 1-line block ×15, first 2 shown]
	s_cbranch_vccnz .LBB24_432
; %bb.430:
	v_mov_b32_e32 v16, s11
	v_add_co_u32_e32 v113, vcc, s10, v99
	v_addc_co_u32_e32 v114, vcc, 0, v16, vcc
	v_lshrrev_b32_e32 v16, 5, v50
	v_lshl_add_u32 v16, v92, 1, v16
	v_add_u32_e32 v19, s16, v16
	v_mul_hi_u32 v20, s42, v19
	v_add_u32_e32 v20, v19, v20
	v_lshrrev_b32_e32 v20, s43, v20
	v_mul_lo_u32 v20, v20, s24
	v_sub_u32_e32 v20, v19, v20
	v_add_u32_e32 v19, 8, v19
	v_mad_i64_i32 v[38:39], s[0:1], v20, s40, 0
	v_mul_hi_u32 v20, s42, v19
	v_add_u32_e32 v20, v19, v20
	v_lshrrev_b32_e32 v20, s43, v20
	v_mul_lo_u32 v20, v20, s24
	s_movk_i32 s2, 0x90
	v_sub_u32_e32 v19, v19, v20
	v_mov_b32_e32 v20, 0x480
	v_mul_u32_u24_e32 v65, 0x90, v16
	v_mad_u32_u24 v66, v16, s2, v20
	v_mad_i64_i32 v[40:41], s[0:1], v19, s40, 0
	v_lshrrev_b32_e32 v16, 4, v50
	v_lshlrev_b32_e32 v19, 2, v50
	v_lshl_add_u32 v16, v92, 2, v16
	v_and_b32_e32 v36, 60, v19
	v_mul_u32_u24_e32 v67, 0x110, v16
	v_lshlrev_b32_e32 v19, 2, v36
	s_movk_i32 s0, 0x110
	v_add3_u32 v115, 0, v67, v19
	v_mov_b32_e32 v19, 0x1100
	v_mad_u32_u24 v78, v16, s0, v19
	v_mov_b32_e32 v19, 0x2200
	v_mad_u32_u24 v96, v16, s0, v19
	;; [unrolled: 2-line block ×3, first 2 shown]
	v_lshrrev_b32_e32 v19, 2, v50
	v_and_b32_e32 v20, 0xfc, v19
	v_mul_lo_u32 v28, s26, v16
	s_lshl_b32 s0, s26, 4
	v_mul_lo_u32 v42, s36, v16
	v_add_u32_e32 v30, s0, v28
	v_mul_u32_u24_e32 v16, 0x88, v20
	v_add_u32_e32 v32, s0, v30
	v_or_b32_e32 v56, v16, v51
	v_or_b32_e32 v16, 3, v19
	v_add_u32_e32 v34, s0, v32
	v_mul_u32_u24_e32 v59, 0x110, v16
	v_lshlrev_b32_e32 v16, 1, v56
	s_add_i32 s0, 0, 0x1100
	v_add_u32_e32 v127, s0, v16
	s_add_i32 s0, 0, 0x2200
	v_add_u32_e32 v128, s0, v16
	;; [unrolled: 2-line block ×16, first 2 shown]
	s_add_i32 s0, 0, 0x3380
	v_lshlrev_b32_e32 v53, 4, v92
	v_add_u32_e32 v145, s0, v16
	s_add_i32 s0, 0, 0xa0
	v_and_or_b32 v21, v50, 12, v53
	v_add_u32_e32 v146, s0, v16
	s_add_i32 s0, 0, 0x11a0
	v_lshrrev_b32_e32 v21, 2, v21
	v_add_u32_e32 v22, 18, v20
	v_add_u32_e32 v23, 34, v20
	;; [unrolled: 1-line block ×3, first 2 shown]
	s_add_i32 s0, 0, 0x22a0
	v_mul_u32_u24_e32 v68, 0x90, v21
	v_mad_u32_u24 v21, v21, s2, 0
	v_or_b32_e32 v70, 1, v17
	v_add_u32_e32 v17, 16, v20
	v_lshrrev_b32_e32 v74, 1, v22
	v_add_u32_e32 v22, 32, v20
	v_lshrrev_b32_e32 v80, 1, v23
	v_add_u32_e32 v23, 48, v20
	v_add_u32_e32 v148, s0, v16
	s_add_i32 s0, 0, 0x33a0
	v_lshl_add_u32 v120, v20, 1, v21
	v_lshl_add_u32 v121, v70, 2, v21
	v_lshrrev_b32_e32 v72, 1, v17
	v_lshl_add_u32 v17, v17, 1, v21
	v_lshrrev_b32_e32 v76, 1, v22
	;; [unrolled: 2-line block ×3, first 2 shown]
	v_lshl_add_u32 v21, v23, 1, v21
	v_add_u32_e32 v23, 50, v20
	v_add_u32_e32 v149, s0, v16
	s_add_i32 s0, 0, 0xc0
	v_lshrrev_b32_e32 v95, 1, v23
	v_mbcnt_lo_u32_b32 v23, -1, 0
	v_add_u32_e32 v150, s0, v16
	s_add_i32 s0, 0, 0x11c0
	v_mbcnt_hi_u32_b32 v62, -1, v23
	v_add_u32_e32 v151, s0, v16
	s_add_i32 s0, 0, 0x22c0
	v_and_b32_e32 v23, 64, v62
	v_add_u32_e32 v152, s0, v16
	s_add_i32 s0, 0, 0x33c0
	s_lshl_b32 s1, s36, 4
	v_add_u32_e32 v63, 64, v23
	v_xor_b32_e32 v93, 32, v62
	v_add_u32_e32 v153, s0, v16
	s_add_i32 s0, 0, 0xe0
	v_add_u32_e32 v44, s1, v42
	v_cmp_lt_i32_e32 vcc, v93, v63
	v_xor_b32_e32 v64, 16, v62
	v_add_u32_e32 v154, s0, v16
	s_add_i32 s0, 0, 0x11e0
	v_add_u32_e32 v46, s1, v44
	v_cndmask_b32_e32 v23, v62, v93, vcc
	v_cmp_lt_i32_e32 vcc, v64, v63
	v_add_u32_e32 v155, s0, v16
	s_add_i32 s0, 0, 0x22e0
	v_add_u32_e32 v18, 0, v99
	v_mov_b32_e32 v37, 0
	v_add_u32_e32 v48, s1, v46
	v_lshlrev_b32_e32 v122, 2, v23
	v_cndmask_b32_e32 v23, v62, v64, vcc
	v_mul_u32_u24_e32 v57, 0x110, v20
	v_add_u32_e32 v156, s0, v16
	s_add_i32 s0, 0, 0x33e0
	s_ashr_i32 s3, s36, 31
	v_ashrrev_i32_e32 v43, 31, v42
	v_add_u32_e32 v116, 0x1100, v115
	v_ashrrev_i32_e32 v45, 31, v44
	v_add_u32_e32 v117, 0x2200, v115
	;; [unrolled: 2-line block ×3, first 2 shown]
	v_ashrrev_i32_e32 v49, 31, v48
	v_add3_u32 v119, 0, v60, v61
	v_lshrrev_b32_e32 v69, 1, v20
	v_lshlrev_b32_e32 v123, 2, v23
	s_ashr_i32 s1, s26, 31
	v_ashrrev_i32_e32 v29, 31, v28
	v_ashrrev_i32_e32 v31, 31, v30
	;; [unrolled: 1-line block ×4, first 2 shown]
	v_add_u32_e32 v58, 0x110, v56
	v_add_u32_e32 v124, 0, v16
	v_add3_u32 v125, 0, v57, v54
	v_add3_u32 v126, 0, v59, v54
	;; [unrolled: 1-line block ×4, first 2 shown]
	v_add_u32_e32 v157, s0, v16
	s_lshl_b32 s4, s34, 6
	v_mov_b32_e32 v16, 0xfeffffff
	v_add_u32_e32 v158, v18, v65
	v_lshlrev_b32_e32 v159, 2, v36
	v_add_u32_e32 v160, 0x4400, v17
	v_add_u32_e32 v161, 0x4400, v22
	;; [unrolled: 1-line block ×3, first 2 shown]
	s_mov_b32 s0, 0x3fb8aa3b
	s_mov_b32 s2, 0xc2ce8ed0
	;; [unrolled: 1-line block ×5, first 2 shown]
	v_mov_b32_e32 v163, 0x7f800000
	v_mov_b32_e32 v55, v37
	v_mov_b32_e32 v112, v37
	v_mov_b32_e32 v111, v37
	v_mov_b32_e32 v110, v37
	v_mov_b32_e32 v109, v37
	v_mov_b32_e32 v108, v37
	v_mov_b32_e32 v107, v37
	v_mov_b32_e32 v106, v37
	v_mov_b32_e32 v105, v37
	v_mov_b32_e32 v104, v37
	v_mov_b32_e32 v103, v37
	v_mov_b32_e32 v102, v37
	v_mov_b32_e32 v101, v37
	v_mov_b32_e32 v166, v37
	v_mov_b32_e32 v100, v37
	v_mov_b32_e32 v165, v37
	v_mov_b32_e32 v164, v37
.LBB24_431:                             ; =>This Inner Loop Header: Depth=1
	s_ashr_i32 s5, s4, 31
	s_lshl_b64 s[16:17], s[4:5], 1
	v_mov_b32_e32 v168, v16
	s_nop 0
	v_add_co_u32_e32 v18, vcc, s16, v113
	v_mov_b32_e32 v16, s17
	v_addc_co_u32_e32 v19, vcc, v114, v16, vcc
	v_lshlrev_b64 v[16:17], 1, v[38:39]
	v_add_co_u32_e32 v16, vcc, v18, v16
	v_addc_co_u32_e32 v17, vcc, v19, v17, vcc
	global_load_dword v16, v[16:17], off
	s_mul_hi_i32 s17, s4, s36
	s_mul_i32 s16, s4, s36
	s_lshl_b64 s[16:17], s[16:17], 2
	s_add_u32 s5, s8, s16
	s_addc_u32 s15, s9, s17
	v_mov_b32_e32 v167, v55
	v_add_u32_e32 v55, 0x1000, v119
	s_mul_hi_i32 s17, s4, s26
	s_mul_i32 s16, s4, s26
	s_lshl_b64 s[16:17], s[16:17], 2
	s_waitcnt vmcnt(0)
	ds_write_b32 v158, v16 offset:17408
	v_lshlrev_b64 v[16:17], 1, v[40:41]
	v_add_co_u32_e32 v16, vcc, v18, v16
	v_addc_co_u32_e32 v17, vcc, v19, v17, vcc
	global_load_dword v16, v[16:17], off
	v_mov_b32_e32 v18, s15
	s_waitcnt vmcnt(0)
	ds_write_b32 v158, v16 offset:18560
	v_lshlrev_b64 v[16:17], 2, v[42:43]
	v_add_co_u32_e32 v16, vcc, s5, v16
	v_addc_co_u32_e32 v17, vcc, v18, v17, vcc
	v_add_co_u32_e32 v16, vcc, v16, v159
	v_addc_co_u32_e32 v17, vcc, 0, v17, vcc
	global_load_dwordx4 v[16:19], v[16:17], off
	s_waitcnt vmcnt(0)
	ds_write_b128 v115, v[16:19]
	v_lshlrev_b64 v[16:17], 2, v[44:45]
	v_add_co_u32_e32 v16, vcc, s5, v16
	v_mov_b32_e32 v18, s15
	v_addc_co_u32_e32 v17, vcc, v18, v17, vcc
	v_add_co_u32_e32 v16, vcc, v16, v159
	v_addc_co_u32_e32 v17, vcc, 0, v17, vcc
	global_load_dwordx4 v[16:19], v[16:17], off
	s_waitcnt vmcnt(0)
	ds_write_b128 v116, v[16:19]
	v_lshlrev_b64 v[16:17], 2, v[46:47]
	v_add_co_u32_e32 v16, vcc, s5, v16
	v_mov_b32_e32 v18, s15
	v_addc_co_u32_e32 v17, vcc, v18, v17, vcc
	v_add_co_u32_e32 v16, vcc, v16, v159
	v_addc_co_u32_e32 v17, vcc, 0, v17, vcc
	global_load_dwordx4 v[16:19], v[16:17], off
	s_waitcnt vmcnt(0)
	ds_write_b128 v117, v[16:19]
	v_lshlrev_b64 v[16:17], 2, v[48:49]
	v_add_co_u32_e32 v16, vcc, s5, v16
	v_mov_b32_e32 v18, s15
	v_addc_co_u32_e32 v17, vcc, v18, v17, vcc
	v_add_co_u32_e32 v16, vcc, v16, v159
	v_addc_co_u32_e32 v17, vcc, 0, v17, vcc
	global_load_dwordx4 v[16:19], v[16:17], off
	s_add_u32 s5, s6, s16
	s_addc_u32 s15, s7, s17
	s_add_i32 s34, s34, 1
	s_add_i32 s4, s4, 64
	s_waitcnt vmcnt(0)
	ds_write_b128 v118, v[16:19]
	s_waitcnt lgkmcnt(0)
	s_barrier
	ds_read2_b64 v[16:19], v119 offset1:4
	s_waitcnt lgkmcnt(0)
	v_mfma_f32_16x16x16f16 v[20:23], v[16:17], v[12:13], 0
	v_mfma_f32_16x16x16f16 v[16:19], v[18:19], v[14:15], v[20:23]
	s_nop 7
	s_nop 1
	ds_read2_b64 v[20:23], v119 offset0:8 offset1:12
	s_waitcnt lgkmcnt(0)
	v_mfma_f32_16x16x16f16 v[16:19], v[20:21], v[8:9], v[16:19]
	v_mfma_f32_16x16x16f16 v[16:19], v[22:23], v[10:11], v[16:19]
	ds_read2_b64 v[20:23], v119 offset0:16 offset1:20
	s_waitcnt lgkmcnt(0)
	v_mfma_f32_16x16x16f16 v[16:19], v[20:21], v[4:5], v[16:19]
	v_mfma_f32_16x16x16f16 v[16:19], v[22:23], v[6:7], v[16:19]
	;; [unrolled: 4-line block ×4, first 2 shown]
	s_nop 7
	s_nop 1
	ds_read2_b64 v[24:27], v55 offset0:40 offset1:44
	s_waitcnt lgkmcnt(0)
	v_mfma_f32_16x16x16f16 v[20:23], v[24:25], v[8:9], v[20:23]
	v_mfma_f32_16x16x16f16 v[20:23], v[26:27], v[10:11], v[20:23]
	ds_read2_b64 v[24:27], v55 offset0:48 offset1:52
	s_waitcnt lgkmcnt(0)
	v_mfma_f32_16x16x16f16 v[20:23], v[24:25], v[4:5], v[20:23]
	v_mfma_f32_16x16x16f16 v[20:23], v[26:27], v[6:7], v[20:23]
	ds_read2_b64 v[24:27], v55 offset0:56 offset1:60
	v_add_u32_e32 v55, 0x2000, v119
	s_waitcnt lgkmcnt(0)
	v_mfma_f32_16x16x16f16 v[20:23], v[24:25], v[0:1], v[20:23]
	v_mfma_f32_16x16x16f16 v[20:23], v[26:27], v[2:3], v[20:23]
	ds_read2_b64 v[24:27], v55 offset0:64 offset1:68
	s_waitcnt lgkmcnt(0)
	v_mfma_f32_16x16x16f16 v[170:173], v[24:25], v[12:13], 0
	v_mfma_f32_16x16x16f16 v[24:27], v[26:27], v[14:15], v[170:173]
	s_nop 7
	s_nop 1
	ds_read2_b64 v[170:173], v55 offset0:72 offset1:76
	s_waitcnt lgkmcnt(0)
	v_mfma_f32_16x16x16f16 v[24:27], v[170:171], v[8:9], v[24:27]
	v_mfma_f32_16x16x16f16 v[24:27], v[172:173], v[10:11], v[24:27]
	ds_read2_b64 v[170:173], v55 offset0:80 offset1:84
	s_waitcnt lgkmcnt(0)
	v_mfma_f32_16x16x16f16 v[24:27], v[170:171], v[4:5], v[24:27]
	v_mfma_f32_16x16x16f16 v[24:27], v[172:173], v[6:7], v[24:27]
	ds_read2_b64 v[170:173], v55 offset0:88 offset1:92
	v_add_u32_e32 v55, 0x3000, v119
	s_waitcnt lgkmcnt(0)
	v_mfma_f32_16x16x16f16 v[24:27], v[170:171], v[0:1], v[24:27]
	v_mfma_f32_16x16x16f16 v[24:27], v[172:173], v[2:3], v[24:27]
	ds_read2_b64 v[170:173], v55 offset0:96 offset1:100
	s_waitcnt lgkmcnt(0)
	v_mfma_f32_16x16x16f16 v[174:177], v[170:171], v[12:13], 0
	v_mfma_f32_16x16x16f16 v[170:173], v[172:173], v[14:15], v[174:177]
	s_nop 7
	s_nop 1
	ds_read2_b64 v[174:177], v55 offset0:104 offset1:108
	s_waitcnt lgkmcnt(0)
	v_mfma_f32_16x16x16f16 v[170:173], v[174:175], v[8:9], v[170:173]
	v_mfma_f32_16x16x16f16 v[170:173], v[176:177], v[10:11], v[170:173]
	ds_read2_b64 v[174:177], v55 offset0:112 offset1:116
	s_waitcnt lgkmcnt(0)
	v_mfma_f32_16x16x16f16 v[170:173], v[174:175], v[4:5], v[170:173]
	v_mfma_f32_16x16x16f16 v[170:173], v[176:177], v[6:7], v[170:173]
	ds_read2_b64 v[174:177], v55 offset0:120 offset1:124
	s_waitcnt lgkmcnt(0)
	s_barrier
	v_mfma_f32_16x16x16f16 v[170:173], v[174:175], v[0:1], v[170:173]
	v_mfma_f32_16x16x16f16 v[170:173], v[176:177], v[2:3], v[170:173]
	ds_read_b32 v55, v120 offset:17408
	ds_read_b32 v169, v121 offset:17408
	ds_read2_b32 v[174:175], v160 offset1:1
	ds_read2_b32 v[176:177], v161 offset1:1
	;; [unrolled: 1-line block ×3, first 2 shown]
	s_waitcnt lgkmcnt(0)
	v_cvt_f32_f16_e32 v180, v179
	v_cvt_f32_f16_sdwa v181, v179 dst_sel:DWORD dst_unused:UNUSED_PAD src0_sel:WORD_1
	v_cvt_f32_f16_sdwa v179, v177 dst_sel:DWORD dst_unused:UNUSED_PAD src0_sel:WORD_1
	s_nop 1
	v_pk_add_f32 v[172:173], v[172:173], v[180:181]
	v_cvt_f32_f16_e32 v180, v178
	v_cvt_f32_f16_sdwa v181, v178 dst_sel:DWORD dst_unused:UNUSED_PAD src0_sel:WORD_1
	v_cvt_f32_f16_e32 v178, v177
	v_cvt_f32_f16_sdwa v177, v175 dst_sel:DWORD dst_unused:UNUSED_PAD src0_sel:WORD_1
	v_add_f32_e32 v182, 0x40051340, v172
	v_pk_add_f32 v[170:171], v[170:171], v[180:181]
	v_pk_add_f32 v[26:27], v[26:27], v[178:179]
	v_cvt_f32_f16_e32 v178, v176
	v_cvt_f32_f16_sdwa v179, v176 dst_sel:DWORD dst_unused:UNUSED_PAD src0_sel:WORD_1
	v_cvt_f32_f16_e32 v176, v175
	v_cvt_f32_f16_sdwa v175, v169 dst_sel:DWORD dst_unused:UNUSED_PAD src0_sel:WORD_1
	v_add_f32_e32 v184, 0x40051340, v26
	v_pk_add_f32 v[24:25], v[24:25], v[178:179]
	v_pk_add_f32 v[22:23], v[22:23], v[176:177]
	v_cvt_f32_f16_e32 v176, v174
	v_cvt_f32_f16_sdwa v177, v174 dst_sel:DWORD dst_unused:UNUSED_PAD src0_sel:WORD_1
	v_cvt_f32_f16_e32 v174, v169
	v_add_f32_e32 v186, 0x40051340, v22
	v_add_f32_e32 v187, 0x40051340, v23
	v_pk_add_f32 v[20:21], v[20:21], v[176:177]
	v_pk_add_f32 v[18:19], v[18:19], v[174:175]
	v_cvt_f32_f16_sdwa v175, v55 dst_sel:DWORD dst_unused:UNUSED_PAD src0_sel:WORD_1
	v_cvt_f32_f16_e32 v174, v55
	v_add_f32_e32 v169, 0x40051340, v18
	v_add_f32_e32 v188, 0x40051340, v19
	;; [unrolled: 1-line block ×3, first 2 shown]
	v_pk_add_f32 v[174:175], v[16:17], v[174:175]
	v_add_f32_e32 v16, 0x40051340, v174
	v_add_f32_e32 v17, 0x40051340, v175
	v_max3_f32 v16, v168, v16, v17
	v_add_f32_e32 v177, 0x40051340, v21
	v_max3_f32 v16, v16, v169, v188
	v_max3_f32 v16, v16, v176, v177
	v_add_f32_e32 v178, 0x40051340, v24
	v_add_f32_e32 v179, 0x40051340, v25
	v_max3_f32 v16, v16, v186, v187
	v_add_f32_e32 v185, 0x40051340, v27
	v_max3_f32 v16, v16, v178, v179
	v_add_f32_e32 v180, 0x40051340, v170
	v_add_f32_e32 v181, 0x40051340, v171
	v_max3_f32 v16, v16, v184, v185
	v_add_f32_e32 v183, 0x40051340, v173
	v_max3_f32 v16, v16, v180, v181
	v_max3_f32 v16, v16, v182, v183
	ds_bpermute_b32 v17, v122, v16
	s_waitcnt lgkmcnt(0)
	v_max_f32_e32 v17, v17, v17
	v_max_f32_e32 v16, v16, v17
	ds_bpermute_b32 v17, v123, v16
	s_waitcnt lgkmcnt(0)
	v_max_f32_e32 v17, v17, v17
	v_max_f32_e32 v16, v16, v17
	v_pk_add_f32 v[174:175], v[174:175], v[16:17] op_sel_hi:[1,0] neg_lo:[0,1] neg_hi:[0,1]
	v_mul_f32_e32 v17, 0x3fb8aa3b, v175
	v_fma_f32 v55, v175, s0, -v17
	v_rndne_f32_e32 v169, v17
	v_fmac_f32_e32 v55, 0x32a5705f, v175
	v_sub_f32_e32 v17, v17, v169
	v_add_f32_e32 v17, v17, v55
	v_exp_f32_e32 v17, v17
	v_cvt_i32_f32_e32 v55, v169
	v_cmp_ngt_f32_e32 vcc, s2, v175
	v_ldexp_f32 v17, v17, v55
	v_cndmask_b32_e32 v17, 0, v17, vcc
	v_cmp_nlt_f32_e32 vcc, s12, v175
	v_cndmask_b32_e32 v169, v163, v17, vcc
	v_mul_f32_e32 v17, 0x3fb8aa3b, v174
	v_fma_f32 v55, v174, s0, -v17
	v_rndne_f32_e32 v175, v17
	v_fmac_f32_e32 v55, 0x32a5705f, v174
	v_sub_f32_e32 v17, v17, v175
	v_add_f32_e32 v17, v17, v55
	v_exp_f32_e32 v17, v17
	v_cvt_i32_f32_e32 v55, v175
	v_cmp_ngt_f32_e32 vcc, s2, v174
	v_ldexp_f32 v17, v17, v55
	v_cndmask_b32_e32 v17, 0, v17, vcc
	v_cmp_nlt_f32_e32 vcc, s12, v174
	v_pk_add_f32 v[18:19], v[18:19], v[16:17] op_sel_hi:[1,0] neg_lo:[0,1] neg_hi:[0,1]
	v_cndmask_b32_e32 v174, v163, v17, vcc
	v_mul_f32_e32 v17, 0x3fb8aa3b, v19
	v_fma_f32 v55, v19, s0, -v17
	v_rndne_f32_e32 v175, v17
	v_fmac_f32_e32 v55, 0x32a5705f, v19
	v_sub_f32_e32 v17, v17, v175
	v_add_f32_e32 v17, v17, v55
	v_exp_f32_e32 v17, v17
	v_cvt_i32_f32_e32 v55, v175
	v_cmp_ngt_f32_e32 vcc, s2, v19
	v_ldexp_f32 v17, v17, v55
	v_cndmask_b32_e32 v17, 0, v17, vcc
	v_cmp_nlt_f32_e32 vcc, s12, v19
	v_cndmask_b32_e32 v175, v163, v17, vcc
	v_mul_f32_e32 v17, 0x3fb8aa3b, v18
	v_fma_f32 v19, v18, s0, -v17
	v_rndne_f32_e32 v55, v17
	v_fmac_f32_e32 v19, 0x32a5705f, v18
	v_sub_f32_e32 v17, v17, v55
	v_add_f32_e32 v17, v17, v19
	v_exp_f32_e32 v17, v17
	v_cvt_i32_f32_e32 v19, v55
	v_cmp_ngt_f32_e32 vcc, s2, v18
	v_ldexp_f32 v17, v17, v19
	v_cndmask_b32_e32 v17, 0, v17, vcc
	v_cmp_nlt_f32_e32 vcc, s12, v18
	v_pk_add_f32 v[18:19], v[20:21], v[16:17] op_sel_hi:[1,0] neg_lo:[0,1] neg_hi:[0,1]
	v_cndmask_b32_e32 v176, v163, v17, vcc
	;; [unrolled: 27-line block ×7, first 2 shown]
	v_mul_f32_e32 v17, 0x3fb8aa3b, v19
	v_fma_f32 v22, v19, s0, -v17
	v_rndne_f32_e32 v24, v17
	v_fmac_f32_e32 v22, 0x32a5705f, v19
	v_sub_f32_e32 v17, v17, v24
	v_add_f32_e32 v17, v17, v22
	v_exp_f32_e32 v17, v17
	v_cvt_i32_f32_e32 v22, v24
	v_cmp_ngt_f32_e32 vcc, s2, v19
	v_ldexp_f32 v17, v17, v22
	v_cndmask_b32_e32 v17, 0, v17, vcc
	v_cmp_nlt_f32_e32 vcc, s12, v19
	v_cndmask_b32_e32 v19, v163, v17, vcc
	v_mul_f32_e32 v17, 0x3fb8aa3b, v18
	v_fma_f32 v22, v18, s0, -v17
	v_rndne_f32_e32 v24, v17
	v_fmac_f32_e32 v22, 0x32a5705f, v18
	v_sub_f32_e32 v17, v17, v24
	v_add_f32_e32 v17, v17, v22
	v_exp_f32_e32 v17, v17
	v_cvt_i32_f32_e32 v22, v24
	v_cmp_ngt_f32_e32 vcc, s2, v18
	v_ldexp_f32 v17, v17, v22
	v_cndmask_b32_e32 v17, 0, v17, vcc
	v_cmp_nlt_f32_e32 vcc, s12, v18
	v_cndmask_b32_e32 v172, v163, v17, vcc
	v_add_f32_e32 v17, v174, v169
	v_add_f32_e32 v17, v176, v17
	;; [unrolled: 1-line block ×15, first 2 shown]
	v_sub_f32_e32 v17, v168, v16
	v_mul_f32_e32 v18, 0x3fb8aa3b, v17
	v_fma_f32 v22, v17, s0, -v18
	v_rndne_f32_e32 v24, v18
	v_fmac_f32_e32 v22, 0x32a5705f, v17
	v_sub_f32_e32 v18, v18, v24
	v_add_f32_e32 v18, v18, v22
	v_exp_f32_e32 v18, v18
	v_cvt_i32_f32_e32 v22, v24
	v_cmp_ngt_f32_e32 vcc, s2, v17
	v_cvt_f16_f32_e32 v19, v19
	v_ldexp_f32 v18, v18, v22
	v_cndmask_b32_e32 v18, 0, v18, vcc
	v_cmp_nlt_f32_e32 vcc, s12, v17
	v_cndmask_b32_e32 v18, v163, v18, vcc
	v_cmp_le_f32_e32 vcc, s13, v17
	v_cndmask_b32_e32 v17, 0, v18, vcc
	v_cvt_f16_f32_e32 v18, v169
	v_cvt_f16_f32_e32 v22, v174
	v_fmac_f32_e32 v55, v167, v17
	v_cvt_f16_f32_e32 v17, v17
	v_lshlrev_b64 v[168:169], 2, v[28:29]
	v_pack_b32_f16 v24, v22, v18
	v_cvt_f16_f32_e32 v18, v175
	v_cvt_f16_f32_e32 v22, v176
	v_pk_mul_f16 v27, v17, v109 op_sel_hi:[0,1]
	v_cvt_f16_f32_e32 v109, v171
	v_pk_mul_f16 v165, v17, v165 op_sel_hi:[0,1]
	v_pack_b32_f16 v25, v22, v18
	v_cvt_f16_f32_e32 v18, v20
	v_cvt_f16_f32_e32 v20, v21
	;; [unrolled: 1-line block ×3, first 2 shown]
	v_pk_mul_f16 v164, v17, v164 op_sel_hi:[0,1]
	v_pk_mul_f16 v166, v17, v166 op_sel_hi:[0,1]
	v_pack_b32_f16 v22, v20, v18
	v_cvt_f16_f32_e32 v18, v23
	v_cvt_f16_f32_e32 v20, v177
	v_pk_mul_f16 v100, v17, v100 op_sel_hi:[0,1]
	v_pk_mul_f16 v102, v17, v102 op_sel_hi:[0,1]
	;; [unrolled: 1-line block ×3, first 2 shown]
	v_pack_b32_f16 v23, v20, v18
	v_cvt_f16_f32_e32 v18, v178
	v_cvt_f16_f32_e32 v20, v179
	v_pk_mul_f16 v104, v17, v104 op_sel_hi:[0,1]
	v_pk_mul_f16 v103, v17, v103 op_sel_hi:[0,1]
	v_pk_mul_f16 v106, v17, v106 op_sel_hi:[0,1]
	v_pack_b32_f16 v20, v20, v18
	v_cvt_f16_f32_e32 v18, v180
	v_pk_mul_f16 v105, v17, v105 op_sel_hi:[0,1]
	v_pk_mul_f16 v108, v17, v108 op_sel_hi:[0,1]
	v_pk_mul_f16 v107, v17, v107 op_sel_hi:[0,1]
	v_pack_b32_f16 v21, v21, v18
	;; [unrolled: 5-line block ×3, first 2 shown]
	v_cvt_f16_f32_e32 v109, v172
	v_mov_b32_e32 v111, s15
	v_lshlrev_b64 v[170:171], 2, v[30:31]
	v_pack_b32_f16 v19, v109, v19
	v_add_co_u32_e32 v109, vcc, s5, v168
	v_addc_co_u32_e32 v111, vcc, v111, v169, vcc
	v_add_co_u32_e32 v168, vcc, v109, v159
	v_addc_co_u32_e32 v169, vcc, 0, v111, vcc
	v_add_co_u32_e32 v109, vcc, s5, v170
	v_mov_b32_e32 v111, s15
	v_addc_co_u32_e32 v111, vcc, v111, v171, vcc
	v_add_co_u32_e32 v172, vcc, v109, v159
	v_addc_co_u32_e32 v173, vcc, 0, v111, vcc
	v_lshlrev_b64 v[170:171], 2, v[32:33]
	v_add_co_u32_e32 v109, vcc, s5, v170
	v_mov_b32_e32 v111, s15
	v_addc_co_u32_e32 v111, vcc, v111, v171, vcc
	v_add_co_u32_e32 v174, vcc, v109, v159
	v_addc_co_u32_e32 v175, vcc, 0, v111, vcc
	v_lshlrev_b64 v[170:171], 2, v[34:35]
	v_add_co_u32_e32 v109, vcc, s5, v170
	v_mov_b32_e32 v111, s15
	v_addc_co_u32_e32 v111, vcc, v111, v171, vcc
	global_load_dwordx4 v[168:171], v[168:169], off
	v_add_co_u32_e32 v176, vcc, v109, v159
	v_addc_co_u32_e32 v177, vcc, 0, v111, vcc
	v_cmp_lt_i32_e32 vcc, s34, v98
	s_and_b64 vcc, exec, vcc
	s_waitcnt vmcnt(0)
	ds_write_b128 v115, v[168:171]
	global_load_dwordx4 v[168:171], v[172:173], off
	s_waitcnt vmcnt(0)
	ds_write_b128 v116, v[168:171]
	global_load_dwordx4 v[168:171], v[174:175], off
	;; [unrolled: 3-line block ×3, first 2 shown]
	s_waitcnt vmcnt(0)
	ds_write_b128 v118, v[168:171]
	s_waitcnt lgkmcnt(0)
	s_barrier
	ds_read_u16 v109, v125 offset:544
	ds_read_u16 v111, v126
	ds_read_u16 v112, v126 offset:32
	v_cvt_f32_f16_e32 v168, v165
	v_cvt_f32_f16_sdwa v169, v165 dst_sel:DWORD dst_unused:UNUSED_PAD src0_sel:WORD_1
	v_cvt_f32_f16_e32 v170, v164
	v_cvt_f32_f16_sdwa v171, v164 dst_sel:DWORD dst_unused:UNUSED_PAD src0_sel:WORD_1
	s_waitcnt lgkmcnt(1)
	v_perm_b32 v165, v111, v109, s14
	ds_read_u16 v109, v124
	ds_read_u16 v111, v124 offset:32
	ds_read_u16 v164, v125 offset:272
	;; [unrolled: 1-line block ×7, first 2 shown]
	s_waitcnt lgkmcnt(5)
	v_perm_b32 v164, v164, v109, s14
	s_nop 1
	v_mfma_f32_16x16x16f16 v[168:171], v[164:165], v[24:25], v[168:171]
	s_nop 7
	s_nop 2
	v_cvt_f16_f32_e32 v164, v169
	v_cvt_f16_f32_e32 v165, v170
	;; [unrolled: 1-line block ×4, first 2 shown]
	v_cvt_f32_f16_e32 v169, v164
	v_cvt_f32_f16_e32 v170, v165
	s_waitcnt lgkmcnt(0)
	v_perm_b32 v165, v176, v175, s14
	v_perm_b32 v164, v174, v173, s14
	v_cvt_f32_f16_e32 v168, v109
	v_cvt_f32_f16_e32 v171, v167
	ds_read_u16 v173, v124 offset:8704
	ds_read_u16 v174, v125 offset:8976
	;; [unrolled: 1-line block ×4, first 2 shown]
	v_mfma_f32_16x16x16f16 v[168:171], v[164:165], v[22:23], v[168:171]
	s_nop 7
	s_nop 2
	v_cvt_f16_f32_e32 v164, v169
	v_cvt_f16_f32_e32 v165, v170
	;; [unrolled: 1-line block ×4, first 2 shown]
	v_cvt_f32_f16_e32 v169, v164
	v_cvt_f32_f16_e32 v170, v165
	s_waitcnt lgkmcnt(0)
	v_perm_b32 v165, v176, v175, s14
	v_perm_b32 v164, v174, v173, s14
	v_cvt_f32_f16_e32 v168, v109
	v_cvt_f32_f16_e32 v171, v167
	ds_read_u16 v173, v124 offset:13056
	ds_read_u16 v174, v125 offset:13328
	;; [unrolled: 1-line block ×4, first 2 shown]
	v_mfma_f32_16x16x16f16 v[168:171], v[164:165], v[20:21], v[168:171]
	s_nop 7
	s_nop 2
	v_cvt_f16_f32_e32 v164, v169
	v_cvt_f16_f32_e32 v165, v170
	;; [unrolled: 1-line block ×4, first 2 shown]
	v_cvt_f32_f16_e32 v169, v164
	v_cvt_f32_f16_e32 v170, v165
	s_waitcnt lgkmcnt(0)
	v_perm_b32 v165, v176, v175, s14
	v_perm_b32 v164, v174, v173, s14
	v_cvt_f32_f16_e32 v168, v109
	v_cvt_f32_f16_e32 v171, v167
	s_nop 1
	v_mfma_f32_16x16x16f16 v[168:171], v[164:165], v[18:19], v[168:171]
	s_nop 7
	s_nop 2
	v_cvt_f16_f32_e32 v109, v168
	v_cvt_f16_f32_e32 v164, v169
	v_cvt_f16_f32_e32 v167, v170
	v_cvt_f16_f32_e32 v168, v171
	v_cvt_f32_f16_sdwa v169, v166 dst_sel:DWORD dst_unused:UNUSED_PAD src0_sel:WORD_1
	v_pack_b32_f16 v165, v109, v164
	ds_read_u16 v109, v130 offset:544
	v_pack_b32_f16 v164, v167, v168
	v_cvt_f32_f16_e32 v168, v166
	v_perm_b32 v166, v172, v111, s14
	v_cvt_f32_f16_e32 v170, v100
	s_waitcnt lgkmcnt(0)
	v_perm_b32 v167, v112, v109, s14
	v_cvt_f32_f16_sdwa v171, v100 dst_sel:DWORD dst_unused:UNUSED_PAD src0_sel:WORD_1
	s_nop 1
	v_mfma_f32_16x16x16f16 v[166:169], v[166:167], v[24:25], v[168:171]
	s_nop 6
	ds_read_u16 v170, v124 offset:4384
	ds_read_u16 v172, v125 offset:4656
	;; [unrolled: 1-line block ×4, first 2 shown]
	s_waitcnt lgkmcnt(2)
	v_perm_b32 v170, v172, v170, s14
	s_waitcnt lgkmcnt(0)
	v_perm_b32 v171, v173, v171, s14
	v_cvt_f16_f32_e32 v100, v166
	v_cvt_f16_f32_e32 v109, v167
	;; [unrolled: 1-line block ×4, first 2 shown]
	v_cvt_f32_f16_e32 v166, v100
	v_cvt_f32_f16_e32 v167, v109
	;; [unrolled: 1-line block ×4, first 2 shown]
	s_nop 1
	v_mfma_f32_16x16x16f16 v[166:169], v[170:171], v[22:23], v[166:169]
	ds_read_u16 v170, v124 offset:8736
	ds_read_u16 v172, v125 offset:9008
	;; [unrolled: 1-line block ×4, first 2 shown]
	s_waitcnt lgkmcnt(2)
	v_perm_b32 v170, v172, v170, s14
	s_waitcnt lgkmcnt(0)
	v_perm_b32 v171, v173, v171, s14
	s_nop 2
	v_cvt_f16_f32_e32 v100, v166
	v_cvt_f16_f32_e32 v109, v167
	;; [unrolled: 1-line block ×4, first 2 shown]
	v_cvt_f32_f16_e32 v166, v100
	v_cvt_f32_f16_e32 v167, v109
	;; [unrolled: 1-line block ×4, first 2 shown]
	s_nop 1
	v_mfma_f32_16x16x16f16 v[166:169], v[170:171], v[20:21], v[166:169]
	ds_read_u16 v170, v124 offset:13088
	ds_read_u16 v172, v125 offset:13360
	;; [unrolled: 1-line block ×4, first 2 shown]
	s_waitcnt lgkmcnt(2)
	v_perm_b32 v170, v172, v170, s14
	s_waitcnt lgkmcnt(0)
	v_perm_b32 v171, v173, v171, s14
	s_nop 2
	v_cvt_f16_f32_e32 v100, v166
	v_cvt_f16_f32_e32 v109, v167
	;; [unrolled: 1-line block ×4, first 2 shown]
	v_cvt_f32_f16_e32 v166, v100
	v_cvt_f32_f16_e32 v167, v109
	;; [unrolled: 1-line block ×4, first 2 shown]
	s_nop 1
	v_mfma_f32_16x16x16f16 v[166:169], v[170:171], v[18:19], v[166:169]
	v_cvt_f32_f16_e32 v170, v101
	v_cvt_f32_f16_sdwa v171, v101 dst_sel:DWORD dst_unused:UNUSED_PAD src0_sel:WORD_1
	s_nop 7
	s_nop 0
	v_cvt_f16_f32_e32 v100, v166
	v_cvt_f16_f32_e32 v109, v167
	v_cvt_f16_f32_e32 v111, v168
	v_cvt_f16_f32_e32 v112, v169
	v_cvt_f32_f16_e32 v168, v102
	v_pack_b32_f16 v166, v100, v109
	v_cvt_f32_f16_sdwa v169, v102 dst_sel:DWORD dst_unused:UNUSED_PAD src0_sel:WORD_1
	v_pack_b32_f16 v100, v111, v112
	ds_read_u16 v109, v124 offset:64
	ds_read_u16 v111, v125 offset:336
	;; [unrolled: 1-line block ×4, first 2 shown]
	s_waitcnt lgkmcnt(2)
	v_perm_b32 v172, v111, v109, s14
	s_waitcnt lgkmcnt(0)
	v_perm_b32 v173, v167, v112, s14
	s_nop 1
	v_mfma_f32_16x16x16f16 v[168:171], v[172:173], v[24:25], v[168:171]
	ds_read_u16 v112, v124 offset:4416
	ds_read_u16 v167, v125 offset:4688
	ds_read_u16 v172, v135 offset:544
	ds_read_u16 v173, v126 offset:4416
	s_waitcnt lgkmcnt(0)
	v_perm_b32 v173, v173, v172, s14
	v_perm_b32 v172, v167, v112, s14
	s_nop 3
	v_cvt_f16_f32_e32 v101, v168
	v_cvt_f16_f32_e32 v102, v169
	v_cvt_f16_f32_e32 v109, v170
	v_cvt_f16_f32_e32 v111, v171
	v_cvt_f32_f16_e32 v168, v101
	v_cvt_f32_f16_e32 v169, v102
	v_cvt_f32_f16_e32 v170, v109
	v_cvt_f32_f16_e32 v171, v111
	s_nop 1
	v_mfma_f32_16x16x16f16 v[168:171], v[172:173], v[22:23], v[168:171]
	ds_read_u16 v112, v124 offset:8768
	ds_read_u16 v167, v125 offset:9040
	ds_read_u16 v172, v136 offset:544
	ds_read_u16 v173, v126 offset:8768
	s_waitcnt lgkmcnt(0)
	v_perm_b32 v173, v173, v172, s14
	v_perm_b32 v172, v167, v112, s14
	s_nop 3
	v_cvt_f16_f32_e32 v101, v168
	v_cvt_f16_f32_e32 v102, v169
	v_cvt_f16_f32_e32 v109, v170
	v_cvt_f16_f32_e32 v111, v171
	v_cvt_f32_f16_e32 v168, v101
	v_cvt_f32_f16_e32 v169, v102
	v_cvt_f32_f16_e32 v170, v109
	v_cvt_f32_f16_e32 v171, v111
	;; [unrolled: 18-line block ×3, first 2 shown]
	s_nop 1
	v_mfma_f32_16x16x16f16 v[168:171], v[172:173], v[18:19], v[168:171]
	s_nop 7
	s_nop 2
	v_cvt_f16_f32_e32 v101, v168
	v_cvt_f16_f32_e32 v102, v169
	;; [unrolled: 1-line block ×4, first 2 shown]
	v_cvt_f32_f16_e32 v168, v104
	v_pack_b32_f16 v102, v101, v102
	v_cvt_f32_f16_sdwa v169, v104 dst_sel:DWORD dst_unused:UNUSED_PAD src0_sel:WORD_1
	v_pack_b32_f16 v101, v109, v111
	ds_read_u16 v109, v124 offset:96
	ds_read_u16 v111, v125 offset:368
	;; [unrolled: 1-line block ×4, first 2 shown]
	v_cvt_f32_f16_e32 v170, v103
	v_cvt_f32_f16_sdwa v171, v103 dst_sel:DWORD dst_unused:UNUSED_PAD src0_sel:WORD_1
	s_waitcnt lgkmcnt(2)
	v_perm_b32 v172, v111, v109, s14
	s_waitcnt lgkmcnt(0)
	v_perm_b32 v173, v167, v112, s14
	s_nop 1
	v_mfma_f32_16x16x16f16 v[168:171], v[172:173], v[24:25], v[168:171]
	ds_read_u16 v112, v124 offset:4448
	ds_read_u16 v167, v125 offset:4720
	ds_read_u16 v172, v139 offset:544
	ds_read_u16 v173, v126 offset:4448
	s_waitcnt lgkmcnt(0)
	v_perm_b32 v173, v173, v172, s14
	v_perm_b32 v172, v167, v112, s14
	s_nop 3
	v_cvt_f16_f32_e32 v103, v168
	v_cvt_f16_f32_e32 v104, v169
	v_cvt_f16_f32_e32 v109, v170
	v_cvt_f16_f32_e32 v111, v171
	v_cvt_f32_f16_e32 v168, v103
	v_cvt_f32_f16_e32 v169, v104
	v_cvt_f32_f16_e32 v170, v109
	v_cvt_f32_f16_e32 v171, v111
	s_nop 1
	v_mfma_f32_16x16x16f16 v[168:171], v[172:173], v[22:23], v[168:171]
	ds_read_u16 v112, v124 offset:8800
	ds_read_u16 v167, v125 offset:9072
	ds_read_u16 v172, v140 offset:544
	ds_read_u16 v173, v126 offset:8800
	s_waitcnt lgkmcnt(0)
	v_perm_b32 v173, v173, v172, s14
	v_perm_b32 v172, v167, v112, s14
	s_nop 3
	v_cvt_f16_f32_e32 v103, v168
	v_cvt_f16_f32_e32 v104, v169
	v_cvt_f16_f32_e32 v109, v170
	v_cvt_f16_f32_e32 v111, v171
	v_cvt_f32_f16_e32 v168, v103
	v_cvt_f32_f16_e32 v169, v104
	v_cvt_f32_f16_e32 v170, v109
	v_cvt_f32_f16_e32 v171, v111
	;; [unrolled: 18-line block ×3, first 2 shown]
	s_nop 1
	v_mfma_f32_16x16x16f16 v[168:171], v[172:173], v[18:19], v[168:171]
	s_nop 7
	s_nop 2
	v_cvt_f16_f32_e32 v103, v168
	v_cvt_f16_f32_e32 v104, v169
	;; [unrolled: 1-line block ×4, first 2 shown]
	v_cvt_f32_f16_e32 v168, v106
	v_pack_b32_f16 v104, v103, v104
	v_cvt_f32_f16_sdwa v169, v106 dst_sel:DWORD dst_unused:UNUSED_PAD src0_sel:WORD_1
	v_pack_b32_f16 v103, v109, v111
	ds_read_u16 v109, v124 offset:128
	ds_read_u16 v111, v125 offset:400
	;; [unrolled: 1-line block ×4, first 2 shown]
	v_cvt_f32_f16_e32 v170, v105
	v_cvt_f32_f16_sdwa v171, v105 dst_sel:DWORD dst_unused:UNUSED_PAD src0_sel:WORD_1
	s_waitcnt lgkmcnt(2)
	v_perm_b32 v172, v111, v109, s14
	s_waitcnt lgkmcnt(0)
	v_perm_b32 v173, v167, v112, s14
	s_nop 1
	v_mfma_f32_16x16x16f16 v[168:171], v[172:173], v[24:25], v[168:171]
	ds_read_u16 v112, v124 offset:4480
	ds_read_u16 v167, v125 offset:4752
	ds_read_u16 v172, v143 offset:544
	ds_read_u16 v173, v126 offset:4480
	s_waitcnt lgkmcnt(0)
	v_perm_b32 v173, v173, v172, s14
	v_perm_b32 v172, v167, v112, s14
	s_nop 3
	v_cvt_f16_f32_e32 v105, v168
	v_cvt_f16_f32_e32 v106, v169
	v_cvt_f16_f32_e32 v109, v170
	v_cvt_f16_f32_e32 v111, v171
	v_cvt_f32_f16_e32 v168, v105
	v_cvt_f32_f16_e32 v169, v106
	v_cvt_f32_f16_e32 v170, v109
	v_cvt_f32_f16_e32 v171, v111
	s_nop 1
	v_mfma_f32_16x16x16f16 v[168:171], v[172:173], v[22:23], v[168:171]
	ds_read_u16 v112, v124 offset:8832
	ds_read_u16 v167, v125 offset:9104
	ds_read_u16 v172, v144 offset:544
	ds_read_u16 v173, v126 offset:8832
	s_waitcnt lgkmcnt(0)
	v_perm_b32 v173, v173, v172, s14
	v_perm_b32 v172, v167, v112, s14
	s_nop 3
	v_cvt_f16_f32_e32 v105, v168
	v_cvt_f16_f32_e32 v106, v169
	v_cvt_f16_f32_e32 v109, v170
	v_cvt_f16_f32_e32 v111, v171
	v_cvt_f32_f16_e32 v168, v105
	v_cvt_f32_f16_e32 v169, v106
	v_cvt_f32_f16_e32 v170, v109
	v_cvt_f32_f16_e32 v171, v111
	;; [unrolled: 18-line block ×3, first 2 shown]
	s_nop 1
	v_mfma_f32_16x16x16f16 v[168:171], v[172:173], v[18:19], v[168:171]
	s_nop 7
	s_nop 2
	v_cvt_f16_f32_e32 v105, v168
	v_cvt_f16_f32_e32 v106, v169
	;; [unrolled: 1-line block ×4, first 2 shown]
	v_cvt_f32_f16_e32 v168, v108
	v_pack_b32_f16 v106, v105, v106
	v_cvt_f32_f16_sdwa v169, v108 dst_sel:DWORD dst_unused:UNUSED_PAD src0_sel:WORD_1
	v_pack_b32_f16 v105, v109, v111
	ds_read_u16 v111, v124 offset:160
	ds_read_u16 v112, v125 offset:432
	;; [unrolled: 1-line block ×4, first 2 shown]
	v_cvt_f32_f16_e32 v170, v107
	v_cvt_f32_f16_sdwa v171, v107 dst_sel:DWORD dst_unused:UNUSED_PAD src0_sel:WORD_1
	s_waitcnt lgkmcnt(2)
	v_perm_b32 v108, v112, v111, s14
	s_waitcnt lgkmcnt(0)
	v_perm_b32 v109, v167, v109, s14
	ds_read_u16 v112, v124 offset:4512
	ds_read_u16 v167, v125 offset:4784
	ds_read_u16 v172, v147 offset:544
	ds_read_u16 v173, v126 offset:4512
	v_mfma_f32_16x16x16f16 v[168:171], v[108:109], v[24:25], v[168:171]
	s_nop 7
	s_nop 2
	v_cvt_f16_f32_e32 v108, v169
	v_cvt_f16_f32_e32 v109, v170
	v_cvt_f16_f32_e32 v107, v168
	v_cvt_f16_f32_e32 v111, v171
	v_cvt_f32_f16_e32 v169, v108
	v_cvt_f32_f16_e32 v170, v109
	s_waitcnt lgkmcnt(0)
	v_perm_b32 v109, v173, v172, s14
	v_perm_b32 v108, v167, v112, s14
	v_cvt_f32_f16_e32 v168, v107
	v_cvt_f32_f16_e32 v171, v111
	ds_read_u16 v112, v124 offset:8864
	ds_read_u16 v167, v125 offset:9136
	ds_read_u16 v172, v148 offset:544
	ds_read_u16 v173, v126 offset:8864
	v_mfma_f32_16x16x16f16 v[168:171], v[108:109], v[22:23], v[168:171]
	s_nop 7
	s_nop 2
	v_cvt_f16_f32_e32 v108, v169
	v_cvt_f16_f32_e32 v109, v170
	v_cvt_f16_f32_e32 v107, v168
	v_cvt_f16_f32_e32 v111, v171
	v_cvt_f32_f16_e32 v169, v108
	v_cvt_f32_f16_e32 v170, v109
	s_waitcnt lgkmcnt(0)
	v_perm_b32 v109, v173, v172, s14
	v_perm_b32 v108, v167, v112, s14
	v_cvt_f32_f16_e32 v168, v107
	v_cvt_f32_f16_e32 v171, v111
	;; [unrolled: 18-line block ×3, first 2 shown]
	s_nop 1
	v_mfma_f32_16x16x16f16 v[168:171], v[108:109], v[18:19], v[168:171]
	s_nop 7
	s_nop 2
	v_cvt_f16_f32_e32 v107, v168
	v_cvt_f16_f32_e32 v108, v169
	;; [unrolled: 1-line block ×4, first 2 shown]
	v_cvt_f32_f16_e32 v168, v110
	v_pack_b32_f16 v108, v107, v108
	v_cvt_f32_f16_sdwa v169, v110 dst_sel:DWORD dst_unused:UNUSED_PAD src0_sel:WORD_1
	v_pack_b32_f16 v107, v109, v111
	ds_read_u16 v109, v124 offset:192
	ds_read_u16 v112, v125 offset:464
	;; [unrolled: 1-line block ×4, first 2 shown]
	v_cvt_f32_f16_e32 v170, v27
	v_cvt_f32_f16_sdwa v171, v27 dst_sel:DWORD dst_unused:UNUSED_PAD src0_sel:WORD_1
	s_waitcnt lgkmcnt(2)
	v_perm_b32 v110, v112, v109, s14
	s_waitcnt lgkmcnt(0)
	v_perm_b32 v111, v167, v111, s14
	ds_read_u16 v112, v124 offset:4544
	ds_read_u16 v167, v125 offset:4816
	ds_read_u16 v172, v151 offset:544
	ds_read_u16 v173, v126 offset:4544
	v_mfma_f32_16x16x16f16 v[168:171], v[110:111], v[24:25], v[168:171]
	s_nop 7
	s_nop 2
	v_cvt_f16_f32_e32 v110, v170
	v_cvt_f16_f32_e32 v111, v171
	v_cvt_f16_f32_e32 v27, v168
	v_cvt_f16_f32_e32 v109, v169
	v_cvt_f32_f16_e32 v170, v110
	v_cvt_f32_f16_e32 v171, v111
	s_waitcnt lgkmcnt(0)
	v_perm_b32 v111, v173, v172, s14
	v_perm_b32 v110, v167, v112, s14
	v_cvt_f32_f16_e32 v168, v27
	v_cvt_f32_f16_e32 v169, v109
	ds_read_u16 v112, v124 offset:8896
	ds_read_u16 v167, v125 offset:9168
	ds_read_u16 v172, v152 offset:544
	ds_read_u16 v173, v126 offset:8896
	v_mfma_f32_16x16x16f16 v[168:171], v[110:111], v[22:23], v[168:171]
	s_nop 7
	s_nop 2
	v_cvt_f16_f32_e32 v110, v170
	v_cvt_f16_f32_e32 v111, v171
	v_cvt_f16_f32_e32 v27, v168
	v_cvt_f16_f32_e32 v109, v169
	v_cvt_f32_f16_e32 v170, v110
	v_cvt_f32_f16_e32 v171, v111
	s_waitcnt lgkmcnt(0)
	v_perm_b32 v111, v173, v172, s14
	v_perm_b32 v110, v167, v112, s14
	v_cvt_f32_f16_e32 v168, v27
	v_cvt_f32_f16_e32 v169, v109
	;; [unrolled: 18-line block ×3, first 2 shown]
	s_nop 1
	v_mfma_f32_16x16x16f16 v[168:171], v[110:111], v[18:19], v[168:171]
	s_nop 7
	s_nop 2
	v_cvt_f16_f32_e32 v27, v168
	v_cvt_f16_f32_e32 v109, v169
	v_cvt_f16_f32_e32 v111, v170
	v_cvt_f16_f32_e32 v112, v171
	v_cvt_f32_f16_e32 v168, v26
	v_pack_b32_f16 v110, v27, v109
	v_cvt_f32_f16_sdwa v169, v26 dst_sel:DWORD dst_unused:UNUSED_PAD src0_sel:WORD_1
	v_pack_b32_f16 v109, v111, v112
	ds_read_u16 v111, v124 offset:224
	ds_read_u16 v112, v125 offset:496
	;; [unrolled: 1-line block ×4, first 2 shown]
	v_cvt_f32_f16_e32 v170, v17
	v_cvt_f32_f16_sdwa v171, v17 dst_sel:DWORD dst_unused:UNUSED_PAD src0_sel:WORD_1
	s_waitcnt lgkmcnt(2)
	v_perm_b32 v26, v112, v111, s14
	s_waitcnt lgkmcnt(0)
	v_perm_b32 v27, v167, v27, s14
	s_nop 1
	v_mfma_f32_16x16x16f16 v[24:27], v[26:27], v[24:25], v[168:171]
	ds_read_u16 v111, v124 offset:4576
	ds_read_u16 v112, v125 offset:4848
	;; [unrolled: 1-line block ×3, first 2 shown]
	s_nop 3
	ds_read_u16 v168, v126 offset:4576
	s_waitcnt lgkmcnt(0)
	v_perm_b32 v169, v168, v167, s14
	v_perm_b32 v168, v112, v111, s14
	v_cvt_f16_f32_e32 v17, v24
	v_cvt_f16_f32_e32 v25, v25
	;; [unrolled: 1-line block ×4, first 2 shown]
	v_cvt_f32_f16_e32 v24, v17
	v_cvt_f32_f16_e32 v25, v25
	;; [unrolled: 1-line block ×4, first 2 shown]
	s_nop 1
	v_mfma_f32_16x16x16f16 v[22:25], v[168:169], v[22:23], v[24:27]
	s_nop 6
	ds_read_u16 v26, v124 offset:8928
	ds_read_u16 v111, v125 offset:9200
	;; [unrolled: 1-line block ×4, first 2 shown]
	s_waitcnt lgkmcnt(2)
	v_perm_b32 v26, v111, v26, s14
	s_waitcnt lgkmcnt(0)
	v_perm_b32 v27, v112, v27, s14
	v_cvt_f16_f32_e32 v17, v22
	v_cvt_f16_f32_e32 v23, v23
	;; [unrolled: 1-line block ×4, first 2 shown]
	v_cvt_f32_f16_e32 v22, v17
	v_cvt_f32_f16_e32 v23, v23
	;; [unrolled: 1-line block ×4, first 2 shown]
	s_nop 1
	v_mfma_f32_16x16x16f16 v[20:23], v[26:27], v[20:21], v[22:25]
	s_nop 6
	ds_read_u16 v24, v124 offset:13280
	ds_read_u16 v26, v125 offset:13552
	;; [unrolled: 1-line block ×4, first 2 shown]
	s_waitcnt lgkmcnt(0)
	s_barrier
	v_perm_b32 v24, v26, v24, s14
	v_perm_b32 v25, v27, v25, s14
	v_cvt_f16_f32_e32 v17, v20
	v_cvt_f16_f32_e32 v21, v21
	;; [unrolled: 1-line block ×4, first 2 shown]
	v_cvt_f32_f16_e32 v20, v17
	v_cvt_f32_f16_e32 v21, v21
	;; [unrolled: 1-line block ×4, first 2 shown]
	s_nop 1
	v_mfma_f32_16x16x16f16 v[18:21], v[24:25], v[18:19], v[20:23]
	s_nop 7
	s_nop 2
	v_cvt_f16_f32_e32 v17, v18
	v_cvt_f16_f32_e32 v18, v19
	;; [unrolled: 1-line block ×4, first 2 shown]
	v_pack_b32_f16 v112, v17, v18
	v_pack_b32_f16 v111, v19, v20
	s_cbranch_vccnz .LBB24_431
.LBB24_432:
	s_lshl_b32 s4, s34, 6
	s_ashr_i32 s5, s4, 31
	s_lshl_b64 s[12:13], s[4:5], 1
	s_add_u32 s0, s10, s12
	s_addc_u32 s2, s11, s13
	v_mov_b32_e32 v17, s2
	v_add_co_u32_e32 v22, vcc, s0, v99
	s_mul_i32 s0, s36, s5
	s_mul_hi_u32 s2, s36, s4
	v_addc_co_u32_e32 v17, vcc, 0, v17, vcc
	v_lshlrev_b64 v[18:19], 1, v[38:39]
	s_add_i32 s0, s2, s0
	s_mul_i32 s2, s3, s4
	v_add_co_u32_e32 v18, vcc, v22, v18
	s_add_i32 s3, s0, s2
	s_mul_i32 s2, s36, s4
	v_addc_co_u32_e32 v19, vcc, v17, v19, vcc
	v_lshlrev_b64 v[20:21], 1, v[40:41]
	s_lshl_b64 s[2:3], s[2:3], 2
	v_add_co_u32_e32 v20, vcc, v22, v20
	s_add_u32 s0, s8, s2
	v_addc_co_u32_e32 v21, vcc, v17, v21, vcc
	global_load_dword v98, v[18:19], off
	global_load_dword v113, v[20:21], off
	s_addc_u32 s2, s9, s3
	v_lshlrev_b64 v[18:19], 2, v[42:43]
	v_mov_b32_e32 v17, s2
	v_add_co_u32_e32 v20, vcc, s0, v18
	v_addc_co_u32_e32 v17, vcc, v17, v19, vcc
	v_lshlrev_b64 v[18:19], 2, v[36:37]
	v_add_co_u32_e32 v20, vcc, v20, v18
	v_addc_co_u32_e32 v21, vcc, v17, v19, vcc
	v_lshlrev_b64 v[22:23], 2, v[44:45]
	v_mov_b32_e32 v17, s2
	v_add_co_u32_e32 v22, vcc, s0, v22
	v_addc_co_u32_e32 v17, vcc, v17, v23, vcc
	v_add_co_u32_e32 v22, vcc, v22, v18
	v_addc_co_u32_e32 v23, vcc, v17, v19, vcc
	global_load_dwordx4 v[24:27], v[20:21], off
	global_load_dwordx4 v[38:41], v[22:23], off
	v_lshlrev_b64 v[20:21], 2, v[46:47]
	v_mov_b32_e32 v17, s2
	v_add_co_u32_e32 v20, vcc, s0, v20
	v_addc_co_u32_e32 v17, vcc, v17, v21, vcc
	v_add_co_u32_e32 v20, vcc, v20, v18
	v_addc_co_u32_e32 v21, vcc, v17, v19, vcc
	v_lshlrev_b64 v[22:23], 2, v[48:49]
	v_mov_b32_e32 v17, s2
	v_add_co_u32_e32 v22, vcc, s0, v22
	v_addc_co_u32_e32 v17, vcc, v17, v23, vcc
	v_add_co_u32_e32 v22, vcc, v22, v18
	v_addc_co_u32_e32 v23, vcc, v17, v19, vcc
	global_load_dwordx4 v[42:45], v[20:21], off
	global_load_dwordx4 v[46:49], v[22:23], off
	v_add_u32_e32 v17, 0, v99
	v_lshlrev_b32_e32 v22, 2, v36
	v_add_u32_e32 v23, v17, v65
	v_add_u32_e32 v36, v17, v66
	v_add3_u32 v17, 0, v67, v22
	v_add3_u32 v20, 0, v78, v22
	;; [unrolled: 1-line block ×4, first 2 shown]
	v_cmp_lt_i32_e32 vcc, v93, v63
	s_mov_b32 s3, 0x3fb8aa3b
	s_mov_b32 s0, 0xc2ce8ed0
	;; [unrolled: 1-line block ×3, first 2 shown]
	s_mul_i32 s5, s26, s5
	s_mul_hi_u32 s8, s26, s4
	s_add_i32 s5, s8, s5
	s_mul_i32 s1, s1, s4
	s_add_i32 s5, s5, s1
	s_mul_i32 s4, s26, s4
	s_lshl_b64 s[4:5], s[4:5], 2
	s_add_u32 s1, s6, s4
	s_addc_u32 s4, s7, s5
	s_waitcnt vmcnt(5)
	ds_write_b32 v23, v98 offset:17408
	s_waitcnt vmcnt(4)
	ds_write_b32 v36, v113 offset:17408
	s_waitcnt vmcnt(3)
	ds_write_b128 v17, v[24:27]
	s_waitcnt vmcnt(2)
	ds_write_b128 v20, v[38:41]
	;; [unrolled: 2-line block ×4, first 2 shown]
	v_add3_u32 v23, 0, v60, v61
	v_add_u32_e32 v48, 0x1000, v23
	s_waitcnt lgkmcnt(0)
	s_barrier
	ds_read2_b64 v[24:27], v23 offset1:4
	ds_read2_b64 v[40:43], v48 offset0:32 offset1:36
	v_add_u32_e32 v49, 0x2000, v23
	ds_read2_b64 v[96:99], v49 offset0:64 offset1:68
	s_waitcnt lgkmcnt(2)
	v_mfma_f32_16x16x16f16 v[36:39], v[24:25], v[12:13], 0
	s_waitcnt lgkmcnt(1)
	v_mfma_f32_16x16x16f16 v[44:47], v[40:41], v[12:13], 0
	;; [unrolled: 2-line block ×3, first 2 shown]
	v_mfma_f32_16x16x16f16 v[24:27], v[26:27], v[14:15], v[36:39]
	v_mfma_f32_16x16x16f16 v[36:39], v[42:43], v[14:15], v[44:47]
	s_nop 6
	ds_read2_b64 v[44:47], v23 offset0:8 offset1:12
	v_mfma_f32_16x16x16f16 v[40:43], v[98:99], v[14:15], v[114:117]
	ds_read2_b64 v[96:99], v48 offset0:40 offset1:44
	s_waitcnt lgkmcnt(1)
	v_mfma_f32_16x16x16f16 v[24:27], v[44:45], v[8:9], v[24:27]
	s_nop 3
	ds_read2_b64 v[114:117], v49 offset0:72 offset1:76
	s_waitcnt lgkmcnt(1)
	v_mfma_f32_16x16x16f16 v[36:39], v[96:97], v[8:9], v[36:39]
	v_mfma_f32_16x16x16f16 v[24:27], v[46:47], v[10:11], v[24:27]
	ds_read2_b64 v[44:47], v23 offset0:16 offset1:20
	v_mfma_f32_16x16x16f16 v[36:39], v[98:99], v[10:11], v[36:39]
	ds_read2_b64 v[96:99], v48 offset0:48 offset1:52
	s_waitcnt lgkmcnt(2)
	v_mfma_f32_16x16x16f16 v[40:43], v[114:115], v[8:9], v[40:43]
	s_waitcnt lgkmcnt(1)
	v_mfma_f32_16x16x16f16 v[24:27], v[44:45], v[4:5], v[24:27]
	v_mfma_f32_16x16x16f16 v[40:43], v[116:117], v[10:11], v[40:43]
	ds_read2_b64 v[114:117], v49 offset0:80 offset1:84
	s_waitcnt lgkmcnt(1)
	v_mfma_f32_16x16x16f16 v[36:39], v[96:97], v[4:5], v[36:39]
	v_mfma_f32_16x16x16f16 v[24:27], v[46:47], v[6:7], v[24:27]
	ds_read2_b64 v[44:47], v48 offset0:56 offset1:60
	v_mfma_f32_16x16x16f16 v[36:39], v[98:99], v[6:7], v[36:39]
	s_waitcnt lgkmcnt(1)
	v_mfma_f32_16x16x16f16 v[40:43], v[114:115], v[4:5], v[40:43]
	s_waitcnt lgkmcnt(0)
	v_mfma_f32_16x16x16f16 v[96:99], v[44:45], v[0:1], v[36:39]
	s_nop 6
	v_add_u32_e32 v36, 0x3000, v23
	v_mfma_f32_16x16x16f16 v[38:41], v[116:117], v[6:7], v[40:43]
	s_nop 6
	ds_read2_b64 v[42:45], v36 offset0:96 offset1:100
	s_waitcnt lgkmcnt(0)
	v_mfma_f32_16x16x16f16 v[114:117], v[42:43], v[12:13], 0
	v_mfma_f32_16x16x16f16 v[12:15], v[44:45], v[14:15], v[114:117]
	ds_read2_b64 v[42:45], v36 offset0:104 offset1:108
	s_waitcnt lgkmcnt(0)
	v_mfma_f32_16x16x16f16 v[12:15], v[42:43], v[8:9], v[12:15]
	v_mfma_f32_16x16x16f16 v[8:11], v[44:45], v[10:11], v[12:15]
	s_nop 7
	s_nop 1
	ds_read2_b64 v[12:15], v36 offset0:112 offset1:116
	ds_read2_b64 v[42:45], v23 offset0:24 offset1:28
	;; [unrolled: 1-line block ×4, first 2 shown]
	s_waitcnt lgkmcnt(0)
	s_barrier
	v_mfma_f32_16x16x16f16 v[8:11], v[12:13], v[4:5], v[8:11]
	v_add_u32_e32 v12, 0, v68
	v_lshl_add_u32 v13, v69, 2, v12
	v_lshl_add_u32 v23, v70, 2, v12
	v_mfma_f32_16x16x16f16 v[4:7], v[14:15], v[6:7], v[8:11]
	v_lshl_add_u32 v14, v94, 2, v12
	v_mfma_f32_16x16x16f16 v[4:7], v[118:119], v[0:1], v[4:7]
	s_nop 4
	v_lshl_add_u32 v8, v72, 2, v12
	v_lshl_add_u32 v9, v74, 2, v12
	;; [unrolled: 1-line block ×5, first 2 shown]
	ds_read_b32 v12, v12 offset:17408
	ds_read_b32 v36, v13 offset:17408
	ds_read_b32 v23, v23 offset:17408
	ds_read_b32 v60, v8 offset:17408
	ds_read_b32 v61, v9 offset:17408
	ds_read_b32 v15, v10 offset:17408
	ds_read_b32 v48, v11 offset:17408
	ds_read_b32 v13, v14 offset:17408
	v_mfma_f32_16x16x16f16 v[6:9], v[120:121], v[2:3], v[4:7]
	s_waitcnt lgkmcnt(2)
	v_cvt_f32_f16_e32 v14, v15
	v_cvt_f32_f16_e32 v10, v12
	v_cvt_f32_f16_sdwa v11, v12 dst_sel:DWORD dst_unused:UNUSED_PAD src0_sel:WORD_1
	s_waitcnt lgkmcnt(0)
	v_cvt_f32_f16_e32 v12, v13
	s_nop 0
	v_cndmask_b32_e32 v4, v62, v93, vcc
	v_lshlrev_b32_e32 v37, 2, v4
	s_nop 1
	v_pk_add_f32 v[4:5], v[8:9], v[10:11]
	v_mfma_f32_16x16x16f16 v[8:11], v[114:115], v[0:1], v[38:41]
	v_cvt_f32_f16_sdwa v13, v13 dst_sel:DWORD dst_unused:UNUSED_PAD src0_sel:WORD_1
	v_cvt_f32_f16_sdwa v15, v15 dst_sel:DWORD dst_unused:UNUSED_PAD src0_sel:WORD_1
	v_add_f32_e32 v65, 0x40051340, v4
	v_add_f32_e32 v66, 0x40051340, v5
	v_pk_add_f32 v[6:7], v[6:7], v[12:13]
	v_cvt_f32_f16_e32 v12, v48
	v_cvt_f32_f16_sdwa v13, v48 dst_sel:DWORD dst_unused:UNUSED_PAD src0_sel:WORD_1
	v_mfma_f32_16x16x16f16 v[8:11], v[116:117], v[2:3], v[8:11]
	v_cvt_f32_f16_e32 v38, v60
	v_cvt_f32_f16_sdwa v39, v60 dst_sel:DWORD dst_unused:UNUSED_PAD src0_sel:WORD_1
	v_add_f32_e32 v67, 0x40051340, v6
	v_add_f32_e32 v68, 0x40051340, v7
	v_cmp_lt_i32_e32 vcc, v64, v63
	s_nop 5
	v_pk_add_f32 v[48:49], v[10:11], v[12:13]
	v_pk_add_f32 v[14:15], v[8:9], v[14:15]
	v_mfma_f32_16x16x16f16 v[8:11], v[46:47], v[2:3], v[96:99]
	v_cvt_f32_f16_e32 v12, v61
	v_cvt_f32_f16_sdwa v13, v61 dst_sel:DWORD dst_unused:UNUSED_PAD src0_sel:WORD_1
	v_add_f32_e32 v46, 0x40051340, v14
	v_add_f32_e32 v47, 0x40051340, v15
	;; [unrolled: 1-line block ×4, first 2 shown]
	s_nop 4
	v_pk_add_f32 v[40:41], v[10:11], v[12:13]
	v_mfma_f32_16x16x16f16 v[10:13], v[42:43], v[0:1], v[24:27]
	v_pk_add_f32 v[8:9], v[8:9], v[38:39]
	v_add_f32_e32 v38, 0x40051340, v8
	v_add_f32_e32 v39, 0x40051340, v9
	;; [unrolled: 1-line block ×4, first 2 shown]
	s_nop 1
	v_cvt_f32_f16_e32 v26, v36
	v_cvt_f32_f16_sdwa v27, v36 dst_sel:DWORD dst_unused:UNUSED_PAD src0_sel:WORD_1
	v_mfma_f32_16x16x16f16 v[0:3], v[44:45], v[2:3], v[10:13]
	v_cvt_f32_f16_e32 v24, v23
	v_cvt_f32_f16_sdwa v25, v23 dst_sel:DWORD dst_unused:UNUSED_PAD src0_sel:WORD_1
	v_mov_b32_e32 v23, 0x7f800000
	s_nop 7
	v_pk_add_f32 v[0:1], v[0:1], v[26:27]
	v_pk_add_f32 v[2:3], v[2:3], v[24:25]
	v_add_f32_e32 v12, 0x40051340, v0
	v_add_f32_e32 v13, 0x40051340, v1
	;; [unrolled: 1-line block ×4, first 2 shown]
	v_max3_f32 v12, v16, v12, v13
	v_max3_f32 v10, v12, v10, v11
	;; [unrolled: 1-line block ×8, first 2 shown]
	ds_bpermute_b32 v11, v37, v10
	v_cndmask_b32_e32 v12, v62, v64, vcc
	v_lshlrev_b32_e32 v38, 2, v12
	s_waitcnt lgkmcnt(0)
	v_max_f32_e32 v11, v11, v11
	v_max_f32_e32 v10, v10, v11
	ds_bpermute_b32 v11, v38, v10
	s_waitcnt lgkmcnt(0)
	v_max_f32_e32 v11, v11, v11
	v_max_f32_e32 v36, v10, v11
	v_pk_add_f32 v[0:1], v[0:1], v[36:37] op_sel_hi:[1,0] neg_lo:[0,1] neg_hi:[0,1]
	v_mul_f32_e32 v10, 0x3fb8aa3b, v1
	v_fma_f32 v11, v1, s3, -v10
	v_rndne_f32_e32 v12, v10
	v_fmac_f32_e32 v11, 0x32a5705f, v1
	v_sub_f32_e32 v10, v10, v12
	v_add_f32_e32 v10, v10, v11
	v_exp_f32_e32 v10, v10
	v_cvt_i32_f32_e32 v11, v12
	v_cmp_ngt_f32_e32 vcc, s0, v1
	v_pk_add_f32 v[2:3], v[2:3], v[36:37] op_sel_hi:[1,0] neg_lo:[0,1] neg_hi:[0,1]
	v_ldexp_f32 v10, v10, v11
	v_mul_f32_e32 v11, 0x3fb8aa3b, v0
	v_fma_f32 v12, v0, s3, -v11
	v_rndne_f32_e32 v13, v11
	v_fmac_f32_e32 v12, 0x32a5705f, v0
	v_sub_f32_e32 v11, v11, v13
	v_add_f32_e32 v11, v11, v12
	v_exp_f32_e32 v11, v11
	v_cvt_i32_f32_e32 v12, v13
	v_cndmask_b32_e32 v10, 0, v10, vcc
	v_cmp_nlt_f32_e32 vcc, s2, v1
	v_cndmask_b32_e32 v24, v23, v10, vcc
	v_mul_f32_e32 v10, 0x3fb8aa3b, v3
	v_ldexp_f32 v1, v11, v12
	v_fma_f32 v11, v3, s3, -v10
	v_rndne_f32_e32 v12, v10
	v_fmac_f32_e32 v11, 0x32a5705f, v3
	v_sub_f32_e32 v10, v10, v12
	v_add_f32_e32 v10, v10, v11
	v_exp_f32_e32 v10, v10
	v_cvt_i32_f32_e32 v11, v12
	v_cmp_ngt_f32_e32 vcc, s0, v0
	v_cndmask_b32_e32 v1, 0, v1, vcc
	v_cmp_nlt_f32_e32 vcc, s2, v0
	v_cndmask_b32_e32 v25, v23, v1, vcc
	v_mul_f32_e32 v1, 0x3fb8aa3b, v2
	v_ldexp_f32 v0, v10, v11
	v_fma_f32 v10, v2, s3, -v1
	v_rndne_f32_e32 v11, v1
	v_fmac_f32_e32 v10, 0x32a5705f, v2
	v_sub_f32_e32 v1, v1, v11
	v_add_f32_e32 v1, v1, v10
	v_exp_f32_e32 v1, v1
	v_cvt_i32_f32_e32 v10, v11
	v_cmp_ngt_f32_e32 vcc, s0, v3
	v_cndmask_b32_e32 v0, 0, v0, vcc
	v_cmp_nlt_f32_e32 vcc, s2, v3
	v_cndmask_b32_e32 v26, v23, v0, vcc
	v_ldexp_f32 v3, v1, v10
	v_pk_add_f32 v[0:1], v[8:9], v[36:37] op_sel_hi:[1,0] neg_lo:[0,1] neg_hi:[0,1]
	v_mul_f32_e32 v8, 0x3fb8aa3b, v1
	v_fma_f32 v9, v1, s3, -v8
	v_rndne_f32_e32 v10, v8
	v_fmac_f32_e32 v9, 0x32a5705f, v1
	v_sub_f32_e32 v8, v8, v10
	v_add_f32_e32 v8, v8, v9
	v_exp_f32_e32 v8, v8
	v_cvt_i32_f32_e32 v9, v10
	v_cmp_ngt_f32_e32 vcc, s0, v2
	v_cndmask_b32_e32 v3, 0, v3, vcc
	v_cmp_nlt_f32_e32 vcc, s2, v2
	v_cndmask_b32_e32 v27, v23, v3, vcc
	v_mul_f32_e32 v3, 0x3fb8aa3b, v0
	v_ldexp_f32 v2, v8, v9
	v_fma_f32 v8, v0, s3, -v3
	v_rndne_f32_e32 v9, v3
	v_fmac_f32_e32 v8, 0x32a5705f, v0
	v_sub_f32_e32 v3, v3, v9
	v_add_f32_e32 v3, v3, v8
	v_exp_f32_e32 v3, v3
	v_cvt_i32_f32_e32 v8, v9
	v_cmp_ngt_f32_e32 vcc, s0, v1
	v_cndmask_b32_e32 v2, 0, v2, vcc
	v_cmp_nlt_f32_e32 vcc, s2, v1
	v_cndmask_b32_e32 v39, v23, v2, vcc
	v_ldexp_f32 v1, v3, v8
	v_pk_add_f32 v[2:3], v[40:41], v[36:37] op_sel_hi:[1,0] neg_lo:[0,1] neg_hi:[0,1]
	v_mul_f32_e32 v8, 0x3fb8aa3b, v3
	;; [unrolled: 27-line block ×5, first 2 shown]
	v_fma_f32 v7, v1, s3, -v6
	v_rndne_f32_e32 v8, v6
	v_fmac_f32_e32 v7, 0x32a5705f, v1
	v_sub_f32_e32 v6, v6, v8
	v_add_f32_e32 v6, v6, v7
	v_exp_f32_e32 v6, v6
	v_cvt_i32_f32_e32 v7, v8
	v_cmp_ngt_f32_e32 vcc, s0, v2
	v_cndmask_b32_e32 v3, 0, v3, vcc
	v_cmp_nlt_f32_e32 vcc, s2, v2
	v_cndmask_b32_e32 v46, v23, v3, vcc
	v_lshlrev_b64 v[2:3], 2, v[28:29]
	v_ldexp_f32 v47, v6, v7
	v_mov_b32_e32 v6, s4
	v_add_co_u32_e32 v2, vcc, s1, v2
	v_addc_co_u32_e32 v3, vcc, v6, v3, vcc
	v_add_co_u32_e32 v2, vcc, v2, v18
	v_addc_co_u32_e32 v3, vcc, v3, v19, vcc
	v_lshlrev_b64 v[6:7], 2, v[30:31]
	v_mov_b32_e32 v8, s4
	v_add_co_u32_e32 v6, vcc, s1, v6
	v_addc_co_u32_e32 v7, vcc, v8, v7, vcc
	v_add_co_u32_e32 v10, vcc, v6, v18
	v_addc_co_u32_e32 v11, vcc, v7, v19, vcc
	v_lshlrev_b64 v[6:7], 2, v[32:33]
	v_add_co_u32_e32 v6, vcc, s1, v6
	v_addc_co_u32_e32 v7, vcc, v8, v7, vcc
	v_add_co_u32_e32 v28, vcc, v6, v18
	v_addc_co_u32_e32 v29, vcc, v7, v19, vcc
	v_lshlrev_b64 v[6:7], 2, v[34:35]
	v_add_co_u32_e32 v6, vcc, s1, v6
	v_addc_co_u32_e32 v7, vcc, v8, v7, vcc
	v_add_co_u32_e32 v18, vcc, v6, v18
	v_addc_co_u32_e32 v19, vcc, v7, v19, vcc
	global_load_dwordx4 v[6:9], v[2:3], off
	global_load_dwordx4 v[12:15], v[10:11], off
	;; [unrolled: 1-line block ×4, first 2 shown]
	v_mul_f32_e32 v48, 0x3fb8aa3b, v0
	v_fma_f32 v49, v0, s3, -v48
	v_rndne_f32_e32 v2, v48
	v_fmac_f32_e32 v49, 0x32a5705f, v0
	v_sub_f32_e32 v3, v48, v2
	v_add_f32_e32 v3, v3, v49
	v_exp_f32_e32 v3, v3
	v_cvt_i32_f32_e32 v2, v2
	v_cmp_ngt_f32_e32 vcc, s0, v1
	v_cndmask_b32_e32 v10, 0, v47, vcc
	v_cmp_nlt_f32_e32 vcc, s2, v1
	v_ldexp_f32 v1, v3, v2
	v_pk_add_f32 v[2:3], v[4:5], v[36:37] op_sel_hi:[1,0] neg_lo:[0,1] neg_hi:[0,1]
	v_mul_f32_e32 v4, 0x3fb8aa3b, v3
	v_cndmask_b32_e32 v47, v23, v10, vcc
	v_fma_f32 v5, v3, s3, -v4
	v_rndne_f32_e32 v10, v4
	v_fmac_f32_e32 v5, 0x32a5705f, v3
	v_sub_f32_e32 v4, v4, v10
	v_add_f32_e32 v4, v4, v5
	v_exp_f32_e32 v4, v4
	v_cvt_i32_f32_e32 v5, v10
	v_cmp_ngt_f32_e32 vcc, s0, v0
	v_cndmask_b32_e32 v1, 0, v1, vcc
	v_cmp_nlt_f32_e32 vcc, s2, v0
	v_cndmask_b32_e32 v48, v23, v1, vcc
	v_mul_f32_e32 v1, 0x3fb8aa3b, v2
	v_ldexp_f32 v0, v4, v5
	v_fma_f32 v4, v2, s3, -v1
	v_rndne_f32_e32 v5, v1
	v_fmac_f32_e32 v4, 0x32a5705f, v2
	v_sub_f32_e32 v1, v1, v5
	v_add_f32_e32 v1, v1, v4
	v_cvt_i32_f32_e32 v4, v5
	v_sub_f32_e32 v5, v16, v36
	v_mul_f32_e32 v10, 0x3fb8aa3b, v5
	v_fma_f32 v11, v5, s3, -v10
	v_rndne_f32_e32 v16, v10
	v_fmac_f32_e32 v11, 0x32a5705f, v5
	v_sub_f32_e32 v10, v10, v16
	v_add_f32_e32 v10, v10, v11
	v_exp_f32_e32 v1, v1
	v_exp_f32_e32 v10, v10
	v_cvt_i32_f32_e32 v11, v16
	v_cmp_ngt_f32_e32 vcc, s0, v3
	v_cndmask_b32_e32 v0, 0, v0, vcc
	v_cmp_nlt_f32_e32 vcc, s2, v3
	v_cndmask_b32_e32 v49, v23, v0, vcc
	v_ldexp_f32 v0, v1, v4
	v_ldexp_f32 v1, v10, v11
	v_cmp_ngt_f32_e32 vcc, s0, v5
	v_cndmask_b32_e32 v1, 0, v1, vcc
	v_cmp_nlt_f32_e32 vcc, s2, v5
	s_mov_b32 s1, 0xc1a00000
	v_cndmask_b32_e32 v1, v23, v1, vcc
	v_cmp_le_f32_e32 vcc, s1, v5
	v_cvt_f16_f32_e32 v5, v26
	v_cvt_f16_f32_e32 v10, v27
	;; [unrolled: 1-line block ×6, first 2 shown]
	v_cndmask_b32_e32 v60, 0, v1, vcc
	v_cmp_ngt_f32_e32 vcc, s0, v2
	v_cvt_f16_f32_e32 v62, v60
	v_cndmask_b32_e32 v0, 0, v0, vcc
	v_cmp_nlt_f32_e32 vcc, s2, v2
	v_cndmask_b32_e32 v61, v23, v0, vcc
	v_cvt_f16_f32_e32 v0, v24
	v_cvt_f16_f32_e32 v2, v25
	s_waitcnt vmcnt(3)
	ds_write_b128 v17, v[6:9]
	s_waitcnt vmcnt(2)
	ds_write_b128 v20, v[12:15]
	;; [unrolled: 2-line block ×4, first 2 shown]
	v_lshl_add_u32 v9, v58, 1, 0
	v_pack_b32_f16 v31, v10, v5
	v_pack_b32_f16 v28, v16, v11
	;; [unrolled: 1-line block ×3, first 2 shown]
	s_waitcnt lgkmcnt(0)
	s_barrier
	v_lshl_add_u32 v7, v56, 1, 0
	v_add3_u32 v5, 0, v57, v54
	v_add3_u32 v8, 0, v59, v54
	s_mov_b32 s0, 0x5040100
	ds_read_u16 v13, v9
	ds_read_u16 v6, v9 offset:32
	ds_read_u16 v10, v9 offset:64
	;; [unrolled: 1-line block ×7, first 2 shown]
	ds_read_u16 v14, v8
	ds_read_u16 v17, v8 offset:32
	ds_read_u16 v18, v8 offset:64
	;; [unrolled: 1-line block ×7, first 2 shown]
	s_waitcnt lgkmcnt(7)
	v_perm_b32 v15, v14, v13, s0
	ds_read_u16 v13, v7
	ds_read_u16 v22, v7 offset:32
	ds_read_u16 v23, v7 offset:64
	;; [unrolled: 1-line block ×15, first 2 shown]
	v_pk_mul_f16 v1, v62, v165 op_sel_hi:[0,1]
	v_pk_mul_f16 v3, v62, v164 op_sel_hi:[0,1]
	s_waitcnt lgkmcnt(7)
	v_perm_b32 v14, v14, v13, s0
	v_pack_b32_f16 v30, v2, v0
	v_cvt_f32_f16_e32 v0, v1
	v_cvt_f32_f16_sdwa v1, v1 dst_sel:DWORD dst_unused:UNUSED_PAD src0_sel:WORD_1
	v_cvt_f32_f16_e32 v2, v3
	v_cvt_f32_f16_sdwa v3, v3 dst_sel:DWORD dst_unused:UNUSED_PAD src0_sel:WORD_1
	v_cvt_f16_f32_e32 v11, v43
	v_cvt_f16_f32_e32 v13, v44
	v_mfma_f32_16x16x16f16 v[0:3], v[14:15], v[30:31], v[0:3]
	ds_read_u16 v14, v9 offset:4352
	ds_read_u16 v95, v9 offset:4384
	;; [unrolled: 1-line block ×16, first 2 shown]
	s_waitcnt lgkmcnt(7)
	v_perm_b32 v15, v15, v14, s0
	ds_read_u16 v14, v7 offset:4352
	ds_read_u16 v122, v7 offset:4384
	;; [unrolled: 1-line block ×16, first 2 shown]
	s_waitcnt lgkmcnt(7)
	v_perm_b32 v14, v32, v14, s0
	v_pack_b32_f16 v32, v13, v11
	v_cvt_f16_f32_e32 v33, v45
	v_cvt_f16_f32_e32 v34, v46
	;; [unrolled: 1-line block ×6, first 2 shown]
	v_cvt_f32_f16_e32 v0, v0
	v_cvt_f32_f16_e32 v1, v1
	;; [unrolled: 1-line block ×4, first 2 shown]
	v_cvt_f16_f32_e32 v35, v49
	v_cvt_f16_f32_e32 v56, v61
	v_mfma_f32_16x16x16f16 v[0:3], v[14:15], v[28:29], v[0:3]
	ds_read_u16 v13, v9 offset:8704
	ds_read_u16 v136, v9 offset:8736
	;; [unrolled: 1-line block ×16, first 2 shown]
	s_waitcnt lgkmcnt(7)
	v_perm_b32 v15, v14, v13, s0
	ds_read_u16 v13, v7 offset:8704
	ds_read_u16 v150, v7 offset:8736
	;; [unrolled: 1-line block ×16, first 2 shown]
	s_waitcnt lgkmcnt(7)
	v_perm_b32 v14, v14, v13, s0
	v_pack_b32_f16 v33, v34, v33
	v_pk_mul_f16 v4, v62, v166 op_sel_hi:[0,1]
	v_pack_b32_f16 v35, v56, v35
	v_cvt_f16_f32_e32 v0, v0
	v_cvt_f16_f32_e32 v1, v1
	;; [unrolled: 1-line block ×4, first 2 shown]
	v_cvt_f32_f16_e32 v0, v0
	v_cvt_f32_f16_e32 v1, v1
	;; [unrolled: 1-line block ×5, first 2 shown]
	v_cvt_f32_f16_sdwa v57, v4 dst_sel:DWORD dst_unused:UNUSED_PAD src0_sel:WORD_1
	v_mfma_f32_16x16x16f16 v[0:3], v[14:15], v[32:33], v[0:3]
	ds_read_u16 v14, v9 offset:13056
	ds_read_u16 v15, v9 offset:13088
	;; [unrolled: 1-line block ×16, first 2 shown]
	s_waitcnt lgkmcnt(7)
	v_perm_b32 v9, v9, v14, s0
	ds_read_u16 v8, v7 offset:13056
	ds_read_u16 v14, v7 offset:13088
	;; [unrolled: 1-line block ×16, first 2 shown]
	s_waitcnt lgkmcnt(7)
	v_perm_b32 v8, v7, v8, s0
	v_pk_mul_f16 v7, v62, v100 op_sel_hi:[0,1]
	v_perm_b32 v5, v17, v6, s0
	v_perm_b32 v4, v59, v22, s0
	v_cvt_f32_f16_e32 v58, v7
	v_cvt_f32_f16_sdwa v59, v7 dst_sel:DWORD dst_unused:UNUSED_PAD src0_sel:WORD_1
	v_cvt_f16_f32_e32 v0, v0
	v_cvt_f16_f32_e32 v1, v1
	v_mfma_f32_16x16x16f16 v[4:7], v[4:5], v[30:31], v[56:59]
	v_cvt_f16_f32_e32 v2, v2
	v_cvt_f16_f32_e32 v3, v3
	v_cvt_f16_f32_e32 v11, v47
	v_cvt_f16_f32_e32 v13, v48
	v_cvt_f32_f16_e32 v0, v0
	v_cvt_f32_f16_e32 v1, v1
	;; [unrolled: 1-line block ×4, first 2 shown]
	s_nop 2
	v_cvt_f16_f32_e32 v4, v4
	v_cvt_f16_f32_e32 v5, v5
	;; [unrolled: 1-line block ×4, first 2 shown]
	v_pack_b32_f16 v34, v13, v11
	v_cvt_f32_f16_e32 v4, v4
	v_cvt_f32_f16_e32 v5, v5
	v_mfma_f32_16x16x16f16 v[0:3], v[8:9], v[34:35], v[0:3]
	v_perm_b32 v9, v115, v95, s0
	v_perm_b32 v8, v129, v122, s0
	v_cvt_f32_f16_e32 v6, v6
	v_cvt_f32_f16_e32 v7, v7
	v_pk_mul_f16 v11, v62, v102 op_sel_hi:[0,1]
	v_pk_mul_f16 v13, v62, v101 op_sel_hi:[0,1]
	v_cvt_f32_f16_e32 v56, v11
	v_mfma_f32_16x16x16f16 v[4:7], v[8:9], v[28:29], v[4:7]
	v_perm_b32 v9, v143, v136, s0
	v_perm_b32 v8, v157, v150, s0
	v_cvt_f32_f16_sdwa v57, v11 dst_sel:DWORD dst_unused:UNUSED_PAD src0_sel:WORD_1
	v_cvt_f32_f16_e32 v58, v13
	v_cvt_f32_f16_sdwa v59, v13 dst_sel:DWORD dst_unused:UNUSED_PAD src0_sel:WORD_1
	v_pk_mul_f16 v13, v62, v104 op_sel_hi:[0,1]
	v_pk_mul_f16 v17, v62, v103 op_sel_hi:[0,1]
	s_nop 3
	v_cvt_f16_f32_e32 v4, v4
	v_cvt_f16_f32_e32 v5, v5
	;; [unrolled: 1-line block ×4, first 2 shown]
	v_cvt_f32_f16_e32 v4, v4
	v_cvt_f32_f16_e32 v5, v5
	;; [unrolled: 1-line block ×4, first 2 shown]
	v_pk_mul_f16 v22, v62, v105 op_sel_hi:[0,1]
	v_perm_b32 v65, v65, v54, s0
	v_mfma_f32_16x16x16f16 v[4:7], v[8:9], v[32:33], v[4:7]
	v_perm_b32 v9, v170, v15, s0
	s_waitcnt lgkmcnt(6)
	v_perm_b32 v8, v183, v14, s0
	v_perm_b32 v15, v116, v96, s0
	v_perm_b32 v14, v130, v123, s0
	v_perm_b32 v63, v66, v63, s0
	s_mov_b32 s1, 0
	v_cmp_gt_u32_e32 vcc, 16, v50
	s_nop 2
	v_cvt_f16_f32_e32 v4, v4
	v_cvt_f16_f32_e32 v5, v5
	;; [unrolled: 1-line block ×4, first 2 shown]
	v_cvt_f32_f16_e32 v4, v4
	v_cvt_f32_f16_e32 v5, v5
	;; [unrolled: 1-line block ×4, first 2 shown]
	s_waitcnt lgkmcnt(0)
	s_barrier
	v_mfma_f32_16x16x16f16 v[4:7], v[8:9], v[34:35], v[4:7]
	v_perm_b32 v9, v18, v10, s0
	v_perm_b32 v8, v74, v23, s0
	;; [unrolled: 1-line block ×4, first 2 shown]
	s_barrier
	v_mfma_f32_16x16x16f16 v[8:11], v[8:9], v[30:31], v[56:59]
	s_nop 6
	v_cvt_f32_f16_e32 v56, v13
	s_nop 2
	v_cvt_f16_f32_e32 v8, v8
	v_cvt_f16_f32_e32 v9, v9
	;; [unrolled: 1-line block ×4, first 2 shown]
	v_cvt_f32_f16_e32 v8, v8
	v_cvt_f32_f16_e32 v9, v9
	;; [unrolled: 1-line block ×4, first 2 shown]
	v_cvt_f32_f16_sdwa v57, v13 dst_sel:DWORD dst_unused:UNUSED_PAD src0_sel:WORD_1
	v_perm_b32 v13, v19, v12, s0
	v_mfma_f32_16x16x16f16 v[8:11], v[14:15], v[28:29], v[8:11]
	v_perm_b32 v15, v144, v137, s0
	v_perm_b32 v14, v158, v151, s0
	;; [unrolled: 1-line block ×3, first 2 shown]
	v_cvt_f32_f16_e32 v58, v17
	v_cvt_f32_f16_sdwa v59, v17 dst_sel:DWORD dst_unused:UNUSED_PAD src0_sel:WORD_1
	v_perm_b32 v19, v117, v97, s0
	v_pk_mul_f16 v17, v62, v106 op_sel_hi:[0,1]
	s_nop 3
	v_cvt_f16_f32_e32 v8, v8
	v_cvt_f16_f32_e32 v9, v9
	v_cvt_f16_f32_e32 v10, v10
	v_cvt_f16_f32_e32 v11, v11
	v_cvt_f32_f16_e32 v8, v8
	v_cvt_f32_f16_e32 v9, v9
	;; [unrolled: 1-line block ×4, first 2 shown]
	s_nop 1
	v_mfma_f32_16x16x16f16 v[8:11], v[14:15], v[32:33], v[8:11]
	v_perm_b32 v15, v171, v164, s0
	v_perm_b32 v14, v184, v177, s0
	s_nop 7
	s_nop 0
	v_cvt_f16_f32_e32 v8, v8
	v_cvt_f16_f32_e32 v9, v9
	;; [unrolled: 1-line block ×4, first 2 shown]
	v_cvt_f32_f16_e32 v8, v8
	v_cvt_f32_f16_e32 v9, v9
	;; [unrolled: 1-line block ×4, first 2 shown]
	s_nop 1
	v_mfma_f32_16x16x16f16 v[8:11], v[14:15], v[34:35], v[8:11]
	v_mfma_f32_16x16x16f16 v[12:15], v[12:13], v[30:31], v[56:59]
	s_nop 6
	v_cvt_f32_f16_e32 v56, v17
	s_nop 2
	v_cvt_f16_f32_e32 v12, v12
	v_cvt_f16_f32_e32 v13, v13
	;; [unrolled: 1-line block ×4, first 2 shown]
	v_cvt_f32_f16_e32 v12, v12
	v_cvt_f32_f16_e32 v13, v13
	;; [unrolled: 1-line block ×4, first 2 shown]
	v_cvt_f32_f16_sdwa v57, v17 dst_sel:DWORD dst_unused:UNUSED_PAD src0_sel:WORD_1
	v_perm_b32 v17, v21, v16, s0
	v_mfma_f32_16x16x16f16 v[12:15], v[18:19], v[28:29], v[12:15]
	v_perm_b32 v19, v145, v138, s0
	v_perm_b32 v18, v159, v152, s0
	;; [unrolled: 1-line block ×3, first 2 shown]
	v_cvt_f32_f16_e32 v58, v22
	v_cvt_f32_f16_sdwa v59, v22 dst_sel:DWORD dst_unused:UNUSED_PAD src0_sel:WORD_1
	v_perm_b32 v22, v132, v125, s0
	v_pk_mul_f16 v21, v62, v108 op_sel_hi:[0,1]
	s_nop 3
	v_cvt_f16_f32_e32 v12, v12
	v_cvt_f16_f32_e32 v13, v13
	;; [unrolled: 1-line block ×4, first 2 shown]
	v_cvt_f32_f16_e32 v12, v12
	v_cvt_f32_f16_e32 v13, v13
	;; [unrolled: 1-line block ×4, first 2 shown]
	s_nop 1
	v_mfma_f32_16x16x16f16 v[12:15], v[18:19], v[32:33], v[12:15]
	v_perm_b32 v19, v172, v165, s0
	v_perm_b32 v18, v185, v178, s0
	s_nop 7
	s_nop 0
	v_cvt_f16_f32_e32 v12, v12
	v_cvt_f16_f32_e32 v13, v13
	;; [unrolled: 1-line block ×4, first 2 shown]
	v_cvt_f32_f16_e32 v12, v12
	v_cvt_f32_f16_e32 v13, v13
	;; [unrolled: 1-line block ×4, first 2 shown]
	s_nop 1
	v_mfma_f32_16x16x16f16 v[12:15], v[18:19], v[34:35], v[12:15]
	v_mfma_f32_16x16x16f16 v[16:19], v[16:17], v[30:31], v[56:59]
	s_nop 6
	v_pk_mul_f16 v59, v62, v107 op_sel_hi:[0,1]
	s_nop 2
	v_cvt_f16_f32_e32 v16, v16
	v_cvt_f16_f32_e32 v17, v17
	;; [unrolled: 1-line block ×4, first 2 shown]
	v_cvt_f32_f16_e32 v16, v16
	v_cvt_f32_f16_e32 v17, v17
	;; [unrolled: 1-line block ×5, first 2 shown]
	v_cvt_f32_f16_sdwa v57, v21 dst_sel:DWORD dst_unused:UNUSED_PAD src0_sel:WORD_1
	v_mfma_f32_16x16x16f16 v[16:19], v[22:23], v[28:29], v[16:19]
	v_perm_b32 v23, v146, v139, s0
	v_perm_b32 v22, v160, v153, s0
	;; [unrolled: 1-line block ×4, first 2 shown]
	v_cvt_f32_f16_e32 v58, v59
	v_cvt_f32_f16_sdwa v59, v59 dst_sel:DWORD dst_unused:UNUSED_PAD src0_sel:WORD_1
	v_perm_b32 v64, v93, v70, s0
	s_nop 3
	v_cvt_f16_f32_e32 v16, v16
	v_cvt_f16_f32_e32 v17, v17
	;; [unrolled: 1-line block ×4, first 2 shown]
	v_cvt_f32_f16_e32 v16, v16
	v_cvt_f32_f16_e32 v17, v17
	;; [unrolled: 1-line block ×4, first 2 shown]
	s_nop 1
	v_mfma_f32_16x16x16f16 v[16:19], v[22:23], v[32:33], v[16:19]
	v_perm_b32 v23, v173, v166, s0
	v_perm_b32 v22, v186, v179, s0
	s_nop 7
	s_nop 0
	v_cvt_f16_f32_e32 v16, v16
	v_cvt_f16_f32_e32 v17, v17
	;; [unrolled: 1-line block ×4, first 2 shown]
	v_cvt_f32_f16_e32 v16, v16
	v_cvt_f32_f16_e32 v17, v17
	v_cvt_f32_f16_e32 v18, v18
	v_cvt_f32_f16_e32 v19, v19
	s_nop 1
	v_mfma_f32_16x16x16f16 v[16:19], v[22:23], v[34:35], v[16:19]
	v_mfma_f32_16x16x16f16 v[20:23], v[20:21], v[30:31], v[56:59]
	s_nop 6
	v_perm_b32 v57, v119, v99, s0
	s_nop 2
	v_cvt_f16_f32_e32 v20, v20
	v_cvt_f16_f32_e32 v21, v21
	;; [unrolled: 1-line block ×4, first 2 shown]
	v_perm_b32 v56, v133, v126, s0
	v_cvt_f32_f16_e32 v20, v20
	v_cvt_f32_f16_e32 v21, v21
	v_cvt_f32_f16_e32 v22, v22
	v_cvt_f32_f16_e32 v23, v23
	v_pk_mul_f16 v58, v62, v110 op_sel_hi:[0,1]
	v_pk_mul_f16 v59, v62, v109 op_sel_hi:[0,1]
	v_mfma_f32_16x16x16f16 v[20:23], v[56:57], v[28:29], v[20:23]
	v_perm_b32 v57, v147, v140, s0
	v_perm_b32 v56, v161, v154, s0
	s_nop 7
	s_nop 0
	v_cvt_f16_f32_e32 v20, v20
	v_cvt_f16_f32_e32 v21, v21
	v_cvt_f16_f32_e32 v22, v22
	v_cvt_f16_f32_e32 v23, v23
	v_cvt_f32_f16_e32 v20, v20
	v_cvt_f32_f16_e32 v21, v21
	;; [unrolled: 1-line block ×4, first 2 shown]
	s_nop 1
	v_mfma_f32_16x16x16f16 v[20:23], v[56:57], v[32:33], v[20:23]
	v_perm_b32 v57, v174, v167, s0
	v_perm_b32 v56, v187, v180, s0
	s_nop 7
	s_nop 0
	v_cvt_f16_f32_e32 v20, v20
	v_cvt_f16_f32_e32 v21, v21
	;; [unrolled: 1-line block ×4, first 2 shown]
	v_cvt_f32_f16_e32 v20, v20
	v_cvt_f32_f16_e32 v21, v21
	;; [unrolled: 1-line block ×4, first 2 shown]
	s_nop 1
	v_mfma_f32_16x16x16f16 v[20:23], v[56:57], v[34:35], v[20:23]
	v_cvt_f32_f16_e32 v56, v58
	v_cvt_f32_f16_sdwa v57, v58 dst_sel:DWORD dst_unused:UNUSED_PAD src0_sel:WORD_1
	v_cvt_f32_f16_e32 v58, v59
	v_cvt_f32_f16_sdwa v59, v59 dst_sel:DWORD dst_unused:UNUSED_PAD src0_sel:WORD_1
	s_nop 1
	v_mfma_f32_16x16x16f16 v[56:59], v[64:65], v[30:31], v[56:59]
	v_perm_b32 v65, v120, v113, s0
	v_perm_b32 v64, v134, v127, s0
	s_nop 7
	s_nop 0
	v_cvt_f16_f32_e32 v54, v56
	v_cvt_f16_f32_e32 v57, v57
	;; [unrolled: 1-line block ×4, first 2 shown]
	v_cvt_f32_f16_e32 v56, v54
	v_cvt_f32_f16_e32 v57, v57
	v_cvt_f32_f16_e32 v58, v58
	v_cvt_f32_f16_e32 v59, v59
	v_add_f32_e32 v54, v25, v24
	v_add_f32_e32 v27, v27, v54
	v_mfma_f32_16x16x16f16 v[56:59], v[64:65], v[28:29], v[56:59]
	v_add_f32_e32 v26, v26, v27
	v_add_f32_e32 v41, v41, v26
	;; [unrolled: 1-line block ×3, first 2 shown]
	v_pk_mul_f16 v41, v62, v112 op_sel_hi:[0,1]
	v_pk_mul_f16 v54, v62, v111 op_sel_hi:[0,1]
	v_perm_b32 v62, v94, v72, s0
	v_add_f32_e32 v39, v42, v39
	s_nop 3
	v_cvt_f16_f32_e32 v24, v56
	v_cvt_f16_f32_e32 v25, v57
	;; [unrolled: 1-line block ×4, first 2 shown]
	v_cvt_f32_f16_e32 v56, v24
	v_cvt_f32_f16_e32 v57, v25
	v_perm_b32 v25, v148, v141, s0
	v_perm_b32 v24, v162, v155, s0
	v_cvt_f32_f16_e32 v58, v58
	v_cvt_f32_f16_e32 v59, v59
	v_add_f32_e32 v39, v40, v39
	v_add_f32_e32 v39, v44, v39
	v_mfma_f32_16x16x16f16 v[24:27], v[24:25], v[32:33], v[56:59]
	v_add_f32_e32 v39, v43, v39
	v_add_f32_e32 v39, v46, v39
	;; [unrolled: 1-line block ×4, first 2 shown]
	s_nop 2
	v_perm_b32 v57, v175, v168, s0
	v_perm_b32 v56, v188, v181, s0
	v_cvt_f32_f16_e32 v58, v54
	s_nop 0
	v_cvt_f16_f32_e32 v24, v24
	v_cvt_f16_f32_e32 v25, v25
	;; [unrolled: 1-line block ×4, first 2 shown]
	v_cvt_f32_f16_e32 v24, v24
	v_cvt_f32_f16_e32 v25, v25
	;; [unrolled: 1-line block ×4, first 2 shown]
	v_cvt_f32_f16_sdwa v59, v54 dst_sel:DWORD dst_unused:UNUSED_PAD src0_sel:WORD_1
	v_add_f32_e32 v39, v47, v39
	v_mfma_f32_16x16x16f16 v[24:27], v[56:57], v[34:35], v[24:27]
	v_cvt_f32_f16_e32 v56, v41
	v_cvt_f32_f16_sdwa v57, v41 dst_sel:DWORD dst_unused:UNUSED_PAD src0_sel:WORD_1
	v_add_f32_e32 v39, v61, v39
	v_add_f32_e32 v39, v49, v39
	v_fmac_f32_e32 v39, v55, v60
	ds_bpermute_b32 v37, v37, v39
	v_mfma_f32_16x16x16f16 v[56:59], v[62:63], v[30:31], v[56:59]
	s_nop 7
	s_nop 2
	v_cvt_f16_f32_e32 v30, v56
	v_cvt_f16_f32_e32 v31, v57
	;; [unrolled: 1-line block ×4, first 2 shown]
	v_cvt_f32_f16_e32 v56, v30
	v_cvt_f32_f16_e32 v57, v31
	v_perm_b32 v31, v121, v114, s0
	v_perm_b32 v30, v135, v128, s0
	v_cvt_f32_f16_e32 v58, v40
	v_cvt_f32_f16_e32 v59, v41
	v_perm_b32 v41, v149, v142, s0
	v_perm_b32 v40, v163, v156, s0
	v_mfma_f32_16x16x16f16 v[28:31], v[30:31], v[28:29], v[56:59]
	s_nop 7
	s_nop 2
	v_cvt_f16_f32_e32 v28, v28
	v_cvt_f16_f32_e32 v29, v29
	v_cvt_f16_f32_e32 v30, v30
	v_cvt_f16_f32_e32 v31, v31
	v_cvt_f32_f16_e32 v28, v28
	v_cvt_f32_f16_e32 v29, v29
	;; [unrolled: 1-line block ×4, first 2 shown]
	s_nop 1
	v_mfma_f32_16x16x16f16 v[28:31], v[40:41], v[32:33], v[28:31]
	v_perm_b32 v33, v176, v169, s0
	v_perm_b32 v32, v189, v182, s0
	s_nop 7
	s_nop 0
	v_cvt_f16_f32_e32 v28, v28
	v_cvt_f16_f32_e32 v29, v29
	;; [unrolled: 1-line block ×4, first 2 shown]
	v_cvt_f32_f16_e32 v28, v28
	v_cvt_f32_f16_e32 v29, v29
	;; [unrolled: 1-line block ×4, first 2 shown]
	s_nop 1
	v_mfma_f32_16x16x16f16 v[28:31], v[32:33], v[34:35], v[28:31]
	s_waitcnt lgkmcnt(0)
	v_add_f32_e32 v32, v39, v37
	ds_bpermute_b32 v33, v38, v32
	s_and_saveexec_b64 s[2:3], vcc
	v_readlane_b32 s6, v255, 8
	s_cbranch_execz .LBB24_434
; %bb.433:
	v_readlane_b32 s0, v255, 11
	s_add_i32 s0, s0, s6
	s_lshl_b32 s0, s0, 6
	s_lshl_b64 s[4:5], s[0:1], 3
	s_add_u32 s0, s22, s4
	v_or_b32_e32 v34, v53, v50
	v_mov_b32_e32 v35, 0
	s_addc_u32 s4, s23, s5
	v_lshlrev_b64 v[34:35], 3, v[34:35]
	v_mov_b32_e32 v37, s4
	v_add_co_u32_e32 v34, vcc, s0, v34
	v_addc_co_u32_e32 v35, vcc, v37, v35, vcc
	s_waitcnt lgkmcnt(0)
	v_add_f32_e32 v37, v32, v33
	global_store_dwordx2 v[34:35], v[36:37], off
.LBB24_434:
	s_or_b64 exec, exec, s[2:3]
	v_cvt_f16_f32_e32 v0, v0
	v_cvt_f16_f32_e32 v1, v1
	v_cvt_f16_f32_e32 v2, v2
	v_cvt_f16_f32_e32 v3, v3
	v_cvt_f16_f32_e32 v4, v4
	v_cvt_f16_f32_e32 v6, v6
	v_cvt_f16_f32_e32 v7, v7
	v_cvt_f16_f32_e32 v5, v5
	v_pack_b32_f16 v2, v2, v3
	v_pack_b32_f16 v0, v0, v1
	v_pack_b32_f16 v1, v6, v7
	v_pack_b32_f16 v3, v4, v5
	v_cvt_f16_f32_e32 v4, v8
	v_cvt_f16_f32_e32 v5, v9
	v_cvt_f16_f32_e32 v6, v10
	v_cvt_f16_f32_e32 v7, v11
	v_cvt_f16_f32_e32 v8, v12
	v_cvt_f16_f32_e32 v9, v14
	v_cvt_f16_f32_e32 v10, v15
	v_cvt_f16_f32_e32 v11, v13
	v_pack_b32_f16 v6, v6, v7
	v_pack_b32_f16 v4, v4, v5
	v_pack_b32_f16 v5, v9, v10
	v_pack_b32_f16 v7, v8, v11
	;; [unrolled: 12-line block ×3, first 2 shown]
	v_cvt_f16_f32_e32 v14, v26
	v_cvt_f16_f32_e32 v15, v27
	;; [unrolled: 1-line block ×8, first 2 shown]
	v_pack_b32_f16 v14, v14, v15
	v_pack_b32_f16 v15, v16, v19
	v_or_b32_e32 v16, v53, v51
	s_movk_i32 s2, 0x44
	v_mad_i32_i24 v16, v16, s2, v52
	v_readlane_b32 s4, v255, 4
	v_lshl_add_u32 v16, v16, 2, 0
	v_readlane_b32 s5, v255, 5
	v_pack_b32_f16 v12, v12, v13
	v_pack_b32_f16 v13, v17, v18
	ds_write2_b32 v16, v0, v2 offset1:1
	ds_write2_b32 v16, v3, v1 offset0:8 offset1:9
	ds_write2_b32 v16, v4, v6 offset0:16 offset1:17
	ds_write2_b32 v16, v7, v5 offset0:24 offset1:25
	ds_write2_b32 v16, v8, v10 offset0:32 offset1:33
	ds_write2_b32 v16, v11, v9 offset0:40 offset1:41
	ds_write2_b32 v16, v12, v14 offset0:48 offset1:49
	ds_write2_b32 v16, v15, v13 offset0:56 offset1:57
	s_waitcnt lgkmcnt(0)
	s_barrier
	s_load_dword s0, s[4:5], 0x10
	s_load_dword s3, s[4:5], 0x0
	v_mad_u32_u24 v8, v92, s2, v50
	v_lshl_add_u32 v9, v8, 2, 0
	ds_read_b32 v5, v9
	ds_read_b32 v6, v9 offset:1088
	ds_read_b32 v7, v9 offset:2176
	;; [unrolled: 1-line block ×7, first 2 shown]
	s_waitcnt lgkmcnt(0)
	s_lshr_b32 s0, s0, 16
	s_cmp_lg_u32 s0, 0
	s_cselect_b64 s[4:5], -1, 0
	s_cmp_lg_u64 s[4:5], 0
	s_addc_u32 s0, s3, 0
	s_lshl_b32 s0, s0, 7
	s_lshl_b64 s[4:5], s[0:1], 3
	s_add_u32 s3, s22, s4
	s_addc_u32 s4, s23, s5
	s_lshl_b32 s0, s6, 12
	s_lshl_b64 s[0:1], s[0:1], 3
	v_lshlrev_b32_e32 v0, 2, v92
	v_cvt_f32_f16_e32 v4, v5
	v_cvt_f32_f16_sdwa v5, v5 dst_sel:DWORD dst_unused:UNUSED_PAD src0_sel:WORD_1
	v_mov_b32_e32 v1, 0
	s_add_u32 s0, s3, s0
	v_sub_u32_e32 v0, v8, v0
	s_addc_u32 s1, s4, s1
	v_lshlrev_b64 v[2:3], 3, v[0:1]
	v_mov_b32_e32 v0, s1
	v_add_co_u32_e32 v2, vcc, s0, v2
	v_addc_co_u32_e32 v3, vcc, v0, v3, vcc
	v_pk_add_f32 v[4:5], v[4:5], 0 op_sel_hi:[1,0]
	v_add_u32_e32 v15, 0x110, v8
	v_lshlrev_b32_e32 v0, 2, v91
	global_store_dwordx2 v[2:3], v[4:5], off
	v_sub_u32_e32 v0, v15, v0
	v_cvt_f32_f16_e32 v4, v6
	v_cvt_f32_f16_sdwa v5, v6 dst_sel:DWORD dst_unused:UNUSED_PAD src0_sel:WORD_1
	v_lshlrev_b64 v[2:3], 3, v[0:1]
	v_mov_b32_e32 v0, s1
	v_add_co_u32_e32 v2, vcc, s0, v2
	v_addc_co_u32_e32 v3, vcc, v0, v3, vcc
	v_lshlrev_b32_e32 v0, 2, v90
	v_pk_add_f32 v[4:5], v[4:5], 0 op_sel_hi:[1,0]
	v_sub_u32_e32 v0, v15, v0
	global_store_dwordx2 v[2:3], v[4:5], off
	v_add_u32_e32 v0, 0x110, v0
	v_cvt_f32_f16_e32 v4, v7
	v_cvt_f32_f16_sdwa v5, v7 dst_sel:DWORD dst_unused:UNUSED_PAD src0_sel:WORD_1
	v_lshlrev_b64 v[2:3], 3, v[0:1]
	v_mov_b32_e32 v0, s1
	v_add_co_u32_e32 v2, vcc, s0, v2
	v_addc_co_u32_e32 v3, vcc, v0, v3, vcc
	v_add_u32_e32 v15, 0x330, v8
	v_lshlrev_b32_e32 v0, 2, v89
	v_pk_add_f32 v[4:5], v[4:5], 0 op_sel_hi:[1,0]
	v_sub_u32_e32 v0, v15, v0
	global_store_dwordx2 v[2:3], v[4:5], off
	v_lshlrev_b64 v[2:3], 3, v[0:1]
	v_mov_b32_e32 v0, s1
	v_add_co_u32_e32 v2, vcc, s0, v2
	s_movk_i32 s3, 0x7f0
	v_addc_co_u32_e32 v3, vcc, v0, v3, vcc
	v_and_or_b32 v0, v87, s3, v88
	v_mad_u32_u24 v0, v0, s2, v50
	v_lshl_add_u32 v0, v0, 2, 0
	ds_read_b32 v0, v0
	v_and_or_b32 v6, v83, s3, v88
	v_and_or_b32 v7, v77, s3, v88
	v_mad_u32_u24 v6, v6, s2, v50
	v_mad_u32_u24 v7, v7, s2, v50
	v_cvt_f32_f16_e32 v4, v10
	v_cvt_f32_f16_sdwa v5, v10 dst_sel:DWORD dst_unused:UNUSED_PAD src0_sel:WORD_1
	v_lshl_add_u32 v6, v6, 2, 0
	v_lshl_add_u32 v7, v7, 2, 0
	ds_read_b32 v10, v6
	ds_read_b32 v16, v7
	s_waitcnt lgkmcnt(2)
	v_cvt_f32_f16_e32 v6, v0
	v_cvt_f32_f16_sdwa v7, v0 dst_sel:DWORD dst_unused:UNUSED_PAD src0_sel:WORD_1
	v_pk_add_f32 v[4:5], v[4:5], 0 op_sel_hi:[1,0]
	v_lshlrev_b32_e32 v0, 6, v87
	global_store_dwordx2 v[2:3], v[4:5], off
	v_add_lshl_u32 v0, v0, v50, 3
	v_pk_add_f32 v[2:3], v[6:7], 0 op_sel_hi:[1,0]
	global_store_dwordx2 v0, v[2:3], s[0:1]
	v_lshlrev_b32_e32 v0, 2, v86
	v_sub_u32_e32 v0, v15, v0
	v_cvt_f32_f16_e32 v4, v11
	v_cvt_f32_f16_sdwa v5, v11 dst_sel:DWORD dst_unused:UNUSED_PAD src0_sel:WORD_1
	v_add_u32_e32 v0, 0x220, v0
	v_lshlrev_b64 v[2:3], 3, v[0:1]
	v_mov_b32_e32 v0, s1
	v_add_co_u32_e32 v2, vcc, s0, v2
	v_addc_co_u32_e32 v3, vcc, v0, v3, vcc
	v_pk_add_f32 v[4:5], v[4:5], 0 op_sel_hi:[1,0]
	global_store_dwordx2 v[2:3], v[4:5], off
	v_add_u32_e32 v6, 0x660, v8
	v_lshlrev_b32_e32 v0, 2, v85
	v_cvt_f32_f16_e32 v4, v12
	v_cvt_f32_f16_sdwa v5, v12 dst_sel:DWORD dst_unused:UNUSED_PAD src0_sel:WORD_1
	v_sub_u32_e32 v0, v6, v0
	v_lshlrev_b64 v[2:3], 3, v[0:1]
	v_mov_b32_e32 v0, s1
	v_add_co_u32_e32 v2, vcc, s0, v2
	v_addc_co_u32_e32 v3, vcc, v0, v3, vcc
	v_pk_add_f32 v[4:5], v[4:5], 0 op_sel_hi:[1,0]
	v_lshlrev_b32_e32 v0, 2, v84
	global_store_dwordx2 v[2:3], v[4:5], off
	v_sub_u32_e32 v0, v6, v0
	v_cvt_f32_f16_e32 v4, v13
	v_cvt_f32_f16_sdwa v5, v13 dst_sel:DWORD dst_unused:UNUSED_PAD src0_sel:WORD_1
	v_add_u32_e32 v0, 0x110, v0
	s_waitcnt lgkmcnt(1)
	v_cvt_f32_f16_e32 v6, v10
	v_cvt_f32_f16_sdwa v7, v10 dst_sel:DWORD dst_unused:UNUSED_PAD src0_sel:WORD_1
	v_lshlrev_b64 v[2:3], 3, v[0:1]
	v_mov_b32_e32 v0, s1
	v_add_co_u32_e32 v2, vcc, s0, v2
	v_addc_co_u32_e32 v3, vcc, v0, v3, vcc
	v_pk_add_f32 v[4:5], v[4:5], 0 op_sel_hi:[1,0]
	v_lshlrev_b32_e32 v0, 6, v83
	global_store_dwordx2 v[2:3], v[4:5], off
	v_add_lshl_u32 v0, v0, v50, 3
	v_pk_add_f32 v[2:3], v[6:7], 0 op_sel_hi:[1,0]
	global_store_dwordx2 v0, v[2:3], s[0:1]
	v_add_u32_e32 v6, 0x990, v8
	v_lshlrev_b32_e32 v0, 2, v82
	v_cvt_f32_f16_e32 v4, v14
	v_cvt_f32_f16_sdwa v5, v14 dst_sel:DWORD dst_unused:UNUSED_PAD src0_sel:WORD_1
	v_sub_u32_e32 v0, v6, v0
	v_lshlrev_b64 v[2:3], 3, v[0:1]
	v_mov_b32_e32 v0, s1
	v_add_co_u32_e32 v2, vcc, s0, v2
	v_addc_co_u32_e32 v3, vcc, v0, v3, vcc
	v_pk_add_f32 v[4:5], v[4:5], 0 op_sel_hi:[1,0]
	global_store_dwordx2 v[2:3], v[4:5], off
	v_lshlrev_b32_e32 v0, 2, v81
	v_sub_u32_e32 v0, v6, v0
	ds_read_b32 v5, v9 offset:10880
	ds_read_b32 v6, v9 offset:11968
	;; [unrolled: 1-line block ×5, first 2 shown]
	s_waitcnt lgkmcnt(4)
	v_cvt_f32_f16_e32 v4, v5
	v_cvt_f32_f16_sdwa v5, v5 dst_sel:DWORD dst_unused:UNUSED_PAD src0_sel:WORD_1
	v_add_u32_e32 v0, 0x110, v0
	v_lshlrev_b64 v[2:3], 3, v[0:1]
	v_mov_b32_e32 v0, s1
	v_add_co_u32_e32 v2, vcc, s0, v2
	v_addc_co_u32_e32 v3, vcc, v0, v3, vcc
	v_pk_add_f32 v[4:5], v[4:5], 0 op_sel_hi:[1,0]
	global_store_dwordx2 v[2:3], v[4:5], off
	v_add_u32_e32 v12, 0xbb0, v8
	v_lshlrev_b32_e32 v0, 2, v79
	s_waitcnt lgkmcnt(3)
	v_cvt_f32_f16_e32 v4, v6
	v_cvt_f32_f16_sdwa v5, v6 dst_sel:DWORD dst_unused:UNUSED_PAD src0_sel:WORD_1
	v_sub_u32_e32 v0, v12, v0
	v_cvt_f32_f16_e32 v6, v16
	v_cvt_f32_f16_sdwa v7, v16 dst_sel:DWORD dst_unused:UNUSED_PAD src0_sel:WORD_1
	v_lshlrev_b64 v[2:3], 3, v[0:1]
	v_mov_b32_e32 v0, s1
	v_add_co_u32_e32 v2, vcc, s0, v2
	v_addc_co_u32_e32 v3, vcc, v0, v3, vcc
	v_pk_add_f32 v[4:5], v[4:5], 0 op_sel_hi:[1,0]
	v_lshlrev_b32_e32 v0, 6, v77
	global_store_dwordx2 v[2:3], v[4:5], off
	v_add_lshl_u32 v0, v0, v50, 3
	v_pk_add_f32 v[2:3], v[6:7], 0 op_sel_hi:[1,0]
	global_store_dwordx2 v0, v[2:3], s[0:1]
	v_lshlrev_b32_e32 v0, 2, v75
	v_sub_u32_e32 v0, v12, v0
	s_waitcnt lgkmcnt(2)
	v_cvt_f32_f16_e32 v4, v10
	v_cvt_f32_f16_sdwa v5, v10 dst_sel:DWORD dst_unused:UNUSED_PAD src0_sel:WORD_1
	v_add_u32_e32 v0, 0x220, v0
	v_lshlrev_b64 v[2:3], 3, v[0:1]
	v_mov_b32_e32 v0, s1
	v_add_co_u32_e32 v2, vcc, s0, v2
	v_addc_co_u32_e32 v3, vcc, v0, v3, vcc
	v_pk_add_f32 v[4:5], v[4:5], 0 op_sel_hi:[1,0]
	global_store_dwordx2 v[2:3], v[4:5], off
	v_add_u32_e32 v6, 0xee0, v8
	v_lshlrev_b32_e32 v0, 2, v73
	s_waitcnt lgkmcnt(1)
	v_cvt_f32_f16_e32 v4, v11
	v_cvt_f32_f16_sdwa v5, v11 dst_sel:DWORD dst_unused:UNUSED_PAD src0_sel:WORD_1
	v_sub_u32_e32 v0, v6, v0
	v_lshlrev_b64 v[2:3], 3, v[0:1]
	v_mov_b32_e32 v0, s1
	v_add_co_u32_e32 v2, vcc, s0, v2
	v_addc_co_u32_e32 v3, vcc, v0, v3, vcc
	v_pk_add_f32 v[4:5], v[4:5], 0 op_sel_hi:[1,0]
	v_lshlrev_b32_e32 v0, 2, v71
	global_store_dwordx2 v[2:3], v[4:5], off
	v_sub_u32_e32 v0, v6, v0
	s_waitcnt lgkmcnt(0)
	v_cvt_f32_f16_e32 v2, v9
	v_cvt_f32_f16_sdwa v3, v9 dst_sel:DWORD dst_unused:UNUSED_PAD src0_sel:WORD_1
	v_add_u32_e32 v0, 0x110, v0
	v_lshlrev_b64 v[0:1], 3, v[0:1]
	v_mov_b32_e32 v4, s1
	v_add_co_u32_e32 v0, vcc, s0, v0
	v_addc_co_u32_e32 v1, vcc, v4, v1, vcc
	v_pk_add_f32 v[2:3], v[2:3], 0 op_sel_hi:[1,0]
	global_store_dwordx2 v[0:1], v[2:3], off
.LBB24_435:
	s_endpgm
	.section	.rodata,"a",@progbits
	.p2align	6, 0x0
	.amdhsa_kernel _ZL18flash_attn_ext_f16ILi128ELi128ELi16ELi4ELb0ELb0EEvPKcS1_S1_S1_S1_PKiPfP15HIP_vector_typeIfLj2EEffffjfiS5_IjLj3EEiiiiiiiiiiiliiliiiiil
		.amdhsa_group_segment_fixed_size 0
		.amdhsa_private_segment_fixed_size 24
		.amdhsa_kernarg_size 464
		.amdhsa_user_sgpr_count 6
		.amdhsa_user_sgpr_private_segment_buffer 1
		.amdhsa_user_sgpr_dispatch_ptr 0
		.amdhsa_user_sgpr_queue_ptr 0
		.amdhsa_user_sgpr_kernarg_segment_ptr 1
		.amdhsa_user_sgpr_dispatch_id 0
		.amdhsa_user_sgpr_flat_scratch_init 0
		.amdhsa_user_sgpr_kernarg_preload_length 0
		.amdhsa_user_sgpr_kernarg_preload_offset 0
		.amdhsa_user_sgpr_private_segment_size 0
		.amdhsa_uses_dynamic_stack 0
		.amdhsa_system_sgpr_private_segment_wavefront_offset 1
		.amdhsa_system_sgpr_workgroup_id_x 1
		.amdhsa_system_sgpr_workgroup_id_y 0
		.amdhsa_system_sgpr_workgroup_id_z 0
		.amdhsa_system_sgpr_workgroup_info 0
		.amdhsa_system_vgpr_workitem_id 1
		.amdhsa_next_free_vgpr 256
		.amdhsa_next_free_sgpr 100
		.amdhsa_accum_offset 256
		.amdhsa_reserve_vcc 1
		.amdhsa_reserve_flat_scratch 0
		.amdhsa_float_round_mode_32 0
		.amdhsa_float_round_mode_16_64 0
		.amdhsa_float_denorm_mode_32 3
		.amdhsa_float_denorm_mode_16_64 3
		.amdhsa_dx10_clamp 1
		.amdhsa_ieee_mode 1
		.amdhsa_fp16_overflow 0
		.amdhsa_tg_split 0
		.amdhsa_exception_fp_ieee_invalid_op 0
		.amdhsa_exception_fp_denorm_src 0
		.amdhsa_exception_fp_ieee_div_zero 0
		.amdhsa_exception_fp_ieee_overflow 0
		.amdhsa_exception_fp_ieee_underflow 0
		.amdhsa_exception_fp_ieee_inexact 0
		.amdhsa_exception_int_div_zero 0
	.end_amdhsa_kernel
	.section	.text._ZL18flash_attn_ext_f16ILi128ELi128ELi16ELi4ELb0ELb0EEvPKcS1_S1_S1_S1_PKiPfP15HIP_vector_typeIfLj2EEffffjfiS5_IjLj3EEiiiiiiiiiiiliiliiiiil,"axG",@progbits,_ZL18flash_attn_ext_f16ILi128ELi128ELi16ELi4ELb0ELb0EEvPKcS1_S1_S1_S1_PKiPfP15HIP_vector_typeIfLj2EEffffjfiS5_IjLj3EEiiiiiiiiiiiliiliiiiil,comdat
.Lfunc_end24:
	.size	_ZL18flash_attn_ext_f16ILi128ELi128ELi16ELi4ELb0ELb0EEvPKcS1_S1_S1_S1_PKiPfP15HIP_vector_typeIfLj2EEffffjfiS5_IjLj3EEiiiiiiiiiiiliiliiiiil, .Lfunc_end24-_ZL18flash_attn_ext_f16ILi128ELi128ELi16ELi4ELb0ELb0EEvPKcS1_S1_S1_S1_PKiPfP15HIP_vector_typeIfLj2EEffffjfiS5_IjLj3EEiiiiiiiiiiiliiliiiiil
                                        ; -- End function
	.section	.AMDGPU.csdata,"",@progbits
; Kernel info:
; codeLenInByte = 65160
; NumSgprs: 104
; NumVgprs: 256
; NumAgprs: 0
; TotalNumVgprs: 256
; ScratchSize: 24
; MemoryBound: 0
; FloatMode: 240
; IeeeMode: 1
; LDSByteSize: 0 bytes/workgroup (compile time only)
; SGPRBlocks: 12
; VGPRBlocks: 31
; NumSGPRsForWavesPerEU: 104
; NumVGPRsForWavesPerEU: 256
; AccumOffset: 256
; Occupancy: 2
; WaveLimiterHint : 0
; COMPUTE_PGM_RSRC2:SCRATCH_EN: 1
; COMPUTE_PGM_RSRC2:USER_SGPR: 6
; COMPUTE_PGM_RSRC2:TRAP_HANDLER: 0
; COMPUTE_PGM_RSRC2:TGID_X_EN: 1
; COMPUTE_PGM_RSRC2:TGID_Y_EN: 0
; COMPUTE_PGM_RSRC2:TGID_Z_EN: 0
; COMPUTE_PGM_RSRC2:TIDIG_COMP_CNT: 1
; COMPUTE_PGM_RSRC3_GFX90A:ACCUM_OFFSET: 63
; COMPUTE_PGM_RSRC3_GFX90A:TG_SPLIT: 0
	.section	.text._ZL18flash_attn_ext_f16ILi128ELi128ELi16ELi4ELb1ELb0EEvPKcS1_S1_S1_S1_PKiPfP15HIP_vector_typeIfLj2EEffffjfiS5_IjLj3EEiiiiiiiiiiiliiliiiiil,"axG",@progbits,_ZL18flash_attn_ext_f16ILi128ELi128ELi16ELi4ELb1ELb0EEvPKcS1_S1_S1_S1_PKiPfP15HIP_vector_typeIfLj2EEffffjfiS5_IjLj3EEiiiiiiiiiiiliiliiiiil,comdat
	.globl	_ZL18flash_attn_ext_f16ILi128ELi128ELi16ELi4ELb1ELb0EEvPKcS1_S1_S1_S1_PKiPfP15HIP_vector_typeIfLj2EEffffjfiS5_IjLj3EEiiiiiiiiiiiliiliiiiil ; -- Begin function _ZL18flash_attn_ext_f16ILi128ELi128ELi16ELi4ELb1ELb0EEvPKcS1_S1_S1_S1_PKiPfP15HIP_vector_typeIfLj2EEffffjfiS5_IjLj3EEiiiiiiiiiiiliiliiiiil
	.p2align	8
	.type	_ZL18flash_attn_ext_f16ILi128ELi128ELi16ELi4ELb1ELb0EEvPKcS1_S1_S1_S1_PKiPfP15HIP_vector_typeIfLj2EEffffjfiS5_IjLj3EEiiiiiiiiiiiliiliiiiil,@function
_ZL18flash_attn_ext_f16ILi128ELi128ELi16ELi4ELb1ELb0EEvPKcS1_S1_S1_S1_PKiPfP15HIP_vector_typeIfLj2EEffffjfiS5_IjLj3EEiiiiiiiiiiiliiliiiiil: ; @_ZL18flash_attn_ext_f16ILi128ELi128ELi16ELi4ELb1ELb0EEvPKcS1_S1_S1_S1_PKiPfP15HIP_vector_typeIfLj2EEffffjfiS5_IjLj3EEiiiiiiiiiiiliiliiiiil
; %bb.0:
	s_mov_b64 s[98:99], s[2:3]
	s_mov_b64 s[96:97], s[0:1]
	s_load_dwordx2 s[2:3], s[4:5], 0x80
	s_load_dwordx4 s[24:27], s[4:5], 0x64
	s_add_u32 s96, s96, s7
	s_addc_u32 s97, s97, 0
	s_mov_b32 s19, s6
	s_waitcnt lgkmcnt(0)
	s_abs_i32 s1, s3
	v_cvt_f32_u32_e32 v1, s1
	s_sub_i32 s8, 0, s1
	s_abs_i32 s7, s25
	s_xor_b32 s6, s25, s3
	v_rcp_iflag_f32_e32 v1, v1
	s_ashr_i32 s6, s6, 31
                                        ; implicit-def: $vgpr254 : SGPR spill to VGPR lane
	s_load_dword s20, s[4:5], 0xd0
	s_mov_b32 s0, 0
	v_mul_f32_e32 v1, 0x4f7ffffe, v1
	v_cvt_u32_f32_e32 v1, v1
	v_cvt_f32_ubyte0_e32 v3, 0
	v_readfirstlane_b32 s9, v1
	s_mul_i32 s8, s8, s9
	s_mul_hi_u32 s8, s9, s8
	s_add_i32 s9, s9, s8
	s_mul_hi_u32 s8, s7, s9
	s_mul_i32 s9, s8, s1
	s_sub_i32 s7, s7, s9
	s_add_i32 s10, s8, 1
	s_sub_i32 s9, s7, s1
	s_cmp_ge_u32 s7, s1
	s_cselect_b32 s8, s10, s8
	s_cselect_b32 s7, s9, s7
	s_add_i32 s9, s8, 1
	s_cmp_ge_u32 s7, s1
	s_cselect_b32 s1, s9, s8
	s_add_i32 s2, s2, 63
	s_xor_b32 s1, s1, s6
	s_ashr_i32 s7, s2, 31
	s_sub_i32 s33, s1, s6
	s_lshr_b32 s1, s7, 26
	s_add_i32 s2, s2, s1
	s_add_i32 s1, s24, 15
	s_lshr_b32 s6, s1, 4
	s_add_i32 s1, s33, 3
	s_ashr_i32 s49, s2, 6
	s_ashr_i32 s2, s1, 31
	s_lshr_b32 s2, s2, 30
	s_add_i32 s1, s1, s2
	s_ashr_i32 s1, s1, 2
	v_writelane_b32 v254, s6, 0
	s_mul_i32 s2, s6, s49
	v_writelane_b32 v254, s2, 1
	s_mul_i32 s1, s2, s1
	;; [unrolled: 2-line block ×3, first 2 shown]
	s_mul_i32 s6, s1, s26
	s_ashr_i32 s7, s6, 31
	v_writelane_b32 v254, s1, 3
	s_mul_i32 s1, s7, s19
	s_mul_hi_u32 s2, s6, s19
	s_add_i32 s1, s2, s1
	s_add_u32 s2, s4, 0xd0
	s_waitcnt lgkmcnt(0)
	v_cvt_f32_u32_e32 v1, s20
	s_addc_u32 s3, s5, 0
	v_writelane_b32 v254, s2, 4
	s_mul_i32 s8, s6, s19
	v_writelane_b32 v254, s3, 5
	s_cmp_lg_u64 s[0:1], 0
	s_cbranch_scc0 .LBB25_2
; %bb.1:
	v_madmk_f32 v2, v3, 0x4f800000, v1
	v_rcp_f32_e32 v2, v2
	s_sub_u32 s0, 0, s20
	s_subb_u32 s9, 0, 0
	s_mov_b64 s[2:3], 0
	v_mul_f32_e32 v2, 0x5f7ffffc, v2
	v_mul_f32_e32 v4, 0x2f800000, v2
	v_trunc_f32_e32 v4, v4
	v_madmk_f32 v2, v4, 0xcf800000, v2
	v_cvt_u32_f32_e32 v4, v4
	v_cvt_u32_f32_e32 v2, v2
	v_readfirstlane_b32 s10, v4
	v_readfirstlane_b32 s11, v2
	s_mul_hi_u32 s13, s0, s11
	s_mul_i32 s14, s0, s10
	s_mul_i32 s12, s9, s11
	s_add_i32 s13, s13, s14
	s_add_i32 s13, s13, s12
	s_mul_i32 s15, s0, s11
	s_mul_hi_u32 s12, s11, s13
	s_mul_i32 s14, s11, s13
	s_mul_hi_u32 s11, s11, s15
	s_add_u32 s11, s11, s14
	s_addc_u32 s12, 0, s12
	s_mul_hi_u32 s16, s10, s15
	s_mul_i32 s15, s10, s15
	s_add_u32 s11, s11, s15
	s_mul_hi_u32 s14, s10, s13
	s_addc_u32 s11, s12, s16
	s_addc_u32 s12, s14, 0
	s_mul_i32 s13, s10, s13
	s_add_u32 s11, s11, s13
	s_addc_u32 s12, 0, s12
	v_add_co_u32_e32 v2, vcc, s11, v2
	s_cmp_lg_u64 vcc, 0
	s_addc_u32 s10, s10, s12
	v_readfirstlane_b32 s12, v2
	s_mul_i32 s11, s0, s10
	s_mul_hi_u32 s13, s0, s12
	s_add_i32 s11, s13, s11
	s_mul_i32 s9, s9, s12
	s_add_i32 s11, s11, s9
	s_mul_i32 s0, s0, s12
	s_mul_hi_u32 s13, s10, s0
	s_mul_i32 s14, s10, s0
	s_mul_i32 s16, s12, s11
	s_mul_hi_u32 s0, s12, s0
	s_mul_hi_u32 s15, s12, s11
	s_add_u32 s0, s0, s16
	s_addc_u32 s12, 0, s15
	s_add_u32 s0, s0, s14
	s_mul_hi_u32 s9, s10, s11
	s_addc_u32 s0, s12, s13
	s_addc_u32 s9, s9, 0
	s_mul_i32 s11, s10, s11
	s_add_u32 s0, s0, s11
	s_addc_u32 s9, 0, s9
	v_add_co_u32_e32 v2, vcc, s0, v2
	s_cmp_lg_u64 vcc, 0
	s_addc_u32 s9, s10, s9
	s_ashr_i32 s10, s1, 31
	s_add_u32 s0, s8, s10
	s_mov_b32 s11, s10
	s_addc_u32 s1, s1, s10
	s_xor_b64 s[0:1], s[0:1], s[10:11]
	v_readfirstlane_b32 s14, v2
	s_mul_i32 s13, s0, s9
	s_mul_hi_u32 s15, s0, s14
	s_mul_hi_u32 s12, s0, s9
	s_add_u32 s13, s15, s13
	s_addc_u32 s12, 0, s12
	s_mul_hi_u32 s16, s1, s14
	s_mul_i32 s14, s1, s14
	s_add_u32 s13, s13, s14
	s_mul_hi_u32 s15, s1, s9
	s_addc_u32 s12, s12, s16
	s_addc_u32 s13, s15, 0
	s_mul_i32 s9, s1, s9
	s_add_u32 s9, s12, s9
	s_addc_u32 s12, 0, s13
	s_add_u32 s13, s9, 1
	s_addc_u32 s14, s12, 0
	s_add_u32 s15, s9, 2
	s_mul_i32 s17, s20, s12
	s_mul_hi_u32 s18, s20, s9
	s_addc_u32 s16, s12, 0
	s_add_i32 s18, s18, s17
	s_mul_i32 s17, s20, s9
	v_mov_b32_e32 v2, s17
	v_sub_co_u32_e32 v2, vcc, s0, v2
	s_cmp_lg_u64 vcc, 0
	s_subb_u32 s0, s1, s18
	v_subrev_co_u32_e32 v4, vcc, s20, v2
	s_cmp_lg_u64 vcc, 0
	s_subb_u32 s1, s0, 0
	v_readfirstlane_b32 s17, v4
	s_cmp_ge_u32 s17, s20
	s_cselect_b32 s17, -1, 0
	s_cmp_eq_u32 s1, 0
	s_cselect_b32 s1, s17, -1
	s_cmp_lg_u32 s1, 0
	s_cselect_b32 s1, s16, s14
	v_readfirstlane_b32 s14, v2
	s_cselect_b32 s13, s15, s13
	s_cmp_ge_u32 s14, s20
	s_cselect_b32 s14, -1, 0
	s_cmp_eq_u32 s0, 0
	s_cselect_b32 s0, s14, -1
	s_cmp_lg_u32 s0, 0
	s_cselect_b32 s1, s1, s12
	s_cselect_b32 s0, s13, s9
	s_xor_b64 s[0:1], s[0:1], s[10:11]
	s_sub_u32 s52, s0, s10
	s_branch .LBB25_3
.LBB25_2:
	s_mov_b64 s[2:3], -1
                                        ; implicit-def: $sgpr52_sgpr53
.LBB25_3:
	s_load_dwordx2 s[0:1], s[4:5], 0x74
	v_cvt_f32_u32_e32 v2, s20
	s_andn2_b64 vcc, exec, s[2:3]
	s_waitcnt lgkmcnt(0)
	v_writelane_b32 v254, s0, 6
	v_writelane_b32 v254, s1, 7
	s_cbranch_vccnz .LBB25_5
; %bb.4:
	v_rcp_iflag_f32_e32 v4, v2
	s_sub_i32 s0, 0, s20
	v_mul_f32_e32 v4, 0x4f7ffffe, v4
	v_cvt_u32_f32_e32 v4, v4
	v_readfirstlane_b32 s1, v4
	s_mul_i32 s0, s0, s1
	s_mul_hi_u32 s0, s1, s0
	s_add_i32 s1, s1, s0
	s_mul_hi_u32 s0, s8, s1
	s_mul_i32 s2, s0, s20
	s_sub_i32 s2, s8, s2
	s_add_i32 s1, s0, 1
	s_sub_i32 s3, s2, s20
	s_cmp_ge_u32 s2, s20
	s_cselect_b32 s0, s1, s0
	s_cselect_b32 s2, s3, s2
	s_add_i32 s1, s0, 1
	s_cmp_ge_u32 s2, s20
	s_cselect_b32 s52, s1, s0
.LBB25_5:
	s_add_i32 s0, s19, 1
	s_mul_i32 s1, s7, s0
	s_mul_hi_u32 s2, s6, s0
	s_add_i32 s3, s2, s1
	s_mov_b32 s2, 0
	s_cmp_lg_u64 s[2:3], 0
	s_mul_i32 s2, s6, s0
	s_cbranch_scc0 .LBB25_7
; %bb.6:
	v_madmk_f32 v1, v3, 0x4f800000, v1
	v_rcp_f32_e32 v1, v1
	s_sub_u32 s6, 0, s20
	s_subb_u32 s7, 0, 0
	s_mov_b64 s[0:1], 0
	v_mul_f32_e32 v1, 0x5f7ffffc, v1
	v_mul_f32_e32 v3, 0x2f800000, v1
	v_trunc_f32_e32 v3, v3
	v_madmk_f32 v1, v3, 0xcf800000, v1
	v_cvt_u32_f32_e32 v3, v3
	v_cvt_u32_f32_e32 v1, v1
	v_readfirstlane_b32 s8, v3
	v_readfirstlane_b32 s9, v1
	s_mul_hi_u32 s11, s6, s9
	s_mul_i32 s12, s6, s8
	s_mul_i32 s10, s7, s9
	s_add_i32 s11, s11, s12
	s_add_i32 s11, s11, s10
	s_mul_i32 s13, s6, s9
	s_mul_hi_u32 s10, s9, s11
	s_mul_i32 s12, s9, s11
	s_mul_hi_u32 s9, s9, s13
	s_add_u32 s9, s9, s12
	s_addc_u32 s10, 0, s10
	s_mul_hi_u32 s14, s8, s13
	s_mul_i32 s13, s8, s13
	s_add_u32 s9, s9, s13
	s_mul_hi_u32 s12, s8, s11
	s_addc_u32 s9, s10, s14
	s_addc_u32 s10, s12, 0
	s_mul_i32 s11, s8, s11
	s_add_u32 s9, s9, s11
	s_addc_u32 s10, 0, s10
	v_add_co_u32_e32 v1, vcc, s9, v1
	s_cmp_lg_u64 vcc, 0
	s_addc_u32 s8, s8, s10
	v_readfirstlane_b32 s10, v1
	s_mul_i32 s9, s6, s8
	s_mul_hi_u32 s11, s6, s10
	s_add_i32 s9, s11, s9
	s_mul_i32 s7, s7, s10
	s_add_i32 s9, s9, s7
	s_mul_i32 s6, s6, s10
	s_mul_hi_u32 s11, s8, s6
	s_mul_i32 s12, s8, s6
	s_mul_i32 s14, s10, s9
	s_mul_hi_u32 s6, s10, s6
	s_mul_hi_u32 s13, s10, s9
	s_add_u32 s6, s6, s14
	s_addc_u32 s10, 0, s13
	s_add_u32 s6, s6, s12
	s_mul_hi_u32 s7, s8, s9
	s_addc_u32 s6, s10, s11
	s_addc_u32 s7, s7, 0
	s_mul_i32 s9, s8, s9
	s_add_u32 s6, s6, s9
	s_addc_u32 s7, 0, s7
	v_add_co_u32_e32 v1, vcc, s6, v1
	s_cmp_lg_u64 vcc, 0
	s_addc_u32 s10, s8, s7
	s_ashr_i32 s6, s3, 31
	s_add_u32 s8, s2, s6
	s_mov_b32 s7, s6
	s_addc_u32 s9, s3, s6
	s_xor_b64 s[8:9], s[8:9], s[6:7]
	v_readfirstlane_b32 s12, v1
	s_mul_i32 s11, s8, s10
	s_mul_hi_u32 s13, s8, s12
	s_mul_hi_u32 s3, s8, s10
	s_add_u32 s11, s13, s11
	s_addc_u32 s3, 0, s3
	s_mul_hi_u32 s14, s9, s12
	s_mul_i32 s12, s9, s12
	s_add_u32 s11, s11, s12
	s_mul_hi_u32 s13, s9, s10
	s_addc_u32 s3, s3, s14
	s_addc_u32 s11, s13, 0
	s_mul_i32 s10, s9, s10
	s_add_u32 s3, s3, s10
	s_addc_u32 s10, 0, s11
	s_add_u32 s11, s3, 1
	s_addc_u32 s12, s10, 0
	s_add_u32 s13, s3, 2
	s_mul_i32 s15, s20, s10
	s_mul_hi_u32 s16, s20, s3
	s_addc_u32 s14, s10, 0
	s_add_i32 s16, s16, s15
	s_mul_i32 s15, s20, s3
	v_mov_b32_e32 v1, s15
	v_sub_co_u32_e32 v1, vcc, s8, v1
	s_cmp_lg_u64 vcc, 0
	s_subb_u32 s8, s9, s16
	v_subrev_co_u32_e32 v3, vcc, s20, v1
	s_cmp_lg_u64 vcc, 0
	s_subb_u32 s9, s8, 0
	v_readfirstlane_b32 s15, v3
	s_cmp_ge_u32 s15, s20
	s_cselect_b32 s15, -1, 0
	s_cmp_eq_u32 s9, 0
	s_cselect_b32 s9, s15, -1
	s_cmp_lg_u32 s9, 0
	s_cselect_b32 s9, s14, s12
	v_readfirstlane_b32 s12, v1
	s_cselect_b32 s11, s13, s11
	s_cmp_ge_u32 s12, s20
	s_cselect_b32 s12, -1, 0
	s_cmp_eq_u32 s8, 0
	s_cselect_b32 s8, s12, -1
	s_cmp_lg_u32 s8, 0
	s_cselect_b32 s9, s9, s10
	s_cselect_b32 s8, s11, s3
	s_xor_b64 s[8:9], s[8:9], s[6:7]
	s_sub_u32 s6, s8, s6
	v_writelane_b32 v254, s6, 9
	v_writelane_b32 v254, s7, 10
	s_branch .LBB25_8
.LBB25_7:
	s_mov_b64 s[0:1], -1
                                        ; implicit-def: $sgpr6_sgpr7
                                        ; kill: killed $sgpr6_sgpr7
.LBB25_8:
	s_load_dwordx2 s[46:47], s[4:5], 0x5c
	v_writelane_b32 v254, s19, 8
	s_andn2_b64 vcc, exec, s[0:1]
	s_cbranch_vccnz .LBB25_10
; %bb.9:
	v_rcp_iflag_f32_e32 v1, v2
	s_sub_i32 s0, 0, s20
	v_mul_f32_e32 v1, 0x4f7ffffe, v1
	v_cvt_u32_f32_e32 v1, v1
	v_readfirstlane_b32 s1, v1
	s_mul_i32 s0, s0, s1
	s_mul_hi_u32 s0, s1, s0
	s_add_i32 s1, s1, s0
	s_mul_hi_u32 s0, s2, s1
	s_mul_i32 s3, s0, s20
	s_sub_i32 s2, s2, s3
	s_add_i32 s1, s0, 1
	s_sub_i32 s3, s2, s20
	s_cmp_ge_u32 s2, s20
	s_cselect_b32 s0, s1, s0
	s_cselect_b32 s2, s3, s2
	s_add_i32 s1, s0, 1
	s_cmp_ge_u32 s2, s20
	s_cselect_b32 s0, s1, s0
	v_writelane_b32 v254, s0, 9
	v_writelane_b32 v254, s1, 10
.LBB25_10:
	v_writelane_b32 v254, s20, 11
	s_load_dwordx16 s[8:23], s[4:5], 0x0
	s_load_dword s7, s[4:5], 0x40
	s_load_dword s36, s[4:5], 0x54
	s_load_dwordx2 s[2:3], s[4:5], 0x8c
	s_load_dwordx4 s[28:31], s[4:5], 0x98
	s_load_dwordx2 s[0:1], s[4:5], 0xa8
	s_abs_i32 s57, s49
	v_cvt_f32_u32_e32 v1, s57
	s_waitcnt lgkmcnt(0)
	s_ashr_i32 s38, s2, 2
	s_sub_i32 s2, 0, s57
	v_writelane_b32 v254, s0, 12
	v_writelane_b32 v254, s1, 13
	s_load_dwordx2 s[76:77], s[4:5], 0xb8
	s_load_dwordx2 s[0:1], s[4:5], 0xc8
	v_rcp_iflag_f32_e32 v1, v1
	s_ashr_i32 s53, s27, 3
	s_ashr_i32 s26, s30, 2
	s_waitcnt lgkmcnt(0)
	s_ashr_i32 s42, s77, 1
	v_mul_f32_e32 v1, 0x4f7ffffe, v1
	v_writelane_b32 v254, s0, 14
	v_cvt_u32_f32_e32 v1, v1
	v_writelane_b32 v254, s1, 15
	v_readlane_b32 s0, v254, 6
	v_readlane_b32 s1, v254, 7
	s_mov_b32 s1, s3
	v_readfirstlane_b32 s3, v1
	s_ashr_i32 s71, s0, 3
	v_writelane_b32 v254, s0, 16
	s_mul_i32 s2, s2, s3
	v_writelane_b32 v254, s1, 17
	s_ashr_i32 s1, s49, 31
	s_mul_hi_u32 s2, s3, s2
	v_writelane_b32 v254, s1, 18
	s_abs_i32 s1, s52
	s_add_i32 s56, s3, s2
	s_mul_hi_u32 s2, s1, s56
	s_mul_i32 s2, s2, s57
	s_sub_i32 s1, s1, s2
	s_ashr_i32 s0, s52, 31
	s_sub_i32 s2, s1, s57
	s_cmp_ge_u32 s1, s57
	s_cselect_b32 s1, s2, s1
	s_sub_i32 s2, s1, s57
	s_cmp_ge_u32 s1, s57
	s_cselect_b32 s1, s2, s1
	s_xor_b32 s1, s1, s0
	s_sub_i32 s6, s1, s0
	v_readlane_b32 s0, v254, 9
	s_mov_b32 s30, s0
	s_sub_i32 s0, s0, s52
	s_add_i32 s4, s0, s6
	s_min_i32 s41, s49, s4
	s_cmp_gt_i32 s30, s52
	v_readlane_b32 s1, v254, 10
	s_cselect_b64 s[2:3], -1, 0
	s_cmp_le_i32 s30, s52
	v_cvt_f16_f32_e32 v1, s7
	s_cselect_b64 s[0:1], -1, 0
	s_cmp_gt_i32 s49, s4
	s_cselect_b64 s[4:5], -1, 0
	v_writelane_b32 v254, s71, 19
	s_or_b64 s[0:1], s[4:5], s[0:1]
	v_bfe_u32 v97, v0, 10, 10
	v_writelane_b32 v254, s76, 20
	s_mov_b32 s59, 0
	s_and_b64 vcc, exec, s[0:1]
	v_pack_b32_f16 v99, v1, v1
	v_lshlrev_b32_e32 v98, 4, v97
	v_and_b32_e32 v34, 3, v97
	v_lshrrev_b32_e32 v100, 2, v97
	v_add_u32_e32 v96, 4, v97
	v_add_u32_e32 v95, 8, v97
	v_add_u32_e32 v94, 12, v97
	v_add_u32_e32 v92, 16, v97
	v_add_u32_e32 v91, 20, v97
	v_add_u32_e32 v90, 24, v97
	v_add_u32_e32 v89, 28, v97
	v_add_u32_e32 v88, 32, v97
	v_add_u32_e32 v87, 36, v97
	v_add_u32_e32 v85, 40, v97
	v_add_u32_e32 v25, 44, v97
	v_add_u32_e32 v81, 48, v97
	v_add_u32_e32 v24, 52, v97
	v_add_u32_e32 v206, 56, v97
	v_add_u32_e32 v205, 60, v97
	v_and_b32_e32 v93, 15, v97
	v_writelane_b32 v254, s77, 21
	buffer_store_dword v24, off, s[96:99], 0 ; 4-byte Folded Spill
	buffer_store_dword v25, off, s[96:99], 0 offset:4 ; 4-byte Folded Spill
	s_cbranch_vccz .LBB25_13
; %bb.11:
	s_andn2_b64 vcc, exec, s[2:3]
	s_cbranch_vccz .LBB25_618
.LBB25_12:
	s_endpgm
.LBB25_13:
	v_and_b32_e32 v36, 0x3ff, v0
	v_and_b32_e32 v1, 15, v36
	v_lshrrev_b32_e32 v10, 1, v36
	v_mul_u32_u24_e32 v2, 0x110, v1
	v_and_b32_e32 v3, 0x78, v10
	v_add3_u32 v101, 0, v2, v3
	v_lshrrev_b32_e32 v2, 5, v36
	s_cmp_eq_u64 s[16:17], 0
	v_lshl_add_u32 v102, v97, 1, v2
	v_lshrrev_b32_e32 v2, 4, v36
	s_cselect_b64 s[0:1], -1, 0
	v_lshl_add_u32 v11, v97, 2, v2
	v_lshlrev_b32_e32 v2, 2, v36
	v_writelane_b32 v254, s0, 22
	s_cmp_lg_u64 s[18:19], 0
	v_and_b32_e32 v18, 60, v2
	v_writelane_b32 v254, s1, 23
	s_cselect_b64 s[0:1], -1, 0
	v_mul_u32_u24_e32 v12, 0x110, v11
	v_lshlrev_b32_e32 v13, 2, v18
	v_writelane_b32 v254, s0, 24
	v_add3_u32 v103, 0, v12, v13
	v_and_or_b32 v12, v36, 12, v98
	v_writelane_b32 v254, s1, 25
	s_movk_i32 s0, 0x90
	v_lshrrev_b32_e32 v12, 2, v12
	v_or_b32_e32 v10, 4, v10
	v_lshrrev_b32_e32 v19, 2, v36
	v_mad_u32_u24 v12, v12, s0, 0
	v_and_b32_e32 v10, 0x1fc, v10
	v_and_b32_e32 v20, 60, v19
	v_add_u32_e32 v105, v12, v10
	v_mul_lo_u32 v10, s26, v11
	s_lshl_b32 s0, s26, 4
	v_writelane_b32 v254, s46, 26
	v_lshl_add_u32 v104, v20, 1, v12
	v_add_u32_e32 v12, s0, v10
	v_mul_u32_u24_e32 v21, 0x88, v20
	v_writelane_b32 v254, s47, 27
	v_mul_lo_u32 v2, s38, v11
	s_lshl_b32 s1, s38, 4
	v_add_u32_e32 v14, s0, v12
	v_or_b32_e32 v21, v21, v1
	v_writelane_b32 v254, s56, 28
	v_add_u32_e32 v4, s1, v2
	v_add_u32_e32 v16, s0, v14
	v_lshlrev_b32_e32 v21, 1, v21
	s_add_i32 s0, 0, 0x1100
	v_readlane_b32 s58, v254, 8
	v_add_u32_e32 v6, s1, v4
	v_add_u32_e32 v109, s0, v21
	s_add_i32 s0, 0, 0x2200
	s_lshl_b32 s58, s58, 6
	s_ashr_i32 s43, s42, 31
	s_ashr_i32 s39, s38, 31
	v_add_u32_e32 v8, s1, v6
	s_ashr_i32 s27, s26, 31
	v_add_u32_e32 v110, s0, v21
	s_add_i32 s62, 0, 0x3300
	s_add_i32 s67, 0, 0x1120
	;; [unrolled: 1-line block ×27, first 2 shown]
	s_lshl_b64 s[60:61], s[58:59], 3
	v_or_b32_e32 v19, 3, v19
	s_add_u32 s58, s22, s60
	v_readlane_b32 s74, v254, 3
	v_mul_u32_u24_e32 v19, 0x110, v19
	v_lshlrev_b32_e32 v22, 1, v1
	s_addc_u32 s63, s23, s61
	s_abs_i32 s60, s74
	v_add3_u32 v108, 0, v19, v22
	v_cvt_f32_u32_e32 v19, s60
	v_readlane_b32 s73, v254, 2
	v_mul_u32_u24_e32 v20, 0x110, v20
	s_abs_i32 s61, s73
	v_rcp_iflag_f32_e32 v19, v19
	v_add3_u32 v107, 0, v20, v22
	v_cvt_f32_u32_e32 v22, s61
	v_or_b32_e32 v20, v98, v36
	v_mul_f32_e32 v19, 0x4f7ffffe, v19
	v_cvt_u32_f32_e32 v19, v19
	v_rcp_iflag_f32_e32 v22, v22
	v_readlane_b32 s72, v254, 1
	v_add_u32_e32 v111, s62, v21
	v_lshlrev_b32_e32 v20, 3, v20
	v_mov_b32_e32 v23, s63
	s_abs_i32 s62, s72
	s_abs_i32 s63, s76
	v_add_co_u32_e32 v38, vcc, s58, v20
	v_readfirstlane_b32 s58, v19
	v_mul_f32_e32 v19, 0x4f7ffffe, v22
	v_cvt_f32_u32_e32 v20, s62
	v_cvt_f32_u32_e32 v22, s63
	v_cvt_u32_f32_e32 v19, v19
	s_sub_i32 s70, 0, s63
	v_rcp_iflag_f32_e32 v20, v20
	v_rcp_iflag_f32_e32 v22, v22
	v_readfirstlane_b32 s69, v19
	v_add_u32_e32 v113, s67, v21
	v_mul_f32_e32 v19, 0x4f7ffffe, v20
	v_mul_f32_e32 v20, 0x4f7ffffe, v22
	v_cvt_u32_f32_e32 v19, v19
	v_cvt_u32_f32_e32 v20, v20
	v_add_u32_e32 v117, s0, v21
	v_add_u32_e32 v119, s1, v21
	v_readfirstlane_b32 s67, v19
	v_mul_lo_u32 v19, s70, v20
	v_cmp_gt_u32_e64 s[0:1], 16, v36
	v_mul_hi_u32 v19, v20, v19
	v_lshlrev_b32_e32 v116, 2, v18
	v_add_u32_e32 v138, s56, v21
	v_readlane_b32 s56, v254, 28
	v_writelane_b32 v254, s0, 29
	v_add_u32_e32 v18, v98, v36
	v_add_u32_e32 v114, v20, v19
	v_writelane_b32 v254, s1, 30
	v_mul_u32_u24_e32 v19, 0x110, v18
	v_mad_u32_u24 v18, v97, 52, v18
	s_movk_i32 s0, 0x44
	v_lshl_add_u32 v142, v18, 2, 0
	v_mad_u32_u24 v18, v97, s0, v36
	s_movk_i32 s1, 0x1f0
	v_lshl_add_u32 v143, v18, 2, 0
	v_and_or_b32 v18, v92, s1, v93
	v_mul_u32_u24_e32 v20, 0x44, v18
	v_mad_u32_u24 v18, v18, s0, v36
	v_lshl_add_u32 v18, v18, 2, 0
	buffer_store_dword v18, off, s[96:99], 0 offset:8 ; 4-byte Folded Spill
	v_and_or_b32 v18, v88, s1, v93
	v_add_u32_e32 v106, 0, v21
	v_add3_u32 v112, 0, 32, v21
	v_add_u32_e32 v115, s68, v21
	v_add3_u32 v118, 0, 64, v21
	v_add_u32_e32 v120, s3, v21
	v_add_u32_e32 v121, s4, v21
	;; [unrolled: 1-line block ×21, first 2 shown]
	v_mul_u32_u24_e32 v21, 0x44, v18
	v_mad_u32_u24 v18, v18, s0, v36
	v_lshl_add_u32 v18, v18, 2, 0
	buffer_store_dword v18, off, s[96:99], 0 offset:16 ; 4-byte Folded Spill
	v_and_or_b32 v18, v81, s1, v93
	v_mul_u32_u24_e32 v22, 0x44, v18
	v_mad_u32_u24 v18, v18, s0, v36
	v_lshl_add_u32 v18, v18, 2, 0
	buffer_store_dword v18, off, s[96:99], 0 offset:24 ; 4-byte Folded Spill
	v_mul_u32_u24_e32 v18, 0x44, v97
	v_lshl_add_u32 v147, v18, 2, 0
	v_lshl_add_u32 v18, v20, 2, 0
	buffer_store_dword v18, off, s[96:99], 0 offset:12 ; 4-byte Folded Spill
	v_lshl_add_u32 v18, v21, 2, 0
	buffer_store_dword v18, off, s[96:99], 0 offset:20 ; 4-byte Folded Spill
	;; [unrolled: 2-line block ×3, first 2 shown]
	v_and_b32_e32 v18, 31, v36
	v_addc_co_u32_e32 v39, vcc, 0, v23, vcc
	v_lshlrev_b32_e32 v18, 2, v18
	v_ashrrev_i32_e32 v11, 31, v10
	v_mov_b32_e32 v20, s15
	v_add_co_u32_e32 v151, vcc, s14, v18
	v_addc_co_u32_e32 v152, vcc, 0, v20, vcc
	v_lshlrev_b64 v[40:41], 2, v[10:11]
	v_ashrrev_i32_e32 v13, 31, v12
	v_mov_b32_e32 v10, s13
	v_add_co_u32_e32 v153, vcc, s12, v40
	s_ashr_i32 s0, s74, 31
	v_addc_co_u32_e32 v154, vcc, v10, v41, vcc
	v_lshlrev_b64 v[42:43], 2, v[12:13]
	v_ashrrev_i32_e32 v15, 31, v14
	v_writelane_b32 v254, s0, 31
	s_sub_i32 s0, 0, s60
	v_add_co_u32_e32 v155, vcc, s12, v42
	s_mul_i32 s0, s0, s58
	v_addc_co_u32_e32 v156, vcc, v10, v43, vcc
	v_lshlrev_b64 v[44:45], 2, v[14:15]
	v_ashrrev_i32_e32 v17, 31, v16
	s_mul_hi_u32 s0, s58, s0
	v_add_co_u32_e32 v157, vcc, s12, v44
	s_add_i32 s0, s58, s0
	v_addc_co_u32_e32 v158, vcc, v10, v45, vcc
	v_lshlrev_b64 v[46:47], 2, v[16:17]
	v_ashrrev_i32_e32 v3, 31, v2
	v_writelane_b32 v254, s0, 32
	s_ashr_i32 s0, s73, 31
	v_add_co_u32_e32 v159, vcc, s12, v46
	v_writelane_b32 v254, s0, 33
	s_sub_i32 s0, 0, s61
	v_addc_co_u32_e32 v160, vcc, v10, v47, vcc
	v_lshlrev_b64 v[48:49], 2, v[2:3]
	v_ashrrev_i32_e32 v5, 31, v4
	s_mul_i32 s0, s0, s69
	v_mov_b32_e32 v2, s11
	v_add_co_u32_e32 v161, vcc, s10, v48
	s_mul_hi_u32 s0, s69, s0
	v_addc_co_u32_e32 v162, vcc, v2, v49, vcc
	v_lshlrev_b64 v[50:51], 2, v[4:5]
	v_ashrrev_i32_e32 v7, 31, v6
	s_add_i32 s0, s69, s0
	v_add_co_u32_e32 v163, vcc, s10, v50
	v_writelane_b32 v254, s0, 34
	s_ashr_i32 s0, s72, 31
	v_addc_co_u32_e32 v164, vcc, v2, v51, vcc
	v_lshlrev_b64 v[52:53], 2, v[6:7]
	v_ashrrev_i32_e32 v9, 31, v8
	v_writelane_b32 v254, s0, 35
	s_sub_i32 s0, 0, s62
	v_add_co_u32_e32 v165, vcc, s10, v52
	s_mul_i32 s0, s0, s67
	v_addc_co_u32_e32 v166, vcc, v2, v53, vcc
	v_lshlrev_b64 v[54:55], 2, v[8:9]
	s_mul_hi_u32 s0, s67, s0
	v_add_co_u32_e32 v167, vcc, s10, v54
	s_add_i32 s0, s67, s0
	v_addc_co_u32_e32 v168, vcc, v2, v55, vcc
	v_mbcnt_lo_u32_b32 v2, -1, 0
	v_writelane_b32 v254, s0, 36
	s_lshl_b64 s[0:1], s[42:43], 1
	v_mbcnt_hi_u32_b32 v170, -1, v2
	v_lshlrev_b32_e32 v2, 1, v36
	s_movk_i32 s2, 0x1100
	v_writelane_b32 v254, s0, 37
	v_and_b32_e32 v56, 62, v2
	s_mov_b32 s37, s36
	v_writelane_b32 v254, s1, 38
	s_lshl_b64 s[66:67], s[26:27], 8
	s_lshl_b64 s[68:69], s[38:39], 8
	s_mov_b32 s43, 0x3f200000
	s_mov_b32 s50, 0x3fb8aa3b
	;; [unrolled: 1-line block ×4, first 2 shown]
	s_brev_b32 s0, -2
	s_mov_b32 s1, 0xc1a00000
	s_mov_b32 s44, 0x5040100
	v_add_u32_e32 v169, 0, v19
	s_movk_i32 s45, 0x80
	v_mad_u32_u24 v171, v97, s2, v101
	v_mov_b32_e32 v172, 0
	v_mul_u32_u24_e32 v173, 0x90, v102
	v_add_u32_e32 v174, 8, v102
	v_lshl_add_u32 v175, v56, 1, 0
	v_add_u32_e32 v176, 0x1100, v103
	v_add_u32_e32 v177, 0x2200, v103
	;; [unrolled: 1-line block ×6, first 2 shown]
	v_lshrrev_b32_e32 v182, 2, v96
	v_add_u32_e32 v183, 0x440, v142
	v_lshrrev_b32_e32 v184, 2, v95
	v_add_u32_e32 v185, 0x880, v142
	;; [unrolled: 2-line block ×3, first 2 shown]
	v_lshrrev_b32_e32 v188, 2, v92
	v_lshrrev_b32_e32 v189, 2, v91
	v_lshrrev_b32_e32 v190, 2, v90
	v_lshrrev_b32_e32 v191, 2, v89
	v_lshrrev_b32_e32 v192, 2, v88
	v_lshrrev_b32_e32 v193, 2, v87
	v_lshrrev_b32_e32 v194, 2, v85
	v_lshrrev_b32_e32 v195, 2, v25
	v_lshrrev_b32_e32 v196, 2, v81
	v_lshrrev_b32_e32 v197, 2, v24
	v_lshrrev_b32_e32 v198, 2, v206
	v_lshrrev_b32_e32 v199, 2, v205
	v_lshlrev_b32_e32 v58, 4, v1
	v_mov_b32_e32 v200, 0xbd5c1c4e
	v_mov_b32_e32 v201, 0x3e088382
	;; [unrolled: 1-line block ×4, first 2 shown]
	v_and_b32_e32 v60, 3, v36
	v_mad_u64_u32 v[62:63], s[2:3], v34, s71, v[36:37]
	v_mov_b32_e32 v79, v205
	v_mov_b32_e32 v83, v206
	s_branch .LBB25_15
.LBB25_14:                              ;   in Loop: Header=BB25_15 Depth=1
	s_or_b64 exec, exec, s[2:3]
	s_add_i32 s2, s52, s49
	s_abs_i32 s4, s2
	s_mul_hi_u32 s5, s4, s56
	s_mul_i32 s5, s5, s57
	s_sub_i32 s4, s4, s5
	s_ashr_i32 s3, s2, 31
	s_sub_i32 s5, s4, s57
	s_cmp_ge_u32 s4, s57
	s_cselect_b32 s4, s5, s4
	s_sub_i32 s5, s4, s57
	s_cmp_ge_u32 s4, s57
	s_cselect_b32 s4, s5, s4
	s_xor_b32 s4, s4, s3
	s_sub_i32 s3, s3, s4
	s_add_i32 s52, s2, s3
	v_readlane_b32 s2, v254, 9
	s_sub_i32 s4, s2, s52
	s_min_i32 s41, s49, s4
	v_readlane_b32 s3, v254, 10
	s_cmp_gt_i32 s2, s52
	s_cselect_b64 s[2:3], -1, 0
	s_cmp_le_i32 s49, s4
	s_cselect_b64 s[4:5], -1, 0
	s_and_b64 s[4:5], s[4:5], s[2:3]
	s_mov_b32 s6, 0
	s_and_b64 vcc, exec, s[4:5]
	s_cbranch_vccz .LBB25_617
.LBB25_15:                              ; =>This Loop Header: Depth=1
                                        ;     Child Loop BB25_89 Depth 2
                                        ;     Child Loop BB25_386 Depth 2
	s_ashr_i32 s2, s52, 31
	v_readlane_b32 s3, v254, 31
	s_xor_b32 s2, s2, s3
	s_abs_i32 s3, s52
	v_readlane_b32 s4, v254, 32
	s_mul_hi_u32 s4, s3, s4
	s_mul_i32 s5, s4, s60
	s_sub_i32 s3, s3, s5
	s_add_i32 s5, s4, 1
	s_sub_i32 s7, s3, s60
	s_cmp_ge_u32 s3, s60
	s_cselect_b32 s4, s5, s4
	s_cselect_b32 s3, s7, s3
	s_add_i32 s5, s4, 1
	s_cmp_ge_u32 s3, s60
	s_cselect_b32 s3, s5, s4
	s_xor_b32 s3, s3, s2
	s_sub_i32 s2, s3, s2
	v_readlane_b32 s3, v254, 3
	s_mul_i32 s3, s2, s3
	s_sub_i32 s4, s52, s3
	s_ashr_i32 s3, s4, 31
	v_readlane_b32 s5, v254, 33
	s_xor_b32 s3, s3, s5
	s_abs_i32 s5, s4
	v_readlane_b32 s7, v254, 34
	s_mul_hi_u32 s7, s5, s7
	s_mul_i32 s34, s7, s61
	s_sub_i32 s5, s5, s34
	s_add_i32 s34, s7, 1
	s_sub_i32 s35, s5, s61
	s_cmp_ge_u32 s5, s61
	s_cselect_b32 s7, s34, s7
	s_cselect_b32 s5, s35, s5
	s_add_i32 s34, s7, 1
	s_cmp_ge_u32 s5, s61
	s_cselect_b32 s5, s34, s7
	s_xor_b32 s5, s5, s3
	s_sub_i32 s3, s5, s3
	v_readlane_b32 s5, v254, 2
	s_mul_i32 s5, s3, s5
	s_sub_i32 s5, s4, s5
	s_ashr_i32 s4, s5, 31
	v_readlane_b32 s7, v254, 35
	s_xor_b32 s4, s4, s7
	s_abs_i32 s7, s5
	v_readlane_b32 s34, v254, 36
	s_mul_hi_u32 s34, s7, s34
	s_mul_i32 s35, s34, s62
	s_sub_i32 s7, s7, s35
	s_add_i32 s35, s34, 1
	s_sub_i32 s40, s7, s62
	s_cmp_ge_u32 s7, s62
	s_cselect_b32 s34, s35, s34
	s_cselect_b32 s7, s40, s7
	s_add_i32 s35, s34, 1
	s_cmp_ge_u32 s7, s62
	s_cselect_b32 s7, s35, s34
	s_xor_b32 s7, s7, s4
	s_sub_i32 s4, s7, s4
	v_readlane_b32 s7, v254, 1
	s_mul_i32 s7, s4, s7
	s_sub_i32 s5, s5, s7
	s_ashr_i32 s7, s5, 31
	v_readlane_b32 s34, v254, 18
	s_abs_i32 s5, s5
	s_xor_b32 s7, s7, s34
	s_mul_hi_u32 s34, s5, s56
	s_mul_i32 s35, s34, s57
	s_sub_i32 s5, s5, s35
	s_add_i32 s35, s34, 1
	s_sub_i32 s40, s5, s57
	s_cmp_ge_u32 s5, s57
	s_cselect_b32 s34, s35, s34
	s_cselect_b32 s5, s40, s5
	s_add_i32 s35, s34, 1
	s_cmp_ge_u32 s5, s57
	s_cselect_b32 s5, s35, s34
	v_readlane_b32 s34, v254, 24
	s_xor_b32 s5, s5, s7
	v_readlane_b32 s35, v254, 25
	s_andn2_b64 vcc, exec, s[34:35]
	s_sub_i32 s94, s5, s7
	s_cbranch_vccnz .LBB25_17
; %bb.16:                               ;   in Loop: Header=BB25_15 Depth=1
	v_readlane_b32 s5, v254, 0
	s_mul_i32 s5, s2, s5
	s_add_i32 s34, s94, s5
	s_ashr_i32 s35, s34, 31
	s_lshl_b64 s[34:35], s[34:35], 2
	s_add_u32 s34, s18, s34
	s_addc_u32 s35, s19, s35
	global_load_dword v1, v172, s[34:35]
	s_waitcnt vmcnt(0)
	v_readfirstlane_b32 s5, v1
	s_ashr_i32 s7, s5, 31
	s_lshr_b32 s7, s7, 26
	s_add_i32 s5, s5, s7
	s_ashr_i32 s5, s5, 6
	s_min_i32 s41, s41, s5
.LBB25_17:                              ;   in Loop: Header=BB25_15 Depth=1
	v_readlane_b32 s46, v254, 6
	s_mul_i32 s5, s3, s33
	s_lshl_b32 s7, s4, 2
	v_readlane_b32 s47, v254, 7
	s_add_i32 s4, s7, s5
	s_mul_i32 s5, s2, s47
	s_ashr_i32 s34, s5, 31
	s_add_u32 s5, s8, s5
	s_mul_i32 s35, s4, s46
	s_addc_u32 s34, s9, s34
	s_ashr_i32 s40, s35, 31
	s_add_u32 s92, s5, s35
	s_addc_u32 s93, s34, s40
	s_ashr_i32 s5, s2, 31
	s_mul_i32 s34, s2, s29
	s_mul_hi_u32 s35, s2, s28
	s_add_i32 s34, s35, s34
	s_mul_i32 s35, s5, s28
	s_add_i32 s56, s34, s35
	s_mul_i32 s34, s2, s28
	v_writelane_b32 v254, s34, 39
	v_readlane_b32 s46, v254, 16
	v_readlane_b32 s47, v254, 17
	s_add_u32 s34, s10, s34
	s_mul_i32 s89, s3, s47
	s_addc_u32 s35, s11, s56
	s_ashr_i32 s88, s89, 31
	s_add_u32 s87, s34, s89
	s_addc_u32 s40, s35, s88
	s_abs_i32 s34, s2
	v_mul_hi_u32 v1, s34, v114
	v_mul_lo_u32 v1, v1, s63
	v_sub_u32_e32 v1, s34, v1
	v_subrev_u32_e32 v2, s63, v1
	v_cmp_le_u32_e32 vcc, s63, v1
	v_cndmask_b32_e32 v1, v1, v2, vcc
	v_subrev_u32_e32 v2, s63, v1
	v_cmp_le_u32_e32 vcc, s63, v1
	v_cndmask_b32_e32 v1, v1, v2, vcc
	v_xor_b32_e32 v1, s5, v1
	v_subrev_u32_e32 v1, s5, v1
	v_ashrrev_i32_e32 v2, 31, v1
	v_readlane_b32 s34, v254, 14
	v_mul_hi_u32 v4, v1, s34
	v_mul_lo_u32 v2, v2, s34
	v_mul_lo_u32 v64, v1, s34
	s_mul_i32 s34, s24, s25
	s_mul_i32 s34, s34, s2
	s_add_i32 s34, s4, s34
	v_readlane_b32 s35, v254, 15
	s_lshl_b32 s58, s34, 6
	v_mul_lo_u32 v3, v1, s35
	s_lshl_b64 s[34:35], s[58:59], 3
	v_readlane_b32 s54, v254, 12
	s_add_u32 s46, s20, s34
	v_readlane_b32 s55, v254, 13
	s_addc_u32 s47, s21, s35
	s_mul_i32 s34, s2, s55
	s_mul_hi_u32 s35, s2, s54
	s_add_i32 s34, s35, s34
	s_mul_i32 s5, s5, s54
	s_add_i32 s58, s34, s5
	s_mul_i32 s2, s2, s54
	v_writelane_b32 v254, s2, 40
	s_add_u32 s2, s12, s2
	s_mul_i32 s90, s3, s31
	s_addc_u32 s5, s13, s58
	s_ashr_i32 s91, s90, 31
	s_add_u32 s48, s2, s90
	s_addc_u32 s86, s5, s91
	s_ashr_i32 s5, s4, 31
	s_lshl_b64 s[2:3], s[4:5], 2
	s_add_u32 s4, s16, s2
	v_add_u32_e32 v3, v4, v3
	s_addc_u32 s5, s17, s3
	v_readlane_b32 s2, v254, 22
	v_add_u32_e32 v65, v3, v2
	v_mov_b32_e32 v1, s15
	v_add_co_u32_e32 v206, vcc, s14, v64
	v_readlane_b32 s3, v254, 23
	v_addc_co_u32_e32 v205, vcc, v1, v65, vcc
	s_and_b64 s[2:3], s[2:3], exec
	v_or_b32_e32 v1, s7, v34
	s_cselect_b32 s71, 0, s5
	s_cselect_b32 s70, 0, s4
	s_cmp_lg_u32 s6, 0
	v_cmp_gt_i32_e32 vcc, s33, v1
	s_cbranch_scc0 .LBB25_84
; %bb.18:                               ;   in Loop: Header=BB25_15 Depth=1
	s_lshl_b32 s34, s94, 4
	v_add_u32_e32 v82, s34, v100
	v_cmp_le_i32_e64 s[2:3], s24, v82
	s_xor_b64 s[4:5], vcc, -1
	s_or_b64 s[2:3], s[2:3], s[4:5]
	s_and_saveexec_b64 s[54:55], s[2:3]
	s_xor_b64 s[2:3], exec, s[54:55]
	s_cbranch_execz .LBB25_20
; %bb.19:                               ;   in Loop: Header=BB25_15 Depth=1
	ds_write_b32 v142, v172
.LBB25_20:                              ;   in Loop: Header=BB25_15 Depth=1
	s_andn2_saveexec_b64 s[2:3], s[2:3]
	s_cbranch_execz .LBB25_22
; %bb.21:                               ;   in Loop: Header=BB25_15 Depth=1
	v_mad_u64_u32 v[2:3], s[54:55], v82, s53, v[62:63]
	v_ashrrev_i32_e32 v3, 31, v2
	v_lshlrev_b64 v[2:3], 3, v[2:3]
	v_mov_b32_e32 v4, s93
	v_add_co_u32_e32 v2, vcc, s92, v2
	v_addc_co_u32_e32 v3, vcc, v4, v3, vcc
	global_load_dwordx2 v[2:3], v[2:3], off
	s_waitcnt vmcnt(0)
	v_cvt_f16_f32_e32 v2, v2
	v_cvt_f16_f32_e32 v3, v3
	v_pack_b32_f16 v2, v2, v3
	v_pk_mul_f16 v2, v99, v2
	ds_write_b32 v142, v2
.LBB25_22:                              ;   in Loop: Header=BB25_15 Depth=1
	s_or_b64 exec, exec, s[2:3]
	v_add_u32_e32 v80, s34, v182
	v_cmp_le_i32_e32 vcc, s24, v80
	s_or_b64 s[2:3], vcc, s[4:5]
	s_and_saveexec_b64 s[54:55], s[2:3]
	s_xor_b64 s[2:3], exec, s[54:55]
	s_cbranch_execz .LBB25_24
; %bb.23:                               ;   in Loop: Header=BB25_15 Depth=1
	ds_write_b32 v183, v172
.LBB25_24:                              ;   in Loop: Header=BB25_15 Depth=1
	s_andn2_saveexec_b64 s[2:3], s[2:3]
	s_cbranch_execz .LBB25_26
; %bb.25:                               ;   in Loop: Header=BB25_15 Depth=1
	v_mad_u64_u32 v[2:3], s[54:55], v80, s53, v[62:63]
	v_ashrrev_i32_e32 v3, 31, v2
	v_lshlrev_b64 v[2:3], 3, v[2:3]
	v_mov_b32_e32 v4, s93
	v_add_co_u32_e32 v2, vcc, s92, v2
	v_addc_co_u32_e32 v3, vcc, v4, v3, vcc
	global_load_dwordx2 v[2:3], v[2:3], off
	s_waitcnt vmcnt(0)
	v_cvt_f16_f32_e32 v2, v2
	v_cvt_f16_f32_e32 v3, v3
	v_pack_b32_f16 v2, v2, v3
	v_pk_mul_f16 v2, v99, v2
	ds_write_b32 v183, v2
.LBB25_26:                              ;   in Loop: Header=BB25_15 Depth=1
	s_or_b64 exec, exec, s[2:3]
	v_add_u32_e32 v78, s34, v184
	v_cmp_le_i32_e32 vcc, s24, v78
	s_or_b64 s[2:3], vcc, s[4:5]
	;; [unrolled: 27-line block ×4, first 2 shown]
	s_and_saveexec_b64 s[54:55], s[2:3]
	s_xor_b64 s[2:3], exec, s[54:55]
	s_cbranch_execz .LBB25_36
; %bb.35:                               ;   in Loop: Header=BB25_15 Depth=1
	ds_write_b32 v187, v172 offset:1088
.LBB25_36:                              ;   in Loop: Header=BB25_15 Depth=1
	s_andn2_saveexec_b64 s[2:3], s[2:3]
	s_cbranch_execz .LBB25_38
; %bb.37:                               ;   in Loop: Header=BB25_15 Depth=1
	v_mad_u64_u32 v[2:3], s[54:55], v74, s53, v[62:63]
	v_ashrrev_i32_e32 v3, 31, v2
	v_lshlrev_b64 v[2:3], 3, v[2:3]
	v_mov_b32_e32 v4, s93
	v_add_co_u32_e32 v2, vcc, s92, v2
	v_addc_co_u32_e32 v3, vcc, v4, v3, vcc
	global_load_dwordx2 v[2:3], v[2:3], off
	s_waitcnt vmcnt(0)
	v_cvt_f16_f32_e32 v2, v2
	v_cvt_f16_f32_e32 v3, v3
	v_pack_b32_f16 v2, v2, v3
	v_pk_mul_f16 v2, v99, v2
	ds_write_b32 v187, v2 offset:1088
.LBB25_38:                              ;   in Loop: Header=BB25_15 Depth=1
	s_or_b64 exec, exec, s[2:3]
	v_add_u32_e32 v73, s34, v189
	v_cmp_le_i32_e32 vcc, s24, v73
	s_or_b64 s[2:3], vcc, s[4:5]
	s_and_saveexec_b64 s[54:55], s[2:3]
	s_xor_b64 s[2:3], exec, s[54:55]
	s_cbranch_execz .LBB25_40
; %bb.39:                               ;   in Loop: Header=BB25_15 Depth=1
	ds_write_b32 v187, v172 offset:2176
.LBB25_40:                              ;   in Loop: Header=BB25_15 Depth=1
	s_andn2_saveexec_b64 s[2:3], s[2:3]
	s_cbranch_execz .LBB25_42
; %bb.41:                               ;   in Loop: Header=BB25_15 Depth=1
	v_mad_u64_u32 v[2:3], s[54:55], v73, s53, v[62:63]
	v_ashrrev_i32_e32 v3, 31, v2
	v_lshlrev_b64 v[2:3], 3, v[2:3]
	v_mov_b32_e32 v4, s93
	v_add_co_u32_e32 v2, vcc, s92, v2
	v_addc_co_u32_e32 v3, vcc, v4, v3, vcc
	global_load_dwordx2 v[2:3], v[2:3], off
	s_waitcnt vmcnt(0)
	v_cvt_f16_f32_e32 v2, v2
	v_cvt_f16_f32_e32 v3, v3
	v_pack_b32_f16 v2, v2, v3
	v_pk_mul_f16 v2, v99, v2
	ds_write_b32 v187, v2 offset:2176
.LBB25_42:                              ;   in Loop: Header=BB25_15 Depth=1
	s_or_b64 exec, exec, s[2:3]
	v_add_u32_e32 v72, s34, v190
	v_cmp_le_i32_e32 vcc, s24, v72
	s_or_b64 s[2:3], vcc, s[4:5]
	;; [unrolled: 27-line block ×11, first 2 shown]
	s_and_saveexec_b64 s[4:5], s[2:3]
	s_xor_b64 s[2:3], exec, s[4:5]
	s_cbranch_execz .LBB25_80
; %bb.79:                               ;   in Loop: Header=BB25_15 Depth=1
	ds_write_b32 v187, v172 offset:13056
.LBB25_80:                              ;   in Loop: Header=BB25_15 Depth=1
	s_andn2_saveexec_b64 s[2:3], s[2:3]
	s_cbranch_execz .LBB25_82
; %bb.81:                               ;   in Loop: Header=BB25_15 Depth=1
	v_mad_u64_u32 v[2:3], s[4:5], v204, s53, v[62:63]
	v_ashrrev_i32_e32 v3, 31, v2
	v_lshlrev_b64 v[2:3], 3, v[2:3]
	v_mov_b32_e32 v4, s93
	v_add_co_u32_e32 v2, vcc, s92, v2
	v_addc_co_u32_e32 v3, vcc, v4, v3, vcc
	global_load_dwordx2 v[2:3], v[2:3], off
	s_waitcnt vmcnt(0)
	v_cvt_f16_f32_e32 v2, v2
	v_cvt_f16_f32_e32 v3, v3
	v_pack_b32_f16 v2, v2, v3
	v_pk_mul_f16 v2, v99, v2
	ds_write_b32 v187, v2 offset:13056
.LBB25_82:                              ;   in Loop: Header=BB25_15 Depth=1
	s_or_b64 exec, exec, s[2:3]
	s_waitcnt lgkmcnt(0)
	s_barrier
	ds_read2_b64 v[14:17], v171 offset1:4
	ds_read2_b64 v[10:13], v171 offset0:8 offset1:12
	ds_read2_b64 v[6:9], v171 offset0:16 offset1:20
	;; [unrolled: 1-line block ×3, first 2 shown]
	s_add_i32 s7, s41, -1
	v_add_u32_e32 v19, s34, v102
	v_add_u32_e32 v18, s34, v174
	v_readlane_b32 s4, v254, 26
	s_cmp_gt_i32 s7, s6
	v_readlane_b32 s5, v254, 27
	v_mul_hi_u32 v21, s4, v19
	v_mul_hi_u32 v20, s4, v18
	s_waitcnt lgkmcnt(0)
	s_barrier
	s_cbranch_scc1 .LBB25_86
; %bb.83:                               ;   in Loop: Header=BB25_15 Depth=1
	v_add_u32_e32 v22, v19, v21
	v_lshrrev_b32_e32 v22, s5, v22
	v_mul_lo_u32 v22, v22, s24
	v_sub_u32_e32 v22, v19, v22
	v_mad_i64_i32 v[66:67], s[2:3], v22, s42, 0
	v_add_u32_e32 v22, v18, v20
	v_lshrrev_b32_e32 v22, s5, v22
	v_mul_lo_u32 v22, v22, s24
	v_sub_u32_e32 v22, v18, v22
	v_mad_i64_i32 v[68:69], s[2:3], v22, s42, 0
	s_mov_b64 s[2:3], 0
	s_mov_b32 s4, 0xfeffffff
	s_mov_b32 s34, 0
	;; [unrolled: 1-line block ×3, first 2 shown]
	s_branch .LBB25_87
.LBB25_84:                              ;   in Loop: Header=BB25_15 Depth=1
	s_mov_b64 s[4:5], 0
                                        ; implicit-def: $vgpr2_vgpr3
                                        ; implicit-def: $vgpr204
	s_cbranch_execnz .LBB25_317
.LBB25_85:                              ;   in Loop: Header=BB25_15 Depth=1
	v_readlane_b32 s56, v254, 28
	v_mov_b32_e32 v205, v79
	v_mov_b32_e32 v206, v83
	s_and_saveexec_b64 s[2:3], s[4:5]
	s_cbranch_execz .LBB25_14
	s_branch .LBB25_614
.LBB25_86:                              ;   in Loop: Header=BB25_15 Depth=1
	s_mov_b64 s[2:3], -1
                                        ; implicit-def: $sgpr5
                                        ; implicit-def: $sgpr34
                                        ; implicit-def: $sgpr4
                                        ; implicit-def: $vgpr66_vgpr67
                                        ; implicit-def: $vgpr68_vgpr69
.LBB25_87:                              ;   in Loop: Header=BB25_15 Depth=1
	s_andn2_b64 vcc, exec, s[2:3]
	v_mov_b32_e32 v84, s5
	v_mov_b32_e32 v31, s34
	v_mov_b32_e32 v30, s4
	v_mov_b32_e32 v86, s5
	v_mov_b32_e32 v207, s5
	v_mov_b32_e32 v208, s5
	v_mov_b32_e32 v209, s5
	v_mov_b32_e32 v210, s5
	v_mov_b32_e32 v211, s5
	v_mov_b32_e32 v212, s5
	v_mov_b32_e32 v213, s5
	v_mov_b32_e32 v214, s5
	v_mov_b32_e32 v215, s5
	v_mov_b32_e32 v216, s5
	v_mov_b32_e32 v221, s5
	v_mov_b32_e32 v222, s5
	v_mov_b32_e32 v224, s5
	v_mov_b32_e32 v223, s5
	s_cbranch_vccnz .LBB25_155
; %bb.88:                               ;   in Loop: Header=BB25_15 Depth=1
	v_readlane_b32 s4, v254, 26
	v_add_u32_e32 v21, v19, v21
	v_readlane_b32 s5, v254, 27
	v_lshrrev_b32_e32 v21, s5, v21
	v_mul_lo_u32 v21, v21, s24
	v_sub_u32_e32 v19, v19, v21
	v_mad_i64_i32 v[66:67], s[2:3], v19, s42, 0
	v_add_u32_e32 v19, v18, v20
	v_lshrrev_b32_e32 v19, s5, v19
	v_mul_lo_u32 v19, v19, s24
	v_lshlrev_b32_e32 v22, 1, v56
	v_sub_u32_e32 v18, v18, v19
	v_add_co_u32_e32 v217, vcc, v206, v22
	v_mad_i64_i32 v[68:69], s[2:3], v18, s42, 0
	v_and_b32_e32 v18, 64, v170
	v_addc_co_u32_e32 v218, vcc, 0, v205, vcc
	v_add_u32_e32 v18, 64, v18
	v_xor_b32_e32 v19, 32, v170
	v_cmp_lt_i32_e32 vcc, v19, v18
	v_cndmask_b32_e32 v19, v170, v19, vcc
	v_lshlrev_b32_e32 v219, 2, v19
	v_xor_b32_e32 v19, 16, v170
	v_cmp_lt_i32_e32 vcc, v19, v18
	v_cndmask_b32_e32 v18, v170, v19, vcc
	v_mov_b32_e32 v223, 0
	v_lshlrev_b32_e32 v220, 2, v18
	s_lshl_b32 s2, s6, 6
	v_mov_b32_e32 v225, 0
	v_mov_b32_e32 v226, 0xfeffffff
	;; [unrolled: 1-line block ×17, first 2 shown]
.LBB25_89:                              ;   Parent Loop BB25_15 Depth=1
                                        ; =>  This Inner Loop Header: Depth=2
	s_ashr_i32 s3, s2, 31
	s_lshl_b64 s[4:5], s[2:3], 1
	v_add_co_u32_e32 v20, vcc, s4, v217
	v_mov_b32_e32 v18, s5
	v_addc_co_u32_e32 v21, vcc, v218, v18, vcc
	v_lshlrev_b64 v[18:19], 1, v[66:67]
	v_add_co_u32_e32 v18, vcc, v20, v18
	v_addc_co_u32_e32 v19, vcc, v21, v19, vcc
	global_load_dword v18, v[18:19], off
	v_add_u32_e32 v22, v175, v173
	s_mul_hi_i32 s5, s2, s38
	s_mul_i32 s4, s2, s38
	s_lshl_b64 s[4:5], s[4:5], 2
	s_add_u32 s3, s87, s4
	s_addc_u32 s4, s40, s5
	v_add_u32_e32 v30, 0x1000, v101
	v_add_u32_e32 v75, 0x2000, v101
                                        ; implicit-def: $vgpr227
	s_waitcnt vmcnt(0)
	ds_write_b32 v22, v18 offset:17408
	v_lshlrev_b64 v[18:19], 1, v[68:69]
	v_add_co_u32_e32 v18, vcc, v20, v18
	v_addc_co_u32_e32 v19, vcc, v21, v19, vcc
	global_load_dword v18, v[18:19], off
	v_mov_b32_e32 v19, s4
	s_waitcnt vmcnt(0)
	ds_write_b32 v22, v18 offset:18560
	v_add_co_u32_e32 v18, vcc, s3, v48
	v_addc_co_u32_e32 v19, vcc, v19, v49, vcc
	v_add_co_u32_e32 v18, vcc, v18, v116
	v_addc_co_u32_e32 v19, vcc, 0, v19, vcc
	global_load_dwordx4 v[18:21], v[18:19], off
	s_waitcnt vmcnt(0)
	ds_write_b128 v103, v[18:21]
	v_add_co_u32_e32 v18, vcc, s3, v50
	v_mov_b32_e32 v19, s4
	v_addc_co_u32_e32 v19, vcc, v19, v51, vcc
	v_add_co_u32_e32 v18, vcc, v18, v116
	v_addc_co_u32_e32 v19, vcc, 0, v19, vcc
	global_load_dwordx4 v[18:21], v[18:19], off
	s_waitcnt vmcnt(0)
	ds_write_b128 v176, v[18:21]
	v_add_co_u32_e32 v18, vcc, s3, v52
	v_mov_b32_e32 v19, s4
	;; [unrolled: 8-line block ×3, first 2 shown]
	v_addc_co_u32_e32 v19, vcc, v19, v55, vcc
	v_add_co_u32_e32 v18, vcc, v18, v116
	v_addc_co_u32_e32 v19, vcc, 0, v19, vcc
	global_load_dwordx4 v[18:21], v[18:19], off
	s_waitcnt vmcnt(0)
	ds_write_b128 v178, v[18:21]
	s_waitcnt lgkmcnt(0)
	s_barrier
	ds_read2_b64 v[18:21], v101 offset1:4
	s_waitcnt lgkmcnt(0)
	v_mfma_f32_16x16x16f16 v[22:25], v[18:19], v[14:15], 0
	v_mfma_f32_16x16x16f16 v[18:21], v[20:21], v[16:17], v[22:25]
	s_nop 7
	s_nop 1
	ds_read2_b64 v[22:25], v101 offset0:8 offset1:12
	s_waitcnt lgkmcnt(0)
	v_mfma_f32_16x16x16f16 v[18:21], v[22:23], v[10:11], v[18:21]
	v_mfma_f32_16x16x16f16 v[18:21], v[24:25], v[12:13], v[18:21]
	ds_read2_b64 v[22:25], v101 offset0:16 offset1:20
	s_waitcnt lgkmcnt(0)
	v_mfma_f32_16x16x16f16 v[18:21], v[22:23], v[6:7], v[18:21]
	v_mfma_f32_16x16x16f16 v[18:21], v[24:25], v[8:9], v[18:21]
	;; [unrolled: 4-line block ×3, first 2 shown]
	ds_read2_b64 v[22:25], v30 offset0:32 offset1:36
	s_waitcnt lgkmcnt(0)
	v_mfma_f32_16x16x16f16 v[26:29], v[22:23], v[14:15], 0
	s_nop 7
	v_cmp_nlt_f32_e64 s[4:5], |v18|, s43
	v_mfma_f32_16x16x16f16 v[22:25], v[24:25], v[16:17], v[26:29]
	s_nop 6
	ds_read2_b64 v[26:29], v30 offset0:40 offset1:44
	s_waitcnt lgkmcnt(0)
	v_mfma_f32_16x16x16f16 v[22:25], v[26:27], v[10:11], v[22:25]
	v_mfma_f32_16x16x16f16 v[22:25], v[28:29], v[12:13], v[22:25]
	ds_read2_b64 v[26:29], v30 offset0:48 offset1:52
	s_waitcnt lgkmcnt(0)
	v_mfma_f32_16x16x16f16 v[22:25], v[26:27], v[6:7], v[22:25]
	v_mfma_f32_16x16x16f16 v[22:25], v[28:29], v[8:9], v[22:25]
	;; [unrolled: 4-line block ×4, first 2 shown]
	s_nop 7
	s_nop 1
	ds_read2_b64 v[30:33], v75 offset0:72 offset1:76
	s_waitcnt lgkmcnt(0)
	v_mfma_f32_16x16x16f16 v[26:29], v[30:31], v[10:11], v[26:29]
	v_mfma_f32_16x16x16f16 v[26:29], v[32:33], v[12:13], v[26:29]
	ds_read2_b64 v[30:33], v75 offset0:80 offset1:84
	s_waitcnt lgkmcnt(0)
	v_mfma_f32_16x16x16f16 v[26:29], v[30:31], v[6:7], v[26:29]
	v_mfma_f32_16x16x16f16 v[26:29], v[32:33], v[8:9], v[26:29]
	ds_read2_b64 v[30:33], v75 offset0:88 offset1:92
	v_add_u32_e32 v75, 0x3000, v101
	s_waitcnt lgkmcnt(0)
	v_mfma_f32_16x16x16f16 v[26:29], v[30:31], v[2:3], v[26:29]
	v_mfma_f32_16x16x16f16 v[26:29], v[32:33], v[4:5], v[26:29]
	ds_read2_b64 v[30:33], v75 offset0:96 offset1:100
	s_waitcnt lgkmcnt(0)
	v_mfma_f32_16x16x16f16 v[228:231], v[30:31], v[14:15], 0
	v_mfma_f32_16x16x16f16 v[30:33], v[32:33], v[16:17], v[228:231]
	s_nop 7
	s_nop 1
	ds_read2_b64 v[228:231], v75 offset0:104 offset1:108
	s_waitcnt lgkmcnt(0)
	v_mfma_f32_16x16x16f16 v[30:33], v[228:229], v[10:11], v[30:33]
	v_mfma_f32_16x16x16f16 v[30:33], v[230:231], v[12:13], v[30:33]
	ds_read2_b64 v[228:231], v75 offset0:112 offset1:116
	s_waitcnt lgkmcnt(0)
	v_mfma_f32_16x16x16f16 v[30:33], v[228:229], v[6:7], v[30:33]
	v_mfma_f32_16x16x16f16 v[30:33], v[230:231], v[8:9], v[30:33]
	ds_read2_b64 v[228:231], v75 offset0:120 offset1:124
	s_waitcnt lgkmcnt(0)
	s_barrier
	v_mfma_f32_16x16x16f16 v[30:33], v[228:229], v[2:3], v[30:33]
	v_mfma_f32_16x16x16f16 v[30:33], v[230:231], v[4:5], v[30:33]
	s_and_saveexec_b64 s[34:35], s[4:5]
	s_xor_b64 s[4:5], exec, s[34:35]
	s_cbranch_execz .LBB25_91
; %bb.90:                               ;   in Loop: Header=BB25_89 Depth=2
	v_add_f32_e64 v75, |v18|, |v18|
	v_mul_f32_e32 v77, 0x3fb8aa3b, v75
	v_rndne_f32_e32 v144, v77
	v_sub_f32_e32 v145, v77, v144
	v_fma_f32 v77, v75, s50, -v77
	v_fmac_f32_e32 v77, 0x32a5705f, v75
	v_add_f32_e32 v77, v145, v77
	v_cvt_i32_f32_e32 v144, v144
	v_exp_f32_e32 v77, v77
	v_cmp_ngt_f32_e32 vcc, s51, v75
	v_ldexp_f32 v77, v77, v144
	v_cndmask_b32_e32 v77, 0, v77, vcc
	v_cmp_nlt_f32_e32 vcc, s30, v75
	v_cndmask_b32_e32 v75, v203, v77, vcc
	v_add_f32_e32 v75, 1.0, v75
	v_rcp_f32_e32 v75, v75
	v_fma_f32 v227, v75, -2.0, 1.0
.LBB25_91:                              ;   in Loop: Header=BB25_89 Depth=2
	s_andn2_saveexec_b64 s[4:5], s[4:5]
; %bb.92:                               ;   in Loop: Header=BB25_89 Depth=2
	v_mul_f32_e32 v75, v18, v18
	v_mov_b32_e32 v77, 0x3ca908c9
	v_fmac_f32_e32 v77, 0xbbbac73d, v75
	v_fma_f32 v77, v75, v77, v200
	v_fma_f32 v77, v75, v77, v201
	;; [unrolled: 1-line block ×3, first 2 shown]
	v_mul_f32_e64 v77, |v18|, v77
	v_fma_f32 v227, v75, v77, |v18|
; %bb.93:                               ;   in Loop: Header=BB25_89 Depth=2
	s_or_b64 exec, exec, s[4:5]
	v_cmp_nlt_f32_e64 s[4:5], |v19|, s43
                                        ; implicit-def: $vgpr228
	s_and_saveexec_b64 s[34:35], s[4:5]
	s_xor_b64 s[4:5], exec, s[34:35]
	s_cbranch_execz .LBB25_95
; %bb.94:                               ;   in Loop: Header=BB25_89 Depth=2
	v_add_f32_e64 v75, |v19|, |v19|
	v_mul_f32_e32 v77, 0x3fb8aa3b, v75
	v_rndne_f32_e32 v144, v77
	v_sub_f32_e32 v145, v77, v144
	v_fma_f32 v77, v75, s50, -v77
	v_fmac_f32_e32 v77, 0x32a5705f, v75
	v_add_f32_e32 v77, v145, v77
	v_cvt_i32_f32_e32 v144, v144
	v_exp_f32_e32 v77, v77
	v_cmp_ngt_f32_e32 vcc, s51, v75
	v_ldexp_f32 v77, v77, v144
	v_cndmask_b32_e32 v77, 0, v77, vcc
	v_cmp_nlt_f32_e32 vcc, s30, v75
	v_cndmask_b32_e32 v75, v203, v77, vcc
	v_add_f32_e32 v75, 1.0, v75
	v_rcp_f32_e32 v75, v75
	v_fma_f32 v228, v75, -2.0, 1.0
.LBB25_95:                              ;   in Loop: Header=BB25_89 Depth=2
	s_andn2_saveexec_b64 s[4:5], s[4:5]
; %bb.96:                               ;   in Loop: Header=BB25_89 Depth=2
	v_mul_f32_e32 v75, v19, v19
	v_mov_b32_e32 v77, 0x3ca908c9
	v_fmac_f32_e32 v77, 0xbbbac73d, v75
	v_fma_f32 v77, v75, v77, v200
	v_fma_f32 v77, v75, v77, v201
	;; [unrolled: 1-line block ×3, first 2 shown]
	v_mul_f32_e64 v77, |v19|, v77
	v_fma_f32 v228, v75, v77, |v19|
; %bb.97:                               ;   in Loop: Header=BB25_89 Depth=2
	s_or_b64 exec, exec, s[4:5]
	v_cmp_nlt_f32_e64 s[4:5], |v20|, s43
                                        ; implicit-def: $vgpr229
	s_and_saveexec_b64 s[34:35], s[4:5]
	s_xor_b64 s[4:5], exec, s[34:35]
	s_cbranch_execz .LBB25_99
; %bb.98:                               ;   in Loop: Header=BB25_89 Depth=2
	v_add_f32_e64 v75, |v20|, |v20|
	v_mul_f32_e32 v77, 0x3fb8aa3b, v75
	v_rndne_f32_e32 v144, v77
	v_sub_f32_e32 v145, v77, v144
	v_fma_f32 v77, v75, s50, -v77
	v_fmac_f32_e32 v77, 0x32a5705f, v75
	v_add_f32_e32 v77, v145, v77
	v_cvt_i32_f32_e32 v144, v144
	v_exp_f32_e32 v77, v77
	v_cmp_ngt_f32_e32 vcc, s51, v75
	v_ldexp_f32 v77, v77, v144
	v_cndmask_b32_e32 v77, 0, v77, vcc
	v_cmp_nlt_f32_e32 vcc, s30, v75
	v_cndmask_b32_e32 v75, v203, v77, vcc
	v_add_f32_e32 v75, 1.0, v75
	v_rcp_f32_e32 v75, v75
	v_fma_f32 v229, v75, -2.0, 1.0
.LBB25_99:                              ;   in Loop: Header=BB25_89 Depth=2
	s_andn2_saveexec_b64 s[4:5], s[4:5]
; %bb.100:                              ;   in Loop: Header=BB25_89 Depth=2
	v_mul_f32_e32 v75, v20, v20
	v_mov_b32_e32 v77, 0x3ca908c9
	v_fmac_f32_e32 v77, 0xbbbac73d, v75
	v_fma_f32 v77, v75, v77, v200
	v_fma_f32 v77, v75, v77, v201
	;; [unrolled: 1-line block ×3, first 2 shown]
	v_mul_f32_e64 v77, |v20|, v77
	v_fma_f32 v229, v75, v77, |v20|
; %bb.101:                              ;   in Loop: Header=BB25_89 Depth=2
	s_or_b64 exec, exec, s[4:5]
	v_cmp_nlt_f32_e64 s[4:5], |v21|, s43
                                        ; implicit-def: $vgpr230
	s_and_saveexec_b64 s[34:35], s[4:5]
	s_xor_b64 s[4:5], exec, s[34:35]
	s_cbranch_execz .LBB25_103
; %bb.102:                              ;   in Loop: Header=BB25_89 Depth=2
	v_add_f32_e64 v75, |v21|, |v21|
	v_mul_f32_e32 v77, 0x3fb8aa3b, v75
	v_rndne_f32_e32 v144, v77
	v_sub_f32_e32 v145, v77, v144
	v_fma_f32 v77, v75, s50, -v77
	v_fmac_f32_e32 v77, 0x32a5705f, v75
	v_add_f32_e32 v77, v145, v77
	v_cvt_i32_f32_e32 v144, v144
	v_exp_f32_e32 v77, v77
	v_cmp_ngt_f32_e32 vcc, s51, v75
	v_ldexp_f32 v77, v77, v144
	v_cndmask_b32_e32 v77, 0, v77, vcc
	v_cmp_nlt_f32_e32 vcc, s30, v75
	v_cndmask_b32_e32 v75, v203, v77, vcc
	v_add_f32_e32 v75, 1.0, v75
	v_rcp_f32_e32 v75, v75
	v_fma_f32 v230, v75, -2.0, 1.0
.LBB25_103:                             ;   in Loop: Header=BB25_89 Depth=2
	s_andn2_saveexec_b64 s[4:5], s[4:5]
; %bb.104:                              ;   in Loop: Header=BB25_89 Depth=2
	v_mul_f32_e32 v75, v21, v21
	v_mov_b32_e32 v77, 0x3ca908c9
	v_fmac_f32_e32 v77, 0xbbbac73d, v75
	v_fma_f32 v77, v75, v77, v200
	v_fma_f32 v77, v75, v77, v201
	;; [unrolled: 1-line block ×3, first 2 shown]
	v_mul_f32_e64 v77, |v21|, v77
	v_fma_f32 v230, v75, v77, |v21|
; %bb.105:                              ;   in Loop: Header=BB25_89 Depth=2
	s_or_b64 exec, exec, s[4:5]
	v_cmp_nlt_f32_e64 s[4:5], |v22|, s43
                                        ; implicit-def: $vgpr231
	s_and_saveexec_b64 s[34:35], s[4:5]
	s_xor_b64 s[4:5], exec, s[34:35]
	s_cbranch_execz .LBB25_107
; %bb.106:                              ;   in Loop: Header=BB25_89 Depth=2
	v_add_f32_e64 v75, |v22|, |v22|
	v_mul_f32_e32 v77, 0x3fb8aa3b, v75
	v_rndne_f32_e32 v144, v77
	v_sub_f32_e32 v145, v77, v144
	v_fma_f32 v77, v75, s50, -v77
	v_fmac_f32_e32 v77, 0x32a5705f, v75
	v_add_f32_e32 v77, v145, v77
	v_cvt_i32_f32_e32 v144, v144
	v_exp_f32_e32 v77, v77
	v_cmp_ngt_f32_e32 vcc, s51, v75
	v_ldexp_f32 v77, v77, v144
	v_cndmask_b32_e32 v77, 0, v77, vcc
	v_cmp_nlt_f32_e32 vcc, s30, v75
	v_cndmask_b32_e32 v75, v203, v77, vcc
	v_add_f32_e32 v75, 1.0, v75
	v_rcp_f32_e32 v75, v75
	v_fma_f32 v231, v75, -2.0, 1.0
.LBB25_107:                             ;   in Loop: Header=BB25_89 Depth=2
	s_andn2_saveexec_b64 s[4:5], s[4:5]
; %bb.108:                              ;   in Loop: Header=BB25_89 Depth=2
	v_mul_f32_e32 v75, v22, v22
	v_mov_b32_e32 v77, 0x3ca908c9
	v_fmac_f32_e32 v77, 0xbbbac73d, v75
	v_fma_f32 v77, v75, v77, v200
	v_fma_f32 v77, v75, v77, v201
	;; [unrolled: 1-line block ×3, first 2 shown]
	v_mul_f32_e64 v77, |v22|, v77
	v_fma_f32 v231, v75, v77, |v22|
; %bb.109:                              ;   in Loop: Header=BB25_89 Depth=2
	s_or_b64 exec, exec, s[4:5]
	v_cmp_nlt_f32_e64 s[4:5], |v23|, s43
                                        ; implicit-def: $vgpr232
	s_and_saveexec_b64 s[34:35], s[4:5]
	s_xor_b64 s[4:5], exec, s[34:35]
	s_cbranch_execz .LBB25_111
; %bb.110:                              ;   in Loop: Header=BB25_89 Depth=2
	v_add_f32_e64 v75, |v23|, |v23|
	v_mul_f32_e32 v77, 0x3fb8aa3b, v75
	v_rndne_f32_e32 v144, v77
	v_sub_f32_e32 v145, v77, v144
	v_fma_f32 v77, v75, s50, -v77
	v_fmac_f32_e32 v77, 0x32a5705f, v75
	v_add_f32_e32 v77, v145, v77
	v_cvt_i32_f32_e32 v144, v144
	v_exp_f32_e32 v77, v77
	v_cmp_ngt_f32_e32 vcc, s51, v75
	v_ldexp_f32 v77, v77, v144
	v_cndmask_b32_e32 v77, 0, v77, vcc
	v_cmp_nlt_f32_e32 vcc, s30, v75
	v_cndmask_b32_e32 v75, v203, v77, vcc
	v_add_f32_e32 v75, 1.0, v75
	v_rcp_f32_e32 v75, v75
	v_fma_f32 v232, v75, -2.0, 1.0
.LBB25_111:                             ;   in Loop: Header=BB25_89 Depth=2
	s_andn2_saveexec_b64 s[4:5], s[4:5]
; %bb.112:                              ;   in Loop: Header=BB25_89 Depth=2
	v_mul_f32_e32 v75, v23, v23
	v_mov_b32_e32 v77, 0x3ca908c9
	v_fmac_f32_e32 v77, 0xbbbac73d, v75
	v_fma_f32 v77, v75, v77, v200
	v_fma_f32 v77, v75, v77, v201
	;; [unrolled: 1-line block ×3, first 2 shown]
	v_mul_f32_e64 v77, |v23|, v77
	v_fma_f32 v232, v75, v77, |v23|
; %bb.113:                              ;   in Loop: Header=BB25_89 Depth=2
	s_or_b64 exec, exec, s[4:5]
	v_cmp_nlt_f32_e64 s[4:5], |v24|, s43
                                        ; implicit-def: $vgpr233
	s_and_saveexec_b64 s[34:35], s[4:5]
	s_xor_b64 s[4:5], exec, s[34:35]
	s_cbranch_execz .LBB25_115
; %bb.114:                              ;   in Loop: Header=BB25_89 Depth=2
	v_add_f32_e64 v75, |v24|, |v24|
	v_mul_f32_e32 v77, 0x3fb8aa3b, v75
	v_rndne_f32_e32 v144, v77
	v_sub_f32_e32 v145, v77, v144
	v_fma_f32 v77, v75, s50, -v77
	v_fmac_f32_e32 v77, 0x32a5705f, v75
	v_add_f32_e32 v77, v145, v77
	v_cvt_i32_f32_e32 v144, v144
	v_exp_f32_e32 v77, v77
	v_cmp_ngt_f32_e32 vcc, s51, v75
	v_ldexp_f32 v77, v77, v144
	v_cndmask_b32_e32 v77, 0, v77, vcc
	v_cmp_nlt_f32_e32 vcc, s30, v75
	v_cndmask_b32_e32 v75, v203, v77, vcc
	v_add_f32_e32 v75, 1.0, v75
	v_rcp_f32_e32 v75, v75
	v_fma_f32 v233, v75, -2.0, 1.0
.LBB25_115:                             ;   in Loop: Header=BB25_89 Depth=2
	s_andn2_saveexec_b64 s[4:5], s[4:5]
; %bb.116:                              ;   in Loop: Header=BB25_89 Depth=2
	v_mul_f32_e32 v75, v24, v24
	v_mov_b32_e32 v77, 0x3ca908c9
	v_fmac_f32_e32 v77, 0xbbbac73d, v75
	v_fma_f32 v77, v75, v77, v200
	v_fma_f32 v77, v75, v77, v201
	;; [unrolled: 1-line block ×3, first 2 shown]
	v_mul_f32_e64 v77, |v24|, v77
	v_fma_f32 v233, v75, v77, |v24|
; %bb.117:                              ;   in Loop: Header=BB25_89 Depth=2
	s_or_b64 exec, exec, s[4:5]
	v_cmp_nlt_f32_e64 s[4:5], |v25|, s43
                                        ; implicit-def: $vgpr234
	s_and_saveexec_b64 s[34:35], s[4:5]
	s_xor_b64 s[4:5], exec, s[34:35]
	s_cbranch_execz .LBB25_119
; %bb.118:                              ;   in Loop: Header=BB25_89 Depth=2
	v_add_f32_e64 v75, |v25|, |v25|
	v_mul_f32_e32 v77, 0x3fb8aa3b, v75
	v_rndne_f32_e32 v144, v77
	v_sub_f32_e32 v145, v77, v144
	v_fma_f32 v77, v75, s50, -v77
	v_fmac_f32_e32 v77, 0x32a5705f, v75
	v_add_f32_e32 v77, v145, v77
	v_cvt_i32_f32_e32 v144, v144
	v_exp_f32_e32 v77, v77
	v_cmp_ngt_f32_e32 vcc, s51, v75
	v_ldexp_f32 v77, v77, v144
	v_cndmask_b32_e32 v77, 0, v77, vcc
	v_cmp_nlt_f32_e32 vcc, s30, v75
	v_cndmask_b32_e32 v75, v203, v77, vcc
	v_add_f32_e32 v75, 1.0, v75
	v_rcp_f32_e32 v75, v75
	v_fma_f32 v234, v75, -2.0, 1.0
.LBB25_119:                             ;   in Loop: Header=BB25_89 Depth=2
	s_andn2_saveexec_b64 s[4:5], s[4:5]
; %bb.120:                              ;   in Loop: Header=BB25_89 Depth=2
	v_mul_f32_e32 v75, v25, v25
	v_mov_b32_e32 v77, 0x3ca908c9
	v_fmac_f32_e32 v77, 0xbbbac73d, v75
	v_fma_f32 v77, v75, v77, v200
	v_fma_f32 v77, v75, v77, v201
	;; [unrolled: 1-line block ×3, first 2 shown]
	v_mul_f32_e64 v77, |v25|, v77
	v_fma_f32 v234, v75, v77, |v25|
; %bb.121:                              ;   in Loop: Header=BB25_89 Depth=2
	s_or_b64 exec, exec, s[4:5]
	v_cmp_nlt_f32_e64 s[4:5], |v26|, s43
                                        ; implicit-def: $vgpr235
	s_and_saveexec_b64 s[34:35], s[4:5]
	s_xor_b64 s[4:5], exec, s[34:35]
	s_cbranch_execz .LBB25_123
; %bb.122:                              ;   in Loop: Header=BB25_89 Depth=2
	v_add_f32_e64 v75, |v26|, |v26|
	v_mul_f32_e32 v77, 0x3fb8aa3b, v75
	v_rndne_f32_e32 v144, v77
	v_sub_f32_e32 v145, v77, v144
	v_fma_f32 v77, v75, s50, -v77
	v_fmac_f32_e32 v77, 0x32a5705f, v75
	v_add_f32_e32 v77, v145, v77
	v_cvt_i32_f32_e32 v144, v144
	v_exp_f32_e32 v77, v77
	v_cmp_ngt_f32_e32 vcc, s51, v75
	v_ldexp_f32 v77, v77, v144
	v_cndmask_b32_e32 v77, 0, v77, vcc
	v_cmp_nlt_f32_e32 vcc, s30, v75
	v_cndmask_b32_e32 v75, v203, v77, vcc
	v_add_f32_e32 v75, 1.0, v75
	v_rcp_f32_e32 v75, v75
	v_fma_f32 v235, v75, -2.0, 1.0
.LBB25_123:                             ;   in Loop: Header=BB25_89 Depth=2
	s_andn2_saveexec_b64 s[4:5], s[4:5]
; %bb.124:                              ;   in Loop: Header=BB25_89 Depth=2
	v_mul_f32_e32 v75, v26, v26
	v_mov_b32_e32 v77, 0x3ca908c9
	v_fmac_f32_e32 v77, 0xbbbac73d, v75
	v_fma_f32 v77, v75, v77, v200
	v_fma_f32 v77, v75, v77, v201
	;; [unrolled: 1-line block ×3, first 2 shown]
	v_mul_f32_e64 v77, |v26|, v77
	v_fma_f32 v235, v75, v77, |v26|
; %bb.125:                              ;   in Loop: Header=BB25_89 Depth=2
	s_or_b64 exec, exec, s[4:5]
	v_cmp_nlt_f32_e64 s[4:5], |v27|, s43
                                        ; implicit-def: $vgpr236
	s_and_saveexec_b64 s[34:35], s[4:5]
	s_xor_b64 s[4:5], exec, s[34:35]
	s_cbranch_execz .LBB25_127
; %bb.126:                              ;   in Loop: Header=BB25_89 Depth=2
	v_add_f32_e64 v75, |v27|, |v27|
	v_mul_f32_e32 v77, 0x3fb8aa3b, v75
	v_rndne_f32_e32 v144, v77
	v_sub_f32_e32 v145, v77, v144
	v_fma_f32 v77, v75, s50, -v77
	v_fmac_f32_e32 v77, 0x32a5705f, v75
	v_add_f32_e32 v77, v145, v77
	v_cvt_i32_f32_e32 v144, v144
	v_exp_f32_e32 v77, v77
	v_cmp_ngt_f32_e32 vcc, s51, v75
	v_ldexp_f32 v77, v77, v144
	v_cndmask_b32_e32 v77, 0, v77, vcc
	v_cmp_nlt_f32_e32 vcc, s30, v75
	v_cndmask_b32_e32 v75, v203, v77, vcc
	v_add_f32_e32 v75, 1.0, v75
	v_rcp_f32_e32 v75, v75
	v_fma_f32 v236, v75, -2.0, 1.0
.LBB25_127:                             ;   in Loop: Header=BB25_89 Depth=2
	s_andn2_saveexec_b64 s[4:5], s[4:5]
; %bb.128:                              ;   in Loop: Header=BB25_89 Depth=2
	v_mul_f32_e32 v75, v27, v27
	v_mov_b32_e32 v77, 0x3ca908c9
	v_fmac_f32_e32 v77, 0xbbbac73d, v75
	v_fma_f32 v77, v75, v77, v200
	v_fma_f32 v77, v75, v77, v201
	;; [unrolled: 1-line block ×3, first 2 shown]
	v_mul_f32_e64 v77, |v27|, v77
	v_fma_f32 v236, v75, v77, |v27|
; %bb.129:                              ;   in Loop: Header=BB25_89 Depth=2
	s_or_b64 exec, exec, s[4:5]
	v_cmp_nlt_f32_e64 s[4:5], |v28|, s43
                                        ; implicit-def: $vgpr237
	s_and_saveexec_b64 s[34:35], s[4:5]
	s_xor_b64 s[4:5], exec, s[34:35]
	s_cbranch_execz .LBB25_131
; %bb.130:                              ;   in Loop: Header=BB25_89 Depth=2
	v_add_f32_e64 v75, |v28|, |v28|
	v_mul_f32_e32 v77, 0x3fb8aa3b, v75
	v_rndne_f32_e32 v144, v77
	v_sub_f32_e32 v145, v77, v144
	v_fma_f32 v77, v75, s50, -v77
	v_fmac_f32_e32 v77, 0x32a5705f, v75
	v_add_f32_e32 v77, v145, v77
	v_cvt_i32_f32_e32 v144, v144
	v_exp_f32_e32 v77, v77
	v_cmp_ngt_f32_e32 vcc, s51, v75
	v_ldexp_f32 v77, v77, v144
	v_cndmask_b32_e32 v77, 0, v77, vcc
	v_cmp_nlt_f32_e32 vcc, s30, v75
	v_cndmask_b32_e32 v75, v203, v77, vcc
	v_add_f32_e32 v75, 1.0, v75
	v_rcp_f32_e32 v75, v75
	v_fma_f32 v237, v75, -2.0, 1.0
.LBB25_131:                             ;   in Loop: Header=BB25_89 Depth=2
	s_andn2_saveexec_b64 s[4:5], s[4:5]
; %bb.132:                              ;   in Loop: Header=BB25_89 Depth=2
	v_mul_f32_e32 v75, v28, v28
	v_mov_b32_e32 v77, 0x3ca908c9
	v_fmac_f32_e32 v77, 0xbbbac73d, v75
	v_fma_f32 v77, v75, v77, v200
	v_fma_f32 v77, v75, v77, v201
	;; [unrolled: 1-line block ×3, first 2 shown]
	v_mul_f32_e64 v77, |v28|, v77
	v_fma_f32 v237, v75, v77, |v28|
; %bb.133:                              ;   in Loop: Header=BB25_89 Depth=2
	s_or_b64 exec, exec, s[4:5]
	v_cmp_nlt_f32_e64 s[4:5], |v29|, s43
                                        ; implicit-def: $vgpr238
	s_and_saveexec_b64 s[34:35], s[4:5]
	s_xor_b64 s[4:5], exec, s[34:35]
	s_cbranch_execz .LBB25_135
; %bb.134:                              ;   in Loop: Header=BB25_89 Depth=2
	v_add_f32_e64 v75, |v29|, |v29|
	v_mul_f32_e32 v77, 0x3fb8aa3b, v75
	v_rndne_f32_e32 v144, v77
	v_sub_f32_e32 v145, v77, v144
	v_fma_f32 v77, v75, s50, -v77
	v_fmac_f32_e32 v77, 0x32a5705f, v75
	v_add_f32_e32 v77, v145, v77
	v_cvt_i32_f32_e32 v144, v144
	v_exp_f32_e32 v77, v77
	v_cmp_ngt_f32_e32 vcc, s51, v75
	v_ldexp_f32 v77, v77, v144
	v_cndmask_b32_e32 v77, 0, v77, vcc
	v_cmp_nlt_f32_e32 vcc, s30, v75
	v_cndmask_b32_e32 v75, v203, v77, vcc
	v_add_f32_e32 v75, 1.0, v75
	v_rcp_f32_e32 v75, v75
	v_fma_f32 v238, v75, -2.0, 1.0
.LBB25_135:                             ;   in Loop: Header=BB25_89 Depth=2
	s_andn2_saveexec_b64 s[4:5], s[4:5]
; %bb.136:                              ;   in Loop: Header=BB25_89 Depth=2
	v_mul_f32_e32 v75, v29, v29
	v_mov_b32_e32 v77, 0x3ca908c9
	v_fmac_f32_e32 v77, 0xbbbac73d, v75
	v_fma_f32 v77, v75, v77, v200
	v_fma_f32 v77, v75, v77, v201
	;; [unrolled: 1-line block ×3, first 2 shown]
	v_mul_f32_e64 v77, |v29|, v77
	v_fma_f32 v238, v75, v77, |v29|
; %bb.137:                              ;   in Loop: Header=BB25_89 Depth=2
	s_or_b64 exec, exec, s[4:5]
	v_cmp_nlt_f32_e64 s[4:5], |v30|, s43
                                        ; implicit-def: $vgpr150
	s_and_saveexec_b64 s[34:35], s[4:5]
	s_xor_b64 s[4:5], exec, s[34:35]
	s_cbranch_execz .LBB25_139
; %bb.138:                              ;   in Loop: Header=BB25_89 Depth=2
	v_add_f32_e64 v75, |v30|, |v30|
	v_mul_f32_e32 v77, 0x3fb8aa3b, v75
	v_rndne_f32_e32 v144, v77
	v_sub_f32_e32 v145, v77, v144
	v_fma_f32 v77, v75, s50, -v77
	v_fmac_f32_e32 v77, 0x32a5705f, v75
	v_add_f32_e32 v77, v145, v77
	v_cvt_i32_f32_e32 v144, v144
	v_exp_f32_e32 v77, v77
	v_cmp_ngt_f32_e32 vcc, s51, v75
	v_ldexp_f32 v77, v77, v144
	v_cndmask_b32_e32 v77, 0, v77, vcc
	v_cmp_nlt_f32_e32 vcc, s30, v75
	v_cndmask_b32_e32 v75, v203, v77, vcc
	v_add_f32_e32 v75, 1.0, v75
	v_rcp_f32_e32 v75, v75
	v_fma_f32 v150, v75, -2.0, 1.0
.LBB25_139:                             ;   in Loop: Header=BB25_89 Depth=2
	s_andn2_saveexec_b64 s[4:5], s[4:5]
; %bb.140:                              ;   in Loop: Header=BB25_89 Depth=2
	v_mul_f32_e32 v75, v30, v30
	v_mov_b32_e32 v77, 0x3ca908c9
	v_fmac_f32_e32 v77, 0xbbbac73d, v75
	v_fma_f32 v77, v75, v77, v200
	v_fma_f32 v77, v75, v77, v201
	;; [unrolled: 1-line block ×3, first 2 shown]
	v_mul_f32_e64 v77, |v30|, v77
	v_fma_f32 v150, v75, v77, |v30|
; %bb.141:                              ;   in Loop: Header=BB25_89 Depth=2
	s_or_b64 exec, exec, s[4:5]
	v_cmp_nlt_f32_e64 s[4:5], |v31|, s43
                                        ; implicit-def: $vgpr146
	s_and_saveexec_b64 s[34:35], s[4:5]
	s_xor_b64 s[4:5], exec, s[34:35]
	s_cbranch_execz .LBB25_143
; %bb.142:                              ;   in Loop: Header=BB25_89 Depth=2
	v_add_f32_e64 v75, |v31|, |v31|
	v_mul_f32_e32 v77, 0x3fb8aa3b, v75
	v_rndne_f32_e32 v144, v77
	v_sub_f32_e32 v145, v77, v144
	v_fma_f32 v77, v75, s50, -v77
	v_fmac_f32_e32 v77, 0x32a5705f, v75
	v_add_f32_e32 v77, v145, v77
	v_cvt_i32_f32_e32 v144, v144
	v_exp_f32_e32 v77, v77
	v_cmp_ngt_f32_e32 vcc, s51, v75
	v_ldexp_f32 v77, v77, v144
	v_cndmask_b32_e32 v77, 0, v77, vcc
	v_cmp_nlt_f32_e32 vcc, s30, v75
	v_cndmask_b32_e32 v75, v203, v77, vcc
	v_add_f32_e32 v75, 1.0, v75
	v_rcp_f32_e32 v75, v75
	v_fma_f32 v146, v75, -2.0, 1.0
.LBB25_143:                             ;   in Loop: Header=BB25_89 Depth=2
	s_andn2_saveexec_b64 s[4:5], s[4:5]
; %bb.144:                              ;   in Loop: Header=BB25_89 Depth=2
	v_mul_f32_e32 v75, v31, v31
	v_mov_b32_e32 v77, 0x3ca908c9
	v_fmac_f32_e32 v77, 0xbbbac73d, v75
	v_fma_f32 v77, v75, v77, v200
	v_fma_f32 v77, v75, v77, v201
	;; [unrolled: 1-line block ×3, first 2 shown]
	v_mul_f32_e64 v77, |v31|, v77
	v_fma_f32 v146, v75, v77, |v31|
; %bb.145:                              ;   in Loop: Header=BB25_89 Depth=2
	s_or_b64 exec, exec, s[4:5]
	v_cmp_nlt_f32_e64 s[4:5], |v32|, s43
                                        ; implicit-def: $vgpr149
	s_and_saveexec_b64 s[34:35], s[4:5]
	s_xor_b64 s[4:5], exec, s[34:35]
	s_cbranch_execz .LBB25_147
; %bb.146:                              ;   in Loop: Header=BB25_89 Depth=2
	v_add_f32_e64 v75, |v32|, |v32|
	v_mul_f32_e32 v77, 0x3fb8aa3b, v75
	v_rndne_f32_e32 v144, v77
	v_sub_f32_e32 v145, v77, v144
	v_fma_f32 v77, v75, s50, -v77
	v_fmac_f32_e32 v77, 0x32a5705f, v75
	v_add_f32_e32 v77, v145, v77
	v_cvt_i32_f32_e32 v144, v144
	v_exp_f32_e32 v77, v77
	v_cmp_ngt_f32_e32 vcc, s51, v75
	v_ldexp_f32 v77, v77, v144
	v_cndmask_b32_e32 v77, 0, v77, vcc
	v_cmp_nlt_f32_e32 vcc, s30, v75
	v_cndmask_b32_e32 v75, v203, v77, vcc
	v_add_f32_e32 v75, 1.0, v75
	v_rcp_f32_e32 v75, v75
	v_fma_f32 v149, v75, -2.0, 1.0
.LBB25_147:                             ;   in Loop: Header=BB25_89 Depth=2
	s_andn2_saveexec_b64 s[4:5], s[4:5]
; %bb.148:                              ;   in Loop: Header=BB25_89 Depth=2
	v_mul_f32_e32 v75, v32, v32
	v_mov_b32_e32 v77, 0x3ca908c9
	v_fmac_f32_e32 v77, 0xbbbac73d, v75
	v_fma_f32 v77, v75, v77, v200
	v_fma_f32 v77, v75, v77, v201
	;; [unrolled: 1-line block ×3, first 2 shown]
	v_mul_f32_e64 v77, |v32|, v77
	v_fma_f32 v149, v75, v77, |v32|
; %bb.149:                              ;   in Loop: Header=BB25_89 Depth=2
	s_or_b64 exec, exec, s[4:5]
	v_cmp_nlt_f32_e64 s[4:5], |v33|, s43
                                        ; implicit-def: $vgpr145
	s_and_saveexec_b64 s[34:35], s[4:5]
	s_xor_b64 s[4:5], exec, s[34:35]
	s_cbranch_execz .LBB25_151
; %bb.150:                              ;   in Loop: Header=BB25_89 Depth=2
	v_add_f32_e64 v75, |v33|, |v33|
	v_mul_f32_e32 v77, 0x3fb8aa3b, v75
	v_rndne_f32_e32 v144, v77
	v_sub_f32_e32 v145, v77, v144
	v_fma_f32 v77, v75, s50, -v77
	v_fmac_f32_e32 v77, 0x32a5705f, v75
	v_add_f32_e32 v77, v145, v77
	v_cvt_i32_f32_e32 v144, v144
	v_exp_f32_e32 v77, v77
	v_cmp_ngt_f32_e32 vcc, s51, v75
	v_ldexp_f32 v77, v77, v144
	v_cndmask_b32_e32 v77, 0, v77, vcc
	v_cmp_nlt_f32_e32 vcc, s30, v75
	v_cndmask_b32_e32 v75, v203, v77, vcc
	v_add_f32_e32 v75, 1.0, v75
	v_rcp_f32_e32 v75, v75
	v_fma_f32 v145, v75, -2.0, 1.0
.LBB25_151:                             ;   in Loop: Header=BB25_89 Depth=2
	s_andn2_saveexec_b64 s[4:5], s[4:5]
; %bb.152:                              ;   in Loop: Header=BB25_89 Depth=2
	v_mul_f32_e32 v75, v33, v33
	v_mov_b32_e32 v77, 0x3ca908c9
	v_fmac_f32_e32 v77, 0xbbbac73d, v75
	v_fma_f32 v77, v75, v77, v200
	v_fma_f32 v77, v75, v77, v201
	;; [unrolled: 1-line block ×3, first 2 shown]
	v_mul_f32_e64 v77, |v33|, v77
	v_fma_f32 v145, v75, v77, |v33|
; %bb.153:                              ;   in Loop: Header=BB25_89 Depth=2
	s_or_b64 exec, exec, s[4:5]
	v_bfi_b32 v26, s0, v235, v26
	v_bfi_b32 v235, s0, v234, v25
	;; [unrolled: 1-line block ×9, first 2 shown]
	v_add_u32_e32 v18, 0x4400, v179
	v_bfi_b32 v28, s0, v237, v28
	v_bfi_b32 v27, s0, v236, v27
	ds_read_b32 v75, v104 offset:17408
	ds_read_b32 v77, v105 offset:17408
	ds_read2_b32 v[236:237], v18 offset1:1
	v_add_u32_e32 v18, 0x4400, v180
	ds_read2_b32 v[24:25], v18 offset1:1
	v_add_u32_e32 v18, 0x4400, v181
	ds_read2_b32 v[20:21], v18 offset1:1
	v_bfi_b32 v31, s0, v146, v31
	v_bfi_b32 v30, s0, v150, v30
	;; [unrolled: 1-line block ×4, first 2 shown]
	s_waitcnt lgkmcnt(0)
	v_cvt_f32_f16_e32 v22, v20
	v_cvt_f32_f16_sdwa v23, v20 dst_sel:DWORD dst_unused:UNUSED_PAD src0_sel:WORD_1
	v_cvt_f32_f16_e32 v18, v21
	v_cvt_f32_f16_sdwa v19, v21 dst_sel:DWORD dst_unused:UNUSED_PAD src0_sel:WORD_1
	v_bfi_b32 v32, s0, v149, v32
	v_pk_fma_f32 v[20:21], v[30:31], s[36:37], v[22:23]
	v_cvt_f32_f16_e32 v22, v25
	v_cvt_f32_f16_sdwa v23, v25 dst_sel:DWORD dst_unused:UNUSED_PAD src0_sel:WORD_1
	v_cvt_f32_f16_sdwa v31, v77 dst_sel:DWORD dst_unused:UNUSED_PAD src0_sel:WORD_1
	v_cvt_f32_f16_e32 v30, v77
	v_pk_fma_f32 v[18:19], v[32:33], s[36:37], v[18:19]
	v_pk_fma_f32 v[22:23], v[28:29], s[36:37], v[22:23]
	v_cvt_f32_f16_e32 v28, v24
	v_cvt_f32_f16_sdwa v29, v24 dst_sel:DWORD dst_unused:UNUSED_PAD src0_sel:WORD_1
	v_pk_fma_f32 v[32:33], v[230:231], s[36:37], v[30:31]
	v_cvt_f32_f16_sdwa v31, v75 dst_sel:DWORD dst_unused:UNUSED_PAD src0_sel:WORD_1
	v_cvt_f32_f16_e32 v30, v75
	v_pk_fma_f32 v[24:25], v[26:27], s[36:37], v[28:29]
	v_cvt_f32_f16_e32 v28, v236
	v_cvt_f32_f16_sdwa v29, v236 dst_sel:DWORD dst_unused:UNUSED_PAD src0_sel:WORD_1
	v_cvt_f32_f16_e32 v26, v237
	v_cvt_f32_f16_sdwa v27, v237 dst_sel:DWORD dst_unused:UNUSED_PAD src0_sel:WORD_1
	v_pk_fma_f32 v[228:229], v[228:229], s[36:37], v[30:31]
	v_add_f32_e32 v30, 0x40051340, v228
	v_add_f32_e32 v31, 0x40051340, v229
	v_pk_fma_f32 v[28:29], v[232:233], s[36:37], v[28:29]
	v_add_f32_e32 v77, 0x40051340, v32
	v_add_f32_e32 v230, 0x40051340, v33
	v_max3_f32 v30, v226, v30, v31
	v_pk_fma_f32 v[26:27], v[234:235], s[36:37], v[26:27]
	v_add_f32_e32 v232, 0x40051340, v28
	v_add_f32_e32 v233, 0x40051340, v29
	v_max3_f32 v30, v30, v77, v230
	v_add_f32_e32 v234, 0x40051340, v26
	v_add_f32_e32 v235, 0x40051340, v27
	v_max3_f32 v30, v30, v232, v233
	;; [unrolled: 3-line block ×6, first 2 shown]
	v_max3_f32 v30, v30, v144, v145
	ds_bpermute_b32 v31, v219, v30
	s_mul_hi_i32 s5, s2, s26
	s_mul_i32 s4, s2, s26
	s_lshl_b64 s[4:5], s[4:5], 2
	s_add_u32 s3, s48, s4
	s_waitcnt lgkmcnt(0)
	v_max_f32_e32 v31, v31, v31
	v_max_f32_e32 v30, v30, v31
	ds_bpermute_b32 v31, v220, v30
	s_addc_u32 s4, s86, s5
	s_add_i32 s6, s6, 1
	s_add_i32 s2, s2, 64
	s_cmp_lt_i32 s6, s7
	s_waitcnt lgkmcnt(0)
	v_max_f32_e32 v31, v31, v31
	v_max_f32_e32 v30, v30, v31
	v_pk_add_f32 v[228:229], v[228:229], v[30:31] op_sel_hi:[1,0] neg_lo:[0,1] neg_hi:[0,1]
	v_mul_f32_e32 v31, 0x3fb8aa3b, v229
	v_fma_f32 v75, v229, s50, -v31
	v_rndne_f32_e32 v77, v31
	v_fmac_f32_e32 v75, 0x32a5705f, v229
	v_sub_f32_e32 v31, v31, v77
	v_add_f32_e32 v31, v31, v75
	v_exp_f32_e32 v31, v31
	v_cvt_i32_f32_e32 v75, v77
	v_cmp_ngt_f32_e32 vcc, s51, v229
	v_ldexp_f32 v31, v31, v75
	v_cndmask_b32_e32 v31, 0, v31, vcc
	v_cmp_nlt_f32_e32 vcc, s30, v229
	v_cndmask_b32_e32 v227, v203, v31, vcc
	v_mul_f32_e32 v31, 0x3fb8aa3b, v228
	v_fma_f32 v75, v228, s50, -v31
	v_rndne_f32_e32 v77, v31
	v_fmac_f32_e32 v75, 0x32a5705f, v228
	v_sub_f32_e32 v31, v31, v77
	v_add_f32_e32 v31, v31, v75
	v_exp_f32_e32 v31, v31
	v_cvt_i32_f32_e32 v75, v77
	v_cmp_ngt_f32_e32 vcc, s51, v228
	v_ldexp_f32 v31, v31, v75
	v_cndmask_b32_e32 v31, 0, v31, vcc
	v_cmp_nlt_f32_e32 vcc, s30, v228
	v_pk_add_f32 v[32:33], v[32:33], v[30:31] op_sel_hi:[1,0] neg_lo:[0,1] neg_hi:[0,1]
	v_cndmask_b32_e32 v75, v203, v31, vcc
	v_mul_f32_e32 v31, 0x3fb8aa3b, v33
	v_fma_f32 v77, v33, s50, -v31
	v_rndne_f32_e32 v144, v31
	v_fmac_f32_e32 v77, 0x32a5705f, v33
	v_sub_f32_e32 v31, v31, v144
	v_add_f32_e32 v31, v31, v77
	v_exp_f32_e32 v31, v31
	v_cvt_i32_f32_e32 v77, v144
	v_cmp_ngt_f32_e32 vcc, s51, v33
	v_ldexp_f32 v31, v31, v77
	v_cndmask_b32_e32 v31, 0, v31, vcc
	v_cmp_nlt_f32_e32 vcc, s30, v33
	v_cndmask_b32_e32 v77, v203, v31, vcc
	v_mul_f32_e32 v31, 0x3fb8aa3b, v32
	v_fma_f32 v33, v32, s50, -v31
	v_rndne_f32_e32 v144, v31
	v_fmac_f32_e32 v33, 0x32a5705f, v32
	v_sub_f32_e32 v31, v31, v144
	v_add_f32_e32 v31, v31, v33
	v_exp_f32_e32 v31, v31
	v_cvt_i32_f32_e32 v33, v144
	v_cmp_ngt_f32_e32 vcc, s51, v32
	v_ldexp_f32 v31, v31, v33
	v_cndmask_b32_e32 v31, 0, v31, vcc
	v_cmp_nlt_f32_e32 vcc, s30, v32
	v_pk_add_f32 v[28:29], v[28:29], v[30:31] op_sel_hi:[1,0] neg_lo:[0,1] neg_hi:[0,1]
	v_cndmask_b32_e32 v144, v203, v31, vcc
	v_mul_f32_e32 v31, 0x3fb8aa3b, v29
	v_fma_f32 v32, v29, s50, -v31
	v_rndne_f32_e32 v33, v31
	v_fmac_f32_e32 v32, 0x32a5705f, v29
	v_sub_f32_e32 v31, v31, v33
	v_add_f32_e32 v31, v31, v32
	v_exp_f32_e32 v31, v31
	v_cvt_i32_f32_e32 v32, v33
	v_cmp_ngt_f32_e32 vcc, s51, v29
	v_ldexp_f32 v31, v31, v32
	v_cndmask_b32_e32 v31, 0, v31, vcc
	v_cmp_nlt_f32_e32 vcc, s30, v29
	v_mul_f32_e32 v29, 0x3fb8aa3b, v28
	v_cndmask_b32_e32 v145, v203, v31, vcc
	v_fma_f32 v31, v28, s50, -v29
	v_rndne_f32_e32 v32, v29
	v_fmac_f32_e32 v31, 0x32a5705f, v28
	v_sub_f32_e32 v29, v29, v32
	v_add_f32_e32 v29, v29, v31
	v_exp_f32_e32 v29, v29
	v_cvt_i32_f32_e32 v31, v32
	v_cmp_ngt_f32_e32 vcc, s51, v28
	v_ldexp_f32 v29, v29, v31
	v_pk_add_f32 v[26:27], v[26:27], v[30:31] op_sel_hi:[1,0] neg_lo:[0,1] neg_hi:[0,1]
	v_cndmask_b32_e32 v29, 0, v29, vcc
	v_cmp_nlt_f32_e32 vcc, s30, v28
	v_mul_f32_e32 v28, 0x3fb8aa3b, v27
	v_cndmask_b32_e32 v146, v203, v29, vcc
	v_fma_f32 v29, v27, s50, -v28
	v_rndne_f32_e32 v31, v28
	v_fmac_f32_e32 v29, 0x32a5705f, v27
	v_sub_f32_e32 v28, v28, v31
	v_add_f32_e32 v28, v28, v29
	v_exp_f32_e32 v28, v28
	v_cvt_i32_f32_e32 v29, v31
	v_cmp_ngt_f32_e32 vcc, s51, v27
	v_pk_add_f32 v[24:25], v[24:25], v[30:31] op_sel_hi:[1,0] neg_lo:[0,1] neg_hi:[0,1]
	v_pk_add_f32 v[22:23], v[22:23], v[30:31] op_sel_hi:[1,0] neg_lo:[0,1] neg_hi:[0,1]
	v_ldexp_f32 v28, v28, v29
	v_cndmask_b32_e32 v28, 0, v28, vcc
	v_cmp_nlt_f32_e32 vcc, s30, v27
	v_mul_f32_e32 v27, 0x3fb8aa3b, v26
	v_cndmask_b32_e32 v148, v203, v28, vcc
	v_fma_f32 v28, v26, s50, -v27
	v_rndne_f32_e32 v29, v27
	v_fmac_f32_e32 v28, 0x32a5705f, v26
	v_sub_f32_e32 v27, v27, v29
	v_add_f32_e32 v27, v27, v28
	v_exp_f32_e32 v27, v27
	v_cvt_i32_f32_e32 v28, v29
	v_cmp_ngt_f32_e32 vcc, s51, v26
	v_pk_add_f32 v[20:21], v[20:21], v[30:31] op_sel_hi:[1,0] neg_lo:[0,1] neg_hi:[0,1]
	v_pk_add_f32 v[18:19], v[18:19], v[30:31] op_sel_hi:[1,0] neg_lo:[0,1] neg_hi:[0,1]
	v_ldexp_f32 v27, v27, v28
	v_cndmask_b32_e32 v27, 0, v27, vcc
	v_cmp_nlt_f32_e32 vcc, s30, v26
	v_mul_f32_e32 v26, 0x3fb8aa3b, v25
	v_cndmask_b32_e32 v149, v203, v27, vcc
	v_fma_f32 v27, v25, s50, -v26
	v_rndne_f32_e32 v28, v26
	v_fmac_f32_e32 v27, 0x32a5705f, v25
	v_sub_f32_e32 v26, v26, v28
	v_add_f32_e32 v26, v26, v27
	v_exp_f32_e32 v26, v26
	v_cvt_i32_f32_e32 v27, v28
	v_cmp_ngt_f32_e32 vcc, s51, v25
	v_ldexp_f32 v26, v26, v27
	v_cndmask_b32_e32 v26, 0, v26, vcc
	v_cmp_nlt_f32_e32 vcc, s30, v25
	v_mul_f32_e32 v25, 0x3fb8aa3b, v24
	v_cndmask_b32_e32 v150, v203, v26, vcc
	v_fma_f32 v26, v24, s50, -v25
	v_rndne_f32_e32 v27, v25
	v_fmac_f32_e32 v26, 0x32a5705f, v24
	v_sub_f32_e32 v25, v25, v27
	v_add_f32_e32 v25, v25, v26
	v_exp_f32_e32 v25, v25
	v_cvt_i32_f32_e32 v26, v27
	v_cmp_ngt_f32_e32 vcc, s51, v24
	;; [unrolled: 13-line block ×7, first 2 shown]
	v_ldexp_f32 v20, v20, v21
	v_cndmask_b32_e32 v20, 0, v20, vcc
	v_cmp_nlt_f32_e32 vcc, s30, v19
	v_cndmask_b32_e32 v19, v203, v20, vcc
	v_mul_f32_e32 v20, 0x3fb8aa3b, v18
	v_fma_f32 v21, v18, s50, -v20
	v_rndne_f32_e32 v22, v20
	v_fmac_f32_e32 v21, 0x32a5705f, v18
	v_sub_f32_e32 v20, v20, v22
	v_add_f32_e32 v20, v20, v21
	v_exp_f32_e32 v20, v20
	v_cvt_i32_f32_e32 v21, v22
	v_cmp_ngt_f32_e32 vcc, s51, v18
	v_ldexp_f32 v20, v20, v21
	v_cndmask_b32_e32 v20, 0, v20, vcc
	v_cmp_nlt_f32_e32 vcc, s30, v18
	v_add_f32_e32 v18, v75, v227
	v_add_f32_e32 v18, v144, v18
	;; [unrolled: 1-line block ×12, first 2 shown]
	v_cndmask_b32_e32 v233, v203, v20, vcc
	v_add_f32_e32 v18, v231, v18
	v_add_f32_e32 v18, v233, v18
	;; [unrolled: 1-line block ×3, first 2 shown]
	v_sub_f32_e32 v18, v226, v30
	v_mul_f32_e32 v20, 0x3fb8aa3b, v18
	v_fma_f32 v21, v18, s50, -v20
	v_rndne_f32_e32 v22, v20
	v_fmac_f32_e32 v21, 0x32a5705f, v18
	v_sub_f32_e32 v20, v20, v22
	v_add_f32_e32 v20, v20, v21
	v_exp_f32_e32 v20, v20
	v_cvt_i32_f32_e32 v21, v22
	v_cmp_ngt_f32_e32 vcc, s51, v18
	v_cvt_f16_f32_e32 v19, v19
	v_ldexp_f32 v20, v20, v21
	v_cndmask_b32_e32 v20, 0, v20, vcc
	v_cmp_nlt_f32_e32 vcc, s30, v18
	v_cndmask_b32_e32 v20, v203, v20, vcc
	v_cmp_le_f32_e32 vcc, s1, v18
	v_cndmask_b32_e32 v18, 0, v20, vcc
	v_fmac_f32_e32 v31, v225, v18
	v_cvt_f16_f32_e32 v18, v18
	v_cvt_f16_f32_e32 v20, v75
	;; [unrolled: 1-line block ×4, first 2 shown]
	v_pk_mul_f16 v86, v18, v86 op_sel_hi:[0,1]
	v_pk_mul_f16 v84, v18, v84 op_sel_hi:[0,1]
	;; [unrolled: 1-line block ×16, first 2 shown]
	v_cvt_f16_f32_e32 v18, v227
	v_pack_b32_f16 v24, v20, v18
	v_cvt_f16_f32_e32 v18, v77
	v_cvt_f16_f32_e32 v20, v144
	v_mov_b32_e32 v77, s4
	v_pack_b32_f16 v25, v20, v18
	v_cvt_f16_f32_e32 v18, v145
	v_cvt_f16_f32_e32 v20, v146
	v_pack_b32_f16 v22, v20, v18
	v_cvt_f16_f32_e32 v18, v148
	v_cvt_f16_f32_e32 v20, v149
	;; [unrolled: 3-line block ×3, first 2 shown]
	v_pack_b32_f16 v20, v20, v18
	v_cvt_f16_f32_e32 v18, v229
	v_pack_b32_f16 v21, v21, v18
	v_cvt_f16_f32_e32 v18, v231
	;; [unrolled: 2-line block ×3, first 2 shown]
	v_pack_b32_f16 v19, v75, v19
	v_add_co_u32_e32 v75, vcc, s3, v40
	v_addc_co_u32_e32 v77, vcc, v77, v41, vcc
	v_add_co_u32_e32 v222, vcc, v75, v116
	v_addc_co_u32_e32 v223, vcc, 0, v77, vcc
	global_load_dwordx4 v[222:225], v[222:223], off
	v_add_co_u32_e32 v75, vcc, s3, v42
	v_mov_b32_e32 v77, s4
	v_addc_co_u32_e32 v77, vcc, v77, v43, vcc
	v_add_co_u32_e32 v226, vcc, v75, v116
	v_addc_co_u32_e32 v227, vcc, 0, v77, vcc
	v_add_co_u32_e32 v75, vcc, s3, v44
	v_mov_b32_e32 v77, s4
	v_addc_co_u32_e32 v77, vcc, v77, v45, vcc
	v_add_co_u32_e32 v228, vcc, v75, v116
	v_addc_co_u32_e32 v229, vcc, 0, v77, vcc
	v_add_co_u32_e32 v75, vcc, s3, v46
	v_mov_b32_e32 v77, s4
	v_addc_co_u32_e32 v77, vcc, v77, v47, vcc
	v_add_co_u32_e32 v230, vcc, v75, v116
	v_addc_co_u32_e32 v231, vcc, 0, v77, vcc
	s_waitcnt vmcnt(0)
	ds_write_b128 v103, v[222:225]
	global_load_dwordx4 v[222:225], v[226:227], off
	s_waitcnt vmcnt(0)
	ds_write_b128 v176, v[222:225]
	global_load_dwordx4 v[222:225], v[228:229], off
	;; [unrolled: 3-line block ×3, first 2 shown]
	s_waitcnt vmcnt(0)
	ds_write_b128 v178, v[222:225]
	s_waitcnt lgkmcnt(0)
	s_barrier
	ds_read_u16 v75, v107 offset:544
	ds_read_u16 v77, v108
	ds_read_u16 v144, v108 offset:32
	v_cvt_f32_f16_e32 v224, v84
	v_cvt_f32_f16_sdwa v225, v84 dst_sel:DWORD dst_unused:UNUSED_PAD src0_sel:WORD_1
	v_cvt_f32_f16_e32 v222, v86
	s_waitcnt lgkmcnt(1)
	v_perm_b32 v227, v77, v75, s44
	ds_read_u16 v75, v106
	ds_read_u16 v77, v106 offset:32
	ds_read_u16 v84, v107 offset:272
	;; [unrolled: 1-line block ×3, first 2 shown]
	v_cvt_f32_f16_sdwa v223, v86 dst_sel:DWORD dst_unused:UNUSED_PAD src0_sel:WORD_1
	ds_read_u16 v148, v106 offset:4352
	ds_read_u16 v149, v107 offset:4624
	;; [unrolled: 1-line block ×4, first 2 shown]
	s_waitcnt lgkmcnt(5)
	v_perm_b32 v226, v84, v75, s44
	s_nop 1
	v_mfma_f32_16x16x16f16 v[222:225], v[226:227], v[24:25], v[222:225]
	s_waitcnt lgkmcnt(0)
	v_perm_b32 v227, v215, v150, s44
	v_perm_b32 v226, v149, v148, s44
	ds_read_u16 v148, v106 offset:8704
	ds_read_u16 v149, v107 offset:8976
	;; [unrolled: 1-line block ×4, first 2 shown]
	s_nop 3
	v_cvt_f16_f32_e32 v75, v222
	v_cvt_f16_f32_e32 v84, v223
	;; [unrolled: 1-line block ×4, first 2 shown]
	v_cvt_f32_f16_e32 v222, v75
	v_cvt_f32_f16_e32 v223, v84
	;; [unrolled: 1-line block ×4, first 2 shown]
	s_nop 1
	v_mfma_f32_16x16x16f16 v[222:225], v[226:227], v[22:23], v[222:225]
	s_waitcnt lgkmcnt(0)
	v_perm_b32 v227, v215, v150, s44
	v_perm_b32 v226, v149, v148, s44
	ds_read_u16 v148, v106 offset:13056
	ds_read_u16 v149, v107 offset:13328
	;; [unrolled: 1-line block ×4, first 2 shown]
	s_nop 3
	v_cvt_f16_f32_e32 v75, v222
	v_cvt_f16_f32_e32 v84, v223
	;; [unrolled: 1-line block ×4, first 2 shown]
	v_cvt_f32_f16_e32 v222, v75
	v_cvt_f32_f16_e32 v223, v84
	;; [unrolled: 1-line block ×4, first 2 shown]
	s_nop 1
	v_mfma_f32_16x16x16f16 v[222:225], v[226:227], v[20:21], v[222:225]
	s_waitcnt lgkmcnt(0)
	v_perm_b32 v227, v215, v150, s44
	v_perm_b32 v226, v149, v148, s44
	s_nop 7
	v_cvt_f16_f32_e32 v75, v222
	v_cvt_f16_f32_e32 v84, v223
	;; [unrolled: 1-line block ×4, first 2 shown]
	v_cvt_f32_f16_e32 v222, v75
	v_cvt_f32_f16_e32 v223, v84
	v_cvt_f32_f16_e32 v224, v86
	v_cvt_f32_f16_e32 v225, v146
	s_nop 1
	v_mfma_f32_16x16x16f16 v[222:225], v[226:227], v[18:19], v[222:225]
	v_perm_b32 v226, v145, v77, s44
	s_nop 7
	s_nop 1
	v_cvt_f16_f32_e32 v75, v222
	v_cvt_f16_f32_e32 v84, v223
	;; [unrolled: 1-line block ×4, first 2 shown]
	v_cvt_f32_f16_e32 v222, v208
	v_pack_b32_f16 v86, v75, v84
	ds_read_u16 v75, v112 offset:544
	v_cvt_f32_f16_sdwa v223, v208 dst_sel:DWORD dst_unused:UNUSED_PAD src0_sel:WORD_1
	v_cvt_f32_f16_e32 v224, v207
	v_cvt_f32_f16_sdwa v225, v207 dst_sel:DWORD dst_unused:UNUSED_PAD src0_sel:WORD_1
	v_pack_b32_f16 v84, v146, v148
	s_waitcnt lgkmcnt(0)
	v_perm_b32 v227, v144, v75, s44
	ds_read_u16 v146, v106 offset:4384
	ds_read_u16 v148, v107 offset:4656
	ds_read_u16 v149, v113 offset:544
	ds_read_u16 v150, v108 offset:4384
	v_mfma_f32_16x16x16f16 v[222:225], v[226:227], v[24:25], v[222:225]
	s_waitcnt lgkmcnt(0)
	v_perm_b32 v227, v150, v149, s44
	v_perm_b32 v226, v148, v146, s44
	ds_read_u16 v146, v106 offset:8736
	ds_read_u16 v148, v107 offset:9008
	;; [unrolled: 1-line block ×4, first 2 shown]
	s_nop 3
	v_cvt_f16_f32_e32 v75, v222
	v_cvt_f16_f32_e32 v77, v223
	;; [unrolled: 1-line block ×4, first 2 shown]
	v_cvt_f32_f16_e32 v222, v75
	v_cvt_f32_f16_e32 v223, v77
	;; [unrolled: 1-line block ×4, first 2 shown]
	s_nop 1
	v_mfma_f32_16x16x16f16 v[222:225], v[226:227], v[22:23], v[222:225]
	s_waitcnt lgkmcnt(0)
	v_perm_b32 v227, v150, v149, s44
	v_perm_b32 v226, v148, v146, s44
	ds_read_u16 v146, v106 offset:13088
	ds_read_u16 v148, v107 offset:13360
	;; [unrolled: 1-line block ×4, first 2 shown]
	s_nop 3
	v_cvt_f16_f32_e32 v75, v222
	v_cvt_f16_f32_e32 v77, v223
	;; [unrolled: 1-line block ×4, first 2 shown]
	v_cvt_f32_f16_e32 v222, v75
	v_cvt_f32_f16_e32 v223, v77
	;; [unrolled: 1-line block ×4, first 2 shown]
	s_nop 1
	v_mfma_f32_16x16x16f16 v[222:225], v[226:227], v[20:21], v[222:225]
	s_waitcnt lgkmcnt(0)
	v_perm_b32 v227, v150, v149, s44
	v_perm_b32 v226, v148, v146, s44
	s_nop 7
	v_cvt_f16_f32_e32 v75, v222
	v_cvt_f16_f32_e32 v77, v223
	v_cvt_f16_f32_e32 v144, v224
	v_cvt_f16_f32_e32 v145, v225
	v_cvt_f32_f16_e32 v222, v75
	v_cvt_f32_f16_e32 v223, v77
	;; [unrolled: 1-line block ×4, first 2 shown]
	s_nop 1
	v_mfma_f32_16x16x16f16 v[222:225], v[226:227], v[18:19], v[222:225]
	s_nop 7
	s_nop 2
	v_cvt_f16_f32_e32 v75, v222
	v_cvt_f16_f32_e32 v77, v223
	;; [unrolled: 1-line block ×4, first 2 shown]
	v_cvt_f32_f16_e32 v222, v210
	v_pack_b32_f16 v208, v75, v77
	v_cvt_f32_f16_sdwa v223, v210 dst_sel:DWORD dst_unused:UNUSED_PAD src0_sel:WORD_1
	v_pack_b32_f16 v207, v144, v145
	ds_read_u16 v75, v106 offset:64
	ds_read_u16 v77, v107 offset:336
	;; [unrolled: 1-line block ×4, first 2 shown]
	v_cvt_f32_f16_e32 v224, v209
	v_cvt_f32_f16_sdwa v225, v209 dst_sel:DWORD dst_unused:UNUSED_PAD src0_sel:WORD_1
	s_waitcnt lgkmcnt(2)
	v_perm_b32 v226, v77, v75, s44
	ds_read_u16 v146, v106 offset:4416
	ds_read_u16 v148, v107 offset:4688
	;; [unrolled: 1-line block ×4, first 2 shown]
	s_waitcnt lgkmcnt(4)
	v_perm_b32 v227, v145, v144, s44
	s_nop 1
	v_mfma_f32_16x16x16f16 v[222:225], v[226:227], v[24:25], v[222:225]
	s_waitcnt lgkmcnt(0)
	v_perm_b32 v227, v150, v149, s44
	v_perm_b32 v226, v148, v146, s44
	ds_read_u16 v146, v106 offset:8768
	ds_read_u16 v148, v107 offset:9040
	;; [unrolled: 1-line block ×4, first 2 shown]
	s_nop 3
	v_cvt_f16_f32_e32 v75, v222
	v_cvt_f16_f32_e32 v77, v223
	;; [unrolled: 1-line block ×4, first 2 shown]
	v_cvt_f32_f16_e32 v222, v75
	v_cvt_f32_f16_e32 v223, v77
	v_cvt_f32_f16_e32 v224, v144
	v_cvt_f32_f16_e32 v225, v145
	s_nop 1
	v_mfma_f32_16x16x16f16 v[222:225], v[226:227], v[22:23], v[222:225]
	s_waitcnt lgkmcnt(0)
	v_perm_b32 v227, v150, v149, s44
	v_perm_b32 v226, v148, v146, s44
	ds_read_u16 v146, v106 offset:13120
	ds_read_u16 v148, v107 offset:13392
	;; [unrolled: 1-line block ×4, first 2 shown]
	s_nop 3
	v_cvt_f16_f32_e32 v75, v222
	v_cvt_f16_f32_e32 v77, v223
	;; [unrolled: 1-line block ×4, first 2 shown]
	v_cvt_f32_f16_e32 v222, v75
	v_cvt_f32_f16_e32 v223, v77
	;; [unrolled: 1-line block ×4, first 2 shown]
	s_nop 1
	v_mfma_f32_16x16x16f16 v[222:225], v[226:227], v[20:21], v[222:225]
	s_waitcnt lgkmcnt(0)
	v_perm_b32 v227, v150, v149, s44
	v_perm_b32 v226, v148, v146, s44
	s_nop 7
	v_cvt_f16_f32_e32 v75, v222
	v_cvt_f16_f32_e32 v77, v223
	;; [unrolled: 1-line block ×4, first 2 shown]
	v_cvt_f32_f16_e32 v222, v75
	v_cvt_f32_f16_e32 v223, v77
	;; [unrolled: 1-line block ×4, first 2 shown]
	s_nop 1
	v_mfma_f32_16x16x16f16 v[222:225], v[226:227], v[18:19], v[222:225]
	s_nop 7
	s_nop 2
	v_cvt_f16_f32_e32 v75, v222
	v_cvt_f16_f32_e32 v77, v223
	;; [unrolled: 1-line block ×4, first 2 shown]
	v_cvt_f32_f16_e32 v222, v212
	v_pack_b32_f16 v210, v75, v77
	v_cvt_f32_f16_sdwa v223, v212 dst_sel:DWORD dst_unused:UNUSED_PAD src0_sel:WORD_1
	v_pack_b32_f16 v209, v144, v145
	ds_read_u16 v75, v106 offset:96
	ds_read_u16 v77, v107 offset:368
	;; [unrolled: 1-line block ×4, first 2 shown]
	v_cvt_f32_f16_e32 v224, v211
	v_cvt_f32_f16_sdwa v225, v211 dst_sel:DWORD dst_unused:UNUSED_PAD src0_sel:WORD_1
	s_waitcnt lgkmcnt(2)
	v_perm_b32 v226, v77, v75, s44
	ds_read_u16 v146, v106 offset:4448
	ds_read_u16 v148, v107 offset:4720
	;; [unrolled: 1-line block ×4, first 2 shown]
	s_waitcnt lgkmcnt(4)
	v_perm_b32 v227, v145, v144, s44
	s_nop 1
	v_mfma_f32_16x16x16f16 v[222:225], v[226:227], v[24:25], v[222:225]
	s_waitcnt lgkmcnt(0)
	v_perm_b32 v227, v150, v149, s44
	v_perm_b32 v226, v148, v146, s44
	ds_read_u16 v146, v106 offset:8800
	ds_read_u16 v148, v107 offset:9072
	;; [unrolled: 1-line block ×4, first 2 shown]
	s_nop 3
	v_cvt_f16_f32_e32 v75, v222
	v_cvt_f16_f32_e32 v77, v223
	;; [unrolled: 1-line block ×4, first 2 shown]
	v_cvt_f32_f16_e32 v222, v75
	v_cvt_f32_f16_e32 v223, v77
	;; [unrolled: 1-line block ×4, first 2 shown]
	s_nop 1
	v_mfma_f32_16x16x16f16 v[222:225], v[226:227], v[22:23], v[222:225]
	s_waitcnt lgkmcnt(0)
	v_perm_b32 v227, v150, v149, s44
	v_perm_b32 v226, v148, v146, s44
	ds_read_u16 v146, v106 offset:13152
	ds_read_u16 v148, v107 offset:13424
	ds_read_u16 v149, v125 offset:544
	ds_read_u16 v150, v108 offset:13152
	s_nop 3
	v_cvt_f16_f32_e32 v75, v222
	v_cvt_f16_f32_e32 v77, v223
	;; [unrolled: 1-line block ×4, first 2 shown]
	v_cvt_f32_f16_e32 v222, v75
	v_cvt_f32_f16_e32 v223, v77
	;; [unrolled: 1-line block ×4, first 2 shown]
	s_nop 1
	v_mfma_f32_16x16x16f16 v[222:225], v[226:227], v[20:21], v[222:225]
	s_waitcnt lgkmcnt(0)
	v_perm_b32 v227, v150, v149, s44
	v_perm_b32 v226, v148, v146, s44
	s_nop 7
	v_cvt_f16_f32_e32 v75, v222
	v_cvt_f16_f32_e32 v77, v223
	;; [unrolled: 1-line block ×4, first 2 shown]
	v_cvt_f32_f16_e32 v222, v75
	v_cvt_f32_f16_e32 v223, v77
	;; [unrolled: 1-line block ×4, first 2 shown]
	s_nop 1
	v_mfma_f32_16x16x16f16 v[222:225], v[226:227], v[18:19], v[222:225]
	v_cvt_f32_f16_e32 v226, v26
	v_cvt_f32_f16_sdwa v227, v26 dst_sel:DWORD dst_unused:UNUSED_PAD src0_sel:WORD_1
	s_nop 7
	s_nop 0
	v_cvt_f16_f32_e32 v75, v222
	v_cvt_f16_f32_e32 v77, v223
	;; [unrolled: 1-line block ×4, first 2 shown]
	v_cvt_f32_f16_e32 v222, v214
	v_pack_b32_f16 v212, v75, v77
	v_cvt_f32_f16_sdwa v223, v214 dst_sel:DWORD dst_unused:UNUSED_PAD src0_sel:WORD_1
	v_pack_b32_f16 v211, v144, v145
	ds_read_u16 v75, v106 offset:128
	ds_read_u16 v77, v107 offset:400
	;; [unrolled: 1-line block ×4, first 2 shown]
	v_cvt_f32_f16_e32 v224, v213
	v_cvt_f32_f16_sdwa v225, v213 dst_sel:DWORD dst_unused:UNUSED_PAD src0_sel:WORD_1
	s_waitcnt lgkmcnt(2)
	v_perm_b32 v214, v77, v75, s44
	ds_read_u16 v146, v106 offset:4480
	ds_read_u16 v148, v107 offset:4752
	;; [unrolled: 1-line block ×4, first 2 shown]
	s_waitcnt lgkmcnt(4)
	v_perm_b32 v215, v145, v144, s44
	s_nop 1
	v_mfma_f32_16x16x16f16 v[222:225], v[214:215], v[24:25], v[222:225]
	s_waitcnt lgkmcnt(0)
	v_perm_b32 v215, v150, v149, s44
	v_perm_b32 v214, v148, v146, s44
	ds_read_u16 v146, v106 offset:8832
	ds_read_u16 v148, v107 offset:9104
	;; [unrolled: 1-line block ×4, first 2 shown]
	s_nop 3
	v_cvt_f16_f32_e32 v75, v222
	v_cvt_f16_f32_e32 v77, v223
	;; [unrolled: 1-line block ×4, first 2 shown]
	v_cvt_f32_f16_e32 v222, v75
	v_cvt_f32_f16_e32 v223, v77
	;; [unrolled: 1-line block ×4, first 2 shown]
	s_nop 1
	v_mfma_f32_16x16x16f16 v[222:225], v[214:215], v[22:23], v[222:225]
	s_waitcnt lgkmcnt(0)
	v_perm_b32 v215, v150, v149, s44
	v_perm_b32 v214, v148, v146, s44
	ds_read_u16 v146, v106 offset:13184
	ds_read_u16 v148, v107 offset:13456
	ds_read_u16 v149, v129 offset:544
	ds_read_u16 v150, v108 offset:13184
	s_nop 3
	v_cvt_f16_f32_e32 v75, v222
	v_cvt_f16_f32_e32 v77, v223
	;; [unrolled: 1-line block ×4, first 2 shown]
	v_cvt_f32_f16_e32 v222, v75
	v_cvt_f32_f16_e32 v223, v77
	;; [unrolled: 1-line block ×4, first 2 shown]
	s_nop 1
	v_mfma_f32_16x16x16f16 v[222:225], v[214:215], v[20:21], v[222:225]
	s_waitcnt lgkmcnt(0)
	v_perm_b32 v215, v150, v149, s44
	v_perm_b32 v214, v148, v146, s44
	s_nop 7
	v_cvt_f16_f32_e32 v75, v222
	v_cvt_f16_f32_e32 v77, v223
	;; [unrolled: 1-line block ×4, first 2 shown]
	v_cvt_f32_f16_e32 v222, v75
	v_cvt_f32_f16_e32 v223, v77
	;; [unrolled: 1-line block ×4, first 2 shown]
	s_nop 1
	v_mfma_f32_16x16x16f16 v[222:225], v[214:215], v[18:19], v[222:225]
	s_nop 7
	s_nop 2
	v_cvt_f16_f32_e32 v75, v222
	v_cvt_f16_f32_e32 v77, v223
	v_cvt_f16_f32_e32 v144, v224
	v_cvt_f16_f32_e32 v145, v225
	v_cvt_f32_f16_e32 v222, v33
	v_pack_b32_f16 v214, v75, v77
	v_cvt_f32_f16_sdwa v223, v33 dst_sel:DWORD dst_unused:UNUSED_PAD src0_sel:WORD_1
	v_pack_b32_f16 v213, v144, v145
	ds_read_u16 v75, v106 offset:160
	ds_read_u16 v77, v107 offset:432
	;; [unrolled: 1-line block ×4, first 2 shown]
	v_cvt_f32_f16_e32 v224, v32
	v_cvt_f32_f16_sdwa v225, v32 dst_sel:DWORD dst_unused:UNUSED_PAD src0_sel:WORD_1
	s_waitcnt lgkmcnt(2)
	v_perm_b32 v32, v77, v75, s44
	s_waitcnt lgkmcnt(0)
	v_perm_b32 v33, v145, v144, s44
	ds_read_u16 v144, v106 offset:4512
	ds_read_u16 v145, v107 offset:4784
	ds_read_u16 v146, v131 offset:544
	ds_read_u16 v148, v108 offset:4512
	v_mfma_f32_16x16x16f16 v[222:225], v[32:33], v[24:25], v[222:225]
	s_nop 7
	s_nop 2
	v_cvt_f16_f32_e32 v32, v222
	v_cvt_f16_f32_e32 v33, v223
	v_cvt_f16_f32_e32 v75, v224
	v_cvt_f16_f32_e32 v77, v225
	v_cvt_f32_f16_e32 v222, v32
	v_cvt_f32_f16_e32 v223, v33
	s_waitcnt lgkmcnt(0)
	v_perm_b32 v33, v148, v146, s44
	v_perm_b32 v32, v145, v144, s44
	v_cvt_f32_f16_e32 v224, v75
	v_cvt_f32_f16_e32 v225, v77
	ds_read_u16 v144, v106 offset:8864
	ds_read_u16 v145, v107 offset:9136
	ds_read_u16 v146, v132 offset:544
	ds_read_u16 v148, v108 offset:8864
	v_mfma_f32_16x16x16f16 v[222:225], v[32:33], v[22:23], v[222:225]
	s_nop 7
	s_nop 2
	v_cvt_f16_f32_e32 v32, v222
	v_cvt_f16_f32_e32 v33, v223
	v_cvt_f16_f32_e32 v75, v224
	v_cvt_f16_f32_e32 v77, v225
	v_cvt_f32_f16_e32 v222, v32
	v_cvt_f32_f16_e32 v223, v33
	s_waitcnt lgkmcnt(0)
	v_perm_b32 v33, v148, v146, s44
	v_perm_b32 v32, v145, v144, s44
	v_cvt_f32_f16_e32 v224, v75
	v_cvt_f32_f16_e32 v225, v77
	;; [unrolled: 18-line block ×3, first 2 shown]
	s_nop 1
	v_mfma_f32_16x16x16f16 v[222:225], v[32:33], v[18:19], v[222:225]
	s_nop 7
	s_nop 2
	v_cvt_f16_f32_e32 v32, v222
	v_cvt_f16_f32_e32 v33, v223
	v_cvt_f16_f32_e32 v75, v224
	v_cvt_f16_f32_e32 v77, v225
	v_cvt_f32_f16_e32 v222, v29
	v_pack_b32_f16 v216, v32, v33
	v_cvt_f32_f16_sdwa v223, v29 dst_sel:DWORD dst_unused:UNUSED_PAD src0_sel:WORD_1
	v_pack_b32_f16 v215, v75, v77
	ds_read_u16 v32, v106 offset:192
	ds_read_u16 v33, v107 offset:464
	;; [unrolled: 1-line block ×4, first 2 shown]
	v_cvt_f32_f16_e32 v224, v28
	v_cvt_f32_f16_sdwa v225, v28 dst_sel:DWORD dst_unused:UNUSED_PAD src0_sel:WORD_1
	s_waitcnt lgkmcnt(2)
	v_perm_b32 v28, v33, v32, s44
	s_waitcnt lgkmcnt(0)
	v_perm_b32 v29, v77, v75, s44
	ds_read_u16 v75, v106 offset:4544
	ds_read_u16 v77, v107 offset:4816
	ds_read_u16 v144, v135 offset:544
	ds_read_u16 v145, v108 offset:4544
	v_mfma_f32_16x16x16f16 v[222:225], v[28:29], v[24:25], v[222:225]
	s_nop 7
	s_nop 2
	v_cvt_f16_f32_e32 v28, v222
	v_cvt_f16_f32_e32 v29, v223
	v_cvt_f16_f32_e32 v32, v224
	v_cvt_f16_f32_e32 v33, v225
	v_cvt_f32_f16_e32 v222, v28
	v_cvt_f32_f16_e32 v223, v29
	s_waitcnt lgkmcnt(0)
	v_perm_b32 v29, v145, v144, s44
	v_perm_b32 v28, v77, v75, s44
	v_cvt_f32_f16_e32 v224, v32
	v_cvt_f32_f16_e32 v225, v33
	ds_read_u16 v75, v106 offset:8896
	ds_read_u16 v77, v107 offset:9168
	ds_read_u16 v144, v136 offset:544
	ds_read_u16 v145, v108 offset:8896
	v_mfma_f32_16x16x16f16 v[222:225], v[28:29], v[22:23], v[222:225]
	s_nop 7
	s_nop 2
	v_cvt_f16_f32_e32 v28, v222
	v_cvt_f16_f32_e32 v29, v223
	v_cvt_f16_f32_e32 v32, v224
	v_cvt_f16_f32_e32 v33, v225
	v_cvt_f32_f16_e32 v222, v28
	v_cvt_f32_f16_e32 v223, v29
	s_waitcnt lgkmcnt(0)
	v_perm_b32 v29, v145, v144, s44
	v_perm_b32 v28, v77, v75, s44
	v_cvt_f32_f16_e32 v224, v32
	v_cvt_f32_f16_e32 v225, v33
	;; [unrolled: 18-line block ×3, first 2 shown]
	s_nop 1
	v_mfma_f32_16x16x16f16 v[222:225], v[28:29], v[18:19], v[222:225]
	s_nop 7
	s_nop 2
	v_cvt_f16_f32_e32 v28, v222
	v_cvt_f16_f32_e32 v29, v223
	;; [unrolled: 1-line block ×4, first 2 shown]
	v_cvt_f32_f16_e32 v224, v27
	v_pack_b32_f16 v222, v28, v29
	v_cvt_f32_f16_sdwa v225, v27 dst_sel:DWORD dst_unused:UNUSED_PAD src0_sel:WORD_1
	v_pack_b32_f16 v221, v32, v33
	ds_read_u16 v28, v106 offset:224
	ds_read_u16 v29, v107 offset:496
	;; [unrolled: 1-line block ×4, first 2 shown]
	s_waitcnt lgkmcnt(2)
	v_perm_b32 v26, v29, v28, s44
	s_waitcnt lgkmcnt(0)
	v_perm_b32 v27, v33, v32, s44
	ds_read_u16 v28, v106 offset:4576
	ds_read_u16 v32, v107 offset:4848
	;; [unrolled: 1-line block ×4, first 2 shown]
	v_mfma_f32_16x16x16f16 v[24:27], v[26:27], v[24:25], v[224:227]
	s_waitcnt lgkmcnt(0)
	v_perm_b32 v29, v33, v29, s44
	v_perm_b32 v28, v32, v28, s44
	s_nop 7
	v_cvt_f16_f32_e32 v24, v24
	v_cvt_f16_f32_e32 v25, v25
	;; [unrolled: 1-line block ×4, first 2 shown]
	v_cvt_f32_f16_e32 v24, v24
	v_cvt_f32_f16_e32 v25, v25
	;; [unrolled: 1-line block ×4, first 2 shown]
	s_nop 1
	v_mfma_f32_16x16x16f16 v[22:25], v[28:29], v[22:23], v[24:27]
	s_nop 6
	ds_read_u16 v26, v106 offset:8928
	ds_read_u16 v28, v107 offset:9200
	;; [unrolled: 1-line block ×4, first 2 shown]
	s_waitcnt lgkmcnt(2)
	v_perm_b32 v26, v28, v26, s44
	s_waitcnt lgkmcnt(0)
	v_perm_b32 v27, v29, v27, s44
	v_cvt_f16_f32_e32 v22, v22
	v_cvt_f16_f32_e32 v23, v23
	;; [unrolled: 1-line block ×4, first 2 shown]
	v_cvt_f32_f16_e32 v22, v22
	v_cvt_f32_f16_e32 v23, v23
	;; [unrolled: 1-line block ×4, first 2 shown]
	s_nop 1
	v_mfma_f32_16x16x16f16 v[22:25], v[26:27], v[20:21], v[22:25]
	s_nop 7
	s_nop 2
	v_cvt_f16_f32_e32 v21, v22
	v_cvt_f16_f32_e32 v22, v23
	v_cvt_f16_f32_e32 v23, v24
	v_cvt_f16_f32_e32 v24, v25
	ds_read_u16 v20, v106 offset:13280
	ds_read_u16 v25, v107 offset:13552
	;; [unrolled: 1-line block ×4, first 2 shown]
	v_cvt_f32_f16_e32 v224, v21
	v_cvt_f32_f16_e32 v225, v22
	s_waitcnt lgkmcnt(2)
	v_perm_b32 v20, v25, v20, s44
	v_cvt_f32_f16_e32 v226, v23
	s_waitcnt lgkmcnt(0)
	v_perm_b32 v21, v27, v26, s44
	v_cvt_f32_f16_e32 v227, v24
	s_barrier
	s_nop 0
	v_mfma_f32_16x16x16f16 v[18:21], v[20:21], v[18:19], v[224:227]
	s_nop 7
	s_nop 2
	v_cvt_f16_f32_e32 v18, v18
	v_cvt_f16_f32_e32 v19, v19
	;; [unrolled: 1-line block ×4, first 2 shown]
	v_pack_b32_f16 v223, v18, v19
	v_pack_b32_f16 v224, v20, v21
	s_cbranch_scc0 .LBB25_155
; %bb.154:                              ;   in Loop: Header=BB25_89 Depth=2
	v_mov_b32_e32 v225, v31
	v_mov_b32_e32 v226, v30
	s_branch .LBB25_89
.LBB25_155:                             ;   in Loop: Header=BB25_15 Depth=1
	s_lshl_b32 s2, s6, 6
	s_ashr_i32 s3, s2, 31
	s_lshl_b64 s[4:5], s[2:3], 1
	v_add_co_u32_e32 v18, vcc, s4, v206
	v_mov_b32_e32 v19, s5
	v_addc_co_u32_e32 v19, vcc, v205, v19, vcc
	v_lshlrev_b32_e32 v20, 1, v56
	v_add_co_u32_e32 v20, vcc, v18, v20
	v_addc_co_u32_e32 v21, vcc, 0, v19, vcc
	v_lshlrev_b64 v[18:19], 1, v[66:67]
	v_add_co_u32_e32 v18, vcc, v20, v18
	v_addc_co_u32_e32 v19, vcc, v21, v19, vcc
	global_load_dword v18, v[18:19], off
	v_add_u32_e32 v22, v175, v173
	s_mul_hi_i32 s5, s38, s2
	s_mul_i32 s4, s38, s2
	s_lshl_b64 s[4:5], s[4:5], 2
	s_add_u32 s3, s87, s4
	s_addc_u32 s4, s40, s5
	v_add_u32_e32 v32, 0x1000, v101
	s_waitcnt vmcnt(0)
	ds_write_b32 v22, v18 offset:17408
	v_lshlrev_b64 v[18:19], 1, v[68:69]
	v_add_co_u32_e32 v18, vcc, v20, v18
	v_addc_co_u32_e32 v19, vcc, v21, v19, vcc
	global_load_dword v18, v[18:19], off
	v_mov_b32_e32 v19, s4
	s_waitcnt vmcnt(0)
	ds_write_b32 v22, v18 offset:18560
	v_add_co_u32_e32 v18, vcc, s3, v48
	v_addc_co_u32_e32 v19, vcc, v19, v49, vcc
	v_add_co_u32_e32 v18, vcc, v18, v116
	v_addc_co_u32_e32 v19, vcc, 0, v19, vcc
	global_load_dwordx4 v[18:21], v[18:19], off
	s_waitcnt vmcnt(0)
	ds_write_b128 v103, v[18:21]
	v_add_co_u32_e32 v18, vcc, s3, v50
	v_mov_b32_e32 v19, s4
	v_addc_co_u32_e32 v19, vcc, v19, v51, vcc
	v_add_co_u32_e32 v18, vcc, v18, v116
	v_addc_co_u32_e32 v19, vcc, 0, v19, vcc
	global_load_dwordx4 v[18:21], v[18:19], off
	s_waitcnt vmcnt(0)
	ds_write_b128 v176, v[18:21]
	v_add_co_u32_e32 v18, vcc, s3, v52
	v_mov_b32_e32 v19, s4
	v_addc_co_u32_e32 v19, vcc, v19, v53, vcc
	v_add_co_u32_e32 v18, vcc, v18, v116
	v_addc_co_u32_e32 v19, vcc, 0, v19, vcc
	global_load_dwordx4 v[18:21], v[18:19], off
	s_waitcnt vmcnt(0)
	ds_write_b128 v177, v[18:21]
	v_add_co_u32_e32 v18, vcc, s3, v54
	v_mov_b32_e32 v19, s4
	v_addc_co_u32_e32 v19, vcc, v19, v55, vcc
	v_add_co_u32_e32 v18, vcc, v18, v116
	v_addc_co_u32_e32 v19, vcc, 0, v19, vcc
	global_load_dwordx4 v[18:21], v[18:19], off
	s_waitcnt vmcnt(0)
	ds_write_b128 v178, v[18:21]
	s_waitcnt lgkmcnt(0)
	s_barrier
	ds_read2_b64 v[18:21], v101 offset1:4
	s_waitcnt lgkmcnt(0)
	v_mfma_f32_16x16x16f16 v[22:25], v[18:19], v[14:15], 0
	v_mfma_f32_16x16x16f16 v[18:21], v[20:21], v[16:17], v[22:25]
	s_nop 7
	s_nop 1
	ds_read2_b64 v[22:25], v101 offset0:8 offset1:12
	s_waitcnt lgkmcnt(0)
	v_mfma_f32_16x16x16f16 v[18:21], v[22:23], v[10:11], v[18:21]
	v_mfma_f32_16x16x16f16 v[18:21], v[24:25], v[12:13], v[18:21]
	ds_read2_b64 v[22:25], v101 offset0:16 offset1:20
	s_waitcnt lgkmcnt(0)
	v_mfma_f32_16x16x16f16 v[18:21], v[22:23], v[6:7], v[18:21]
	v_mfma_f32_16x16x16f16 v[18:21], v[24:25], v[8:9], v[18:21]
	;; [unrolled: 4-line block ×3, first 2 shown]
	ds_read2_b64 v[22:25], v32 offset0:32 offset1:36
	s_waitcnt lgkmcnt(0)
	v_mfma_f32_16x16x16f16 v[26:29], v[22:23], v[14:15], 0
	s_nop 7
	v_cmp_nlt_f32_e64 s[4:5], |v18|, s43
	v_mfma_f32_16x16x16f16 v[22:25], v[24:25], v[16:17], v[26:29]
	s_nop 6
	ds_read2_b64 v[26:29], v32 offset0:40 offset1:44
	s_waitcnt lgkmcnt(0)
	v_mfma_f32_16x16x16f16 v[22:25], v[26:27], v[10:11], v[22:25]
	v_mfma_f32_16x16x16f16 v[22:25], v[28:29], v[12:13], v[22:25]
	ds_read2_b64 v[26:29], v32 offset0:48 offset1:52
	s_waitcnt lgkmcnt(0)
	v_mfma_f32_16x16x16f16 v[22:25], v[26:27], v[6:7], v[22:25]
	v_mfma_f32_16x16x16f16 v[22:25], v[28:29], v[8:9], v[22:25]
	ds_read2_b64 v[26:29], v32 offset0:56 offset1:60
	v_add_u32_e32 v32, 0x2000, v101
	s_waitcnt lgkmcnt(0)
	v_mfma_f32_16x16x16f16 v[22:25], v[26:27], v[2:3], v[22:25]
	v_mfma_f32_16x16x16f16 v[22:25], v[28:29], v[4:5], v[22:25]
	ds_read2_b64 v[26:29], v32 offset0:64 offset1:68
	s_waitcnt lgkmcnt(0)
	v_mfma_f32_16x16x16f16 v[66:69], v[26:27], v[14:15], 0
	v_mfma_f32_16x16x16f16 v[26:29], v[28:29], v[16:17], v[66:69]
	s_nop 7
	s_nop 1
	ds_read2_b64 v[66:69], v32 offset0:72 offset1:76
	s_waitcnt lgkmcnt(0)
	v_mfma_f32_16x16x16f16 v[26:29], v[66:67], v[10:11], v[26:29]
	v_mfma_f32_16x16x16f16 v[26:29], v[68:69], v[12:13], v[26:29]
	ds_read2_b64 v[66:69], v32 offset0:80 offset1:84
	s_waitcnt lgkmcnt(0)
	v_mfma_f32_16x16x16f16 v[26:29], v[66:67], v[6:7], v[26:29]
	v_mfma_f32_16x16x16f16 v[26:29], v[68:69], v[8:9], v[26:29]
	ds_read2_b64 v[66:69], v32 offset0:88 offset1:92
	v_add_u32_e32 v32, 0x3000, v101
	s_waitcnt lgkmcnt(0)
	v_mfma_f32_16x16x16f16 v[26:29], v[66:67], v[2:3], v[26:29]
	v_mfma_f32_16x16x16f16 v[26:29], v[68:69], v[4:5], v[26:29]
	ds_read2_b64 v[66:69], v32 offset0:96 offset1:100
	s_waitcnt lgkmcnt(0)
	v_mfma_f32_16x16x16f16 v[226:229], v[66:67], v[14:15], 0
	v_mfma_f32_16x16x16f16 v[14:17], v[68:69], v[16:17], v[226:229]
	ds_read2_b64 v[66:69], v32 offset0:104 offset1:108
	s_waitcnt lgkmcnt(0)
	v_mfma_f32_16x16x16f16 v[14:17], v[66:67], v[10:11], v[14:17]
	v_mfma_f32_16x16x16f16 v[10:13], v[68:69], v[12:13], v[14:17]
	s_nop 7
	s_nop 1
	ds_read2_b64 v[14:17], v32 offset0:112 offset1:116
	s_waitcnt lgkmcnt(0)
	v_mfma_f32_16x16x16f16 v[10:13], v[14:15], v[6:7], v[10:13]
	v_mfma_f32_16x16x16f16 v[6:9], v[16:17], v[8:9], v[10:13]
	s_nop 7
	s_nop 1
	ds_read2_b64 v[10:13], v32 offset0:120 offset1:124
	s_waitcnt lgkmcnt(0)
	v_mfma_f32_16x16x16f16 v[6:9], v[10:11], v[2:3], v[6:9]
	s_barrier
	v_mfma_f32_16x16x16f16 v[2:5], v[12:13], v[4:5], v[6:9]
                                        ; implicit-def: $vgpr6
	s_and_saveexec_b64 s[6:7], s[4:5]
	s_xor_b64 s[4:5], exec, s[6:7]
	s_cbranch_execz .LBB25_157
; %bb.156:                              ;   in Loop: Header=BB25_15 Depth=1
	s_nop 5
	v_add_f32_e64 v6, |v18|, |v18|
	v_mul_f32_e32 v7, 0x3fb8aa3b, v6
	v_rndne_f32_e32 v8, v7
	v_sub_f32_e32 v9, v7, v8
	v_fma_f32 v7, v6, s50, -v7
	v_fmac_f32_e32 v7, 0x32a5705f, v6
	v_add_f32_e32 v7, v9, v7
	v_cvt_i32_f32_e32 v8, v8
	v_exp_f32_e32 v7, v7
	v_cmp_ngt_f32_e32 vcc, s51, v6
	v_ldexp_f32 v7, v7, v8
	v_cndmask_b32_e32 v7, 0, v7, vcc
	v_cmp_nlt_f32_e32 vcc, s30, v6
	v_cndmask_b32_e32 v6, v203, v7, vcc
	v_add_f32_e32 v6, 1.0, v6
	v_rcp_f32_e32 v6, v6
	v_fma_f32 v6, v6, -2.0, 1.0
.LBB25_157:                             ;   in Loop: Header=BB25_15 Depth=1
	s_andn2_saveexec_b64 s[4:5], s[4:5]
; %bb.158:                              ;   in Loop: Header=BB25_15 Depth=1
	s_nop 4
	v_mul_f32_e32 v6, v18, v18
	v_mov_b32_e32 v7, 0x3ca908c9
	v_fmac_f32_e32 v7, 0xbbbac73d, v6
	v_fma_f32 v7, v6, v7, v200
	v_fma_f32 v7, v6, v7, v201
	;; [unrolled: 1-line block ×3, first 2 shown]
	v_mul_f32_e64 v7, |v18|, v7
	v_fma_f32 v6, v6, v7, |v18|
; %bb.159:                              ;   in Loop: Header=BB25_15 Depth=1
	s_or_b64 exec, exec, s[4:5]
	v_cmp_nlt_f32_e64 s[4:5], |v19|, s43
                                        ; implicit-def: $vgpr7
	s_and_saveexec_b64 s[6:7], s[4:5]
	s_xor_b64 s[4:5], exec, s[6:7]
	s_cbranch_execz .LBB25_161
; %bb.160:                              ;   in Loop: Header=BB25_15 Depth=1
	v_add_f32_e64 v7, |v19|, |v19|
	v_mul_f32_e32 v8, 0x3fb8aa3b, v7
	v_rndne_f32_e32 v9, v8
	v_sub_f32_e32 v10, v8, v9
	v_fma_f32 v8, v7, s50, -v8
	v_fmac_f32_e32 v8, 0x32a5705f, v7
	v_add_f32_e32 v8, v10, v8
	v_cvt_i32_f32_e32 v9, v9
	v_exp_f32_e32 v8, v8
	v_cmp_ngt_f32_e32 vcc, s51, v7
	v_ldexp_f32 v8, v8, v9
	v_cndmask_b32_e32 v8, 0, v8, vcc
	v_cmp_nlt_f32_e32 vcc, s30, v7
	v_cndmask_b32_e32 v7, v203, v8, vcc
	v_add_f32_e32 v7, 1.0, v7
	v_rcp_f32_e32 v7, v7
	v_fma_f32 v7, v7, -2.0, 1.0
.LBB25_161:                             ;   in Loop: Header=BB25_15 Depth=1
	s_andn2_saveexec_b64 s[4:5], s[4:5]
; %bb.162:                              ;   in Loop: Header=BB25_15 Depth=1
	v_mul_f32_e32 v7, v19, v19
	v_mov_b32_e32 v8, 0x3ca908c9
	v_fmac_f32_e32 v8, 0xbbbac73d, v7
	v_fma_f32 v8, v7, v8, v200
	v_fma_f32 v8, v7, v8, v201
	;; [unrolled: 1-line block ×3, first 2 shown]
	v_mul_f32_e64 v8, |v19|, v8
	v_fma_f32 v7, v7, v8, |v19|
; %bb.163:                              ;   in Loop: Header=BB25_15 Depth=1
	s_or_b64 exec, exec, s[4:5]
	v_cmp_nlt_f32_e64 s[4:5], |v20|, s43
                                        ; implicit-def: $vgpr8
	s_and_saveexec_b64 s[6:7], s[4:5]
	s_xor_b64 s[4:5], exec, s[6:7]
	s_cbranch_execz .LBB25_165
; %bb.164:                              ;   in Loop: Header=BB25_15 Depth=1
	v_add_f32_e64 v8, |v20|, |v20|
	v_mul_f32_e32 v9, 0x3fb8aa3b, v8
	v_rndne_f32_e32 v10, v9
	v_sub_f32_e32 v11, v9, v10
	v_fma_f32 v9, v8, s50, -v9
	v_fmac_f32_e32 v9, 0x32a5705f, v8
	v_add_f32_e32 v9, v11, v9
	v_cvt_i32_f32_e32 v10, v10
	v_exp_f32_e32 v9, v9
	v_cmp_ngt_f32_e32 vcc, s51, v8
	v_ldexp_f32 v9, v9, v10
	v_cndmask_b32_e32 v9, 0, v9, vcc
	v_cmp_nlt_f32_e32 vcc, s30, v8
	v_cndmask_b32_e32 v8, v203, v9, vcc
	v_add_f32_e32 v8, 1.0, v8
	v_rcp_f32_e32 v8, v8
	v_fma_f32 v8, v8, -2.0, 1.0
.LBB25_165:                             ;   in Loop: Header=BB25_15 Depth=1
	s_andn2_saveexec_b64 s[4:5], s[4:5]
; %bb.166:                              ;   in Loop: Header=BB25_15 Depth=1
	v_mul_f32_e32 v8, v20, v20
	v_mov_b32_e32 v9, 0x3ca908c9
	v_fmac_f32_e32 v9, 0xbbbac73d, v8
	v_fma_f32 v9, v8, v9, v200
	v_fma_f32 v9, v8, v9, v201
	;; [unrolled: 1-line block ×3, first 2 shown]
	v_mul_f32_e64 v9, |v20|, v9
	v_fma_f32 v8, v8, v9, |v20|
; %bb.167:                              ;   in Loop: Header=BB25_15 Depth=1
	s_or_b64 exec, exec, s[4:5]
	v_cmp_nlt_f32_e64 s[4:5], |v21|, s43
                                        ; implicit-def: $vgpr9
	s_and_saveexec_b64 s[6:7], s[4:5]
	s_xor_b64 s[4:5], exec, s[6:7]
	s_cbranch_execz .LBB25_169
; %bb.168:                              ;   in Loop: Header=BB25_15 Depth=1
	v_add_f32_e64 v9, |v21|, |v21|
	v_mul_f32_e32 v10, 0x3fb8aa3b, v9
	v_rndne_f32_e32 v11, v10
	v_sub_f32_e32 v12, v10, v11
	v_fma_f32 v10, v9, s50, -v10
	v_fmac_f32_e32 v10, 0x32a5705f, v9
	v_add_f32_e32 v10, v12, v10
	v_cvt_i32_f32_e32 v11, v11
	v_exp_f32_e32 v10, v10
	v_cmp_ngt_f32_e32 vcc, s51, v9
	v_ldexp_f32 v10, v10, v11
	v_cndmask_b32_e32 v10, 0, v10, vcc
	v_cmp_nlt_f32_e32 vcc, s30, v9
	v_cndmask_b32_e32 v9, v203, v10, vcc
	v_add_f32_e32 v9, 1.0, v9
	v_rcp_f32_e32 v9, v9
	v_fma_f32 v9, v9, -2.0, 1.0
.LBB25_169:                             ;   in Loop: Header=BB25_15 Depth=1
	s_andn2_saveexec_b64 s[4:5], s[4:5]
; %bb.170:                              ;   in Loop: Header=BB25_15 Depth=1
	v_mul_f32_e32 v9, v21, v21
	v_mov_b32_e32 v10, 0x3ca908c9
	v_fmac_f32_e32 v10, 0xbbbac73d, v9
	v_fma_f32 v10, v9, v10, v200
	v_fma_f32 v10, v9, v10, v201
	;; [unrolled: 1-line block ×3, first 2 shown]
	v_mul_f32_e64 v10, |v21|, v10
	v_fma_f32 v9, v9, v10, |v21|
; %bb.171:                              ;   in Loop: Header=BB25_15 Depth=1
	s_or_b64 exec, exec, s[4:5]
	v_cmp_nlt_f32_e64 s[4:5], |v22|, s43
                                        ; implicit-def: $vgpr10
	s_and_saveexec_b64 s[6:7], s[4:5]
	s_xor_b64 s[4:5], exec, s[6:7]
	s_cbranch_execz .LBB25_173
; %bb.172:                              ;   in Loop: Header=BB25_15 Depth=1
	v_add_f32_e64 v10, |v22|, |v22|
	v_mul_f32_e32 v11, 0x3fb8aa3b, v10
	v_rndne_f32_e32 v12, v11
	v_sub_f32_e32 v13, v11, v12
	v_fma_f32 v11, v10, s50, -v11
	v_fmac_f32_e32 v11, 0x32a5705f, v10
	v_add_f32_e32 v11, v13, v11
	v_cvt_i32_f32_e32 v12, v12
	v_exp_f32_e32 v11, v11
	v_cmp_ngt_f32_e32 vcc, s51, v10
	v_ldexp_f32 v11, v11, v12
	v_cndmask_b32_e32 v11, 0, v11, vcc
	v_cmp_nlt_f32_e32 vcc, s30, v10
	v_cndmask_b32_e32 v10, v203, v11, vcc
	v_add_f32_e32 v10, 1.0, v10
	v_rcp_f32_e32 v10, v10
	v_fma_f32 v10, v10, -2.0, 1.0
.LBB25_173:                             ;   in Loop: Header=BB25_15 Depth=1
	s_andn2_saveexec_b64 s[4:5], s[4:5]
; %bb.174:                              ;   in Loop: Header=BB25_15 Depth=1
	v_mul_f32_e32 v10, v22, v22
	v_mov_b32_e32 v11, 0x3ca908c9
	v_fmac_f32_e32 v11, 0xbbbac73d, v10
	v_fma_f32 v11, v10, v11, v200
	v_fma_f32 v11, v10, v11, v201
	;; [unrolled: 1-line block ×3, first 2 shown]
	v_mul_f32_e64 v11, |v22|, v11
	v_fma_f32 v10, v10, v11, |v22|
; %bb.175:                              ;   in Loop: Header=BB25_15 Depth=1
	s_or_b64 exec, exec, s[4:5]
	v_cmp_nlt_f32_e64 s[4:5], |v23|, s43
                                        ; implicit-def: $vgpr11
	s_and_saveexec_b64 s[6:7], s[4:5]
	s_xor_b64 s[4:5], exec, s[6:7]
	s_cbranch_execz .LBB25_177
; %bb.176:                              ;   in Loop: Header=BB25_15 Depth=1
	v_add_f32_e64 v11, |v23|, |v23|
	v_mul_f32_e32 v12, 0x3fb8aa3b, v11
	v_rndne_f32_e32 v13, v12
	v_sub_f32_e32 v14, v12, v13
	v_fma_f32 v12, v11, s50, -v12
	v_fmac_f32_e32 v12, 0x32a5705f, v11
	v_add_f32_e32 v12, v14, v12
	v_cvt_i32_f32_e32 v13, v13
	v_exp_f32_e32 v12, v12
	v_cmp_ngt_f32_e32 vcc, s51, v11
	v_ldexp_f32 v12, v12, v13
	v_cndmask_b32_e32 v12, 0, v12, vcc
	v_cmp_nlt_f32_e32 vcc, s30, v11
	v_cndmask_b32_e32 v11, v203, v12, vcc
	v_add_f32_e32 v11, 1.0, v11
	v_rcp_f32_e32 v11, v11
	v_fma_f32 v11, v11, -2.0, 1.0
.LBB25_177:                             ;   in Loop: Header=BB25_15 Depth=1
	s_andn2_saveexec_b64 s[4:5], s[4:5]
; %bb.178:                              ;   in Loop: Header=BB25_15 Depth=1
	v_mul_f32_e32 v11, v23, v23
	v_mov_b32_e32 v12, 0x3ca908c9
	v_fmac_f32_e32 v12, 0xbbbac73d, v11
	v_fma_f32 v12, v11, v12, v200
	v_fma_f32 v12, v11, v12, v201
	;; [unrolled: 1-line block ×3, first 2 shown]
	v_mul_f32_e64 v12, |v23|, v12
	v_fma_f32 v11, v11, v12, |v23|
; %bb.179:                              ;   in Loop: Header=BB25_15 Depth=1
	s_or_b64 exec, exec, s[4:5]
	v_cmp_nlt_f32_e64 s[4:5], |v24|, s43
                                        ; implicit-def: $vgpr12
	s_and_saveexec_b64 s[6:7], s[4:5]
	s_xor_b64 s[4:5], exec, s[6:7]
	s_cbranch_execz .LBB25_181
; %bb.180:                              ;   in Loop: Header=BB25_15 Depth=1
	v_add_f32_e64 v12, |v24|, |v24|
	v_mul_f32_e32 v13, 0x3fb8aa3b, v12
	v_rndne_f32_e32 v14, v13
	v_sub_f32_e32 v15, v13, v14
	v_fma_f32 v13, v12, s50, -v13
	v_fmac_f32_e32 v13, 0x32a5705f, v12
	v_add_f32_e32 v13, v15, v13
	v_cvt_i32_f32_e32 v14, v14
	v_exp_f32_e32 v13, v13
	v_cmp_ngt_f32_e32 vcc, s51, v12
	v_ldexp_f32 v13, v13, v14
	v_cndmask_b32_e32 v13, 0, v13, vcc
	v_cmp_nlt_f32_e32 vcc, s30, v12
	v_cndmask_b32_e32 v12, v203, v13, vcc
	v_add_f32_e32 v12, 1.0, v12
	v_rcp_f32_e32 v12, v12
	v_fma_f32 v12, v12, -2.0, 1.0
.LBB25_181:                             ;   in Loop: Header=BB25_15 Depth=1
	s_andn2_saveexec_b64 s[4:5], s[4:5]
; %bb.182:                              ;   in Loop: Header=BB25_15 Depth=1
	v_mul_f32_e32 v12, v24, v24
	v_mov_b32_e32 v13, 0x3ca908c9
	v_fmac_f32_e32 v13, 0xbbbac73d, v12
	v_fma_f32 v13, v12, v13, v200
	v_fma_f32 v13, v12, v13, v201
	v_fma_f32 v13, v12, v13, v202
	v_mul_f32_e64 v13, |v24|, v13
	v_fma_f32 v12, v12, v13, |v24|
; %bb.183:                              ;   in Loop: Header=BB25_15 Depth=1
	s_or_b64 exec, exec, s[4:5]
	v_cmp_nlt_f32_e64 s[4:5], |v25|, s43
                                        ; implicit-def: $vgpr13
	s_and_saveexec_b64 s[6:7], s[4:5]
	s_xor_b64 s[4:5], exec, s[6:7]
	s_cbranch_execz .LBB25_185
; %bb.184:                              ;   in Loop: Header=BB25_15 Depth=1
	v_add_f32_e64 v13, |v25|, |v25|
	v_mul_f32_e32 v14, 0x3fb8aa3b, v13
	v_rndne_f32_e32 v15, v14
	v_sub_f32_e32 v16, v14, v15
	v_fma_f32 v14, v13, s50, -v14
	v_fmac_f32_e32 v14, 0x32a5705f, v13
	v_add_f32_e32 v14, v16, v14
	v_cvt_i32_f32_e32 v15, v15
	v_exp_f32_e32 v14, v14
	v_cmp_ngt_f32_e32 vcc, s51, v13
	v_ldexp_f32 v14, v14, v15
	v_cndmask_b32_e32 v14, 0, v14, vcc
	v_cmp_nlt_f32_e32 vcc, s30, v13
	v_cndmask_b32_e32 v13, v203, v14, vcc
	v_add_f32_e32 v13, 1.0, v13
	v_rcp_f32_e32 v13, v13
	v_fma_f32 v13, v13, -2.0, 1.0
.LBB25_185:                             ;   in Loop: Header=BB25_15 Depth=1
	s_andn2_saveexec_b64 s[4:5], s[4:5]
; %bb.186:                              ;   in Loop: Header=BB25_15 Depth=1
	v_mul_f32_e32 v13, v25, v25
	v_mov_b32_e32 v14, 0x3ca908c9
	v_fmac_f32_e32 v14, 0xbbbac73d, v13
	v_fma_f32 v14, v13, v14, v200
	v_fma_f32 v14, v13, v14, v201
	;; [unrolled: 1-line block ×3, first 2 shown]
	v_mul_f32_e64 v14, |v25|, v14
	v_fma_f32 v13, v13, v14, |v25|
; %bb.187:                              ;   in Loop: Header=BB25_15 Depth=1
	s_or_b64 exec, exec, s[4:5]
	v_cmp_nlt_f32_e64 s[4:5], |v26|, s43
                                        ; implicit-def: $vgpr14
	s_and_saveexec_b64 s[6:7], s[4:5]
	s_xor_b64 s[4:5], exec, s[6:7]
	s_cbranch_execz .LBB25_189
; %bb.188:                              ;   in Loop: Header=BB25_15 Depth=1
	v_add_f32_e64 v14, |v26|, |v26|
	v_mul_f32_e32 v15, 0x3fb8aa3b, v14
	v_rndne_f32_e32 v16, v15
	v_sub_f32_e32 v17, v15, v16
	v_fma_f32 v15, v14, s50, -v15
	v_fmac_f32_e32 v15, 0x32a5705f, v14
	v_add_f32_e32 v15, v17, v15
	v_cvt_i32_f32_e32 v16, v16
	v_exp_f32_e32 v15, v15
	v_cmp_ngt_f32_e32 vcc, s51, v14
	v_ldexp_f32 v15, v15, v16
	v_cndmask_b32_e32 v15, 0, v15, vcc
	v_cmp_nlt_f32_e32 vcc, s30, v14
	v_cndmask_b32_e32 v14, v203, v15, vcc
	v_add_f32_e32 v14, 1.0, v14
	v_rcp_f32_e32 v14, v14
	v_fma_f32 v14, v14, -2.0, 1.0
.LBB25_189:                             ;   in Loop: Header=BB25_15 Depth=1
	s_andn2_saveexec_b64 s[4:5], s[4:5]
; %bb.190:                              ;   in Loop: Header=BB25_15 Depth=1
	v_mul_f32_e32 v14, v26, v26
	v_mov_b32_e32 v15, 0x3ca908c9
	v_fmac_f32_e32 v15, 0xbbbac73d, v14
	v_fma_f32 v15, v14, v15, v200
	v_fma_f32 v15, v14, v15, v201
	;; [unrolled: 1-line block ×3, first 2 shown]
	v_mul_f32_e64 v15, |v26|, v15
	v_fma_f32 v14, v14, v15, |v26|
; %bb.191:                              ;   in Loop: Header=BB25_15 Depth=1
	s_or_b64 exec, exec, s[4:5]
	v_cmp_nlt_f32_e64 s[4:5], |v27|, s43
                                        ; implicit-def: $vgpr15
	s_and_saveexec_b64 s[6:7], s[4:5]
	s_xor_b64 s[4:5], exec, s[6:7]
	s_cbranch_execz .LBB25_193
; %bb.192:                              ;   in Loop: Header=BB25_15 Depth=1
	v_add_f32_e64 v15, |v27|, |v27|
	v_mul_f32_e32 v16, 0x3fb8aa3b, v15
	v_rndne_f32_e32 v17, v16
	v_sub_f32_e32 v32, v16, v17
	v_fma_f32 v16, v15, s50, -v16
	v_fmac_f32_e32 v16, 0x32a5705f, v15
	v_add_f32_e32 v16, v32, v16
	v_cvt_i32_f32_e32 v17, v17
	v_exp_f32_e32 v16, v16
	v_cmp_ngt_f32_e32 vcc, s51, v15
	v_ldexp_f32 v16, v16, v17
	v_cndmask_b32_e32 v16, 0, v16, vcc
	v_cmp_nlt_f32_e32 vcc, s30, v15
	v_cndmask_b32_e32 v15, v203, v16, vcc
	v_add_f32_e32 v15, 1.0, v15
	v_rcp_f32_e32 v15, v15
	v_fma_f32 v15, v15, -2.0, 1.0
.LBB25_193:                             ;   in Loop: Header=BB25_15 Depth=1
	s_andn2_saveexec_b64 s[4:5], s[4:5]
; %bb.194:                              ;   in Loop: Header=BB25_15 Depth=1
	v_mul_f32_e32 v15, v27, v27
	v_mov_b32_e32 v16, 0x3ca908c9
	v_fmac_f32_e32 v16, 0xbbbac73d, v15
	v_fma_f32 v16, v15, v16, v200
	v_fma_f32 v16, v15, v16, v201
	;; [unrolled: 1-line block ×3, first 2 shown]
	v_mul_f32_e64 v16, |v27|, v16
	v_fma_f32 v15, v15, v16, |v27|
; %bb.195:                              ;   in Loop: Header=BB25_15 Depth=1
	s_or_b64 exec, exec, s[4:5]
	v_cmp_nlt_f32_e64 s[4:5], |v28|, s43
                                        ; implicit-def: $vgpr16
	s_and_saveexec_b64 s[6:7], s[4:5]
	s_xor_b64 s[4:5], exec, s[6:7]
	s_cbranch_execz .LBB25_197
; %bb.196:                              ;   in Loop: Header=BB25_15 Depth=1
	v_add_f32_e64 v16, |v28|, |v28|
	v_mul_f32_e32 v17, 0x3fb8aa3b, v16
	v_rndne_f32_e32 v32, v17
	v_sub_f32_e32 v33, v17, v32
	v_fma_f32 v17, v16, s50, -v17
	v_fmac_f32_e32 v17, 0x32a5705f, v16
	v_add_f32_e32 v17, v33, v17
	v_cvt_i32_f32_e32 v32, v32
	v_exp_f32_e32 v17, v17
	v_cmp_ngt_f32_e32 vcc, s51, v16
	v_ldexp_f32 v17, v17, v32
	v_cndmask_b32_e32 v17, 0, v17, vcc
	v_cmp_nlt_f32_e32 vcc, s30, v16
	v_cndmask_b32_e32 v16, v203, v17, vcc
	v_add_f32_e32 v16, 1.0, v16
	v_rcp_f32_e32 v16, v16
	v_fma_f32 v16, v16, -2.0, 1.0
.LBB25_197:                             ;   in Loop: Header=BB25_15 Depth=1
	s_andn2_saveexec_b64 s[4:5], s[4:5]
; %bb.198:                              ;   in Loop: Header=BB25_15 Depth=1
	v_mul_f32_e32 v16, v28, v28
	v_mov_b32_e32 v17, 0x3ca908c9
	v_fmac_f32_e32 v17, 0xbbbac73d, v16
	v_fma_f32 v17, v16, v17, v200
	v_fma_f32 v17, v16, v17, v201
	;; [unrolled: 1-line block ×3, first 2 shown]
	v_mul_f32_e64 v17, |v28|, v17
	v_fma_f32 v16, v16, v17, |v28|
; %bb.199:                              ;   in Loop: Header=BB25_15 Depth=1
	s_or_b64 exec, exec, s[4:5]
	v_cmp_nlt_f32_e64 s[4:5], |v29|, s43
                                        ; implicit-def: $vgpr17
	s_and_saveexec_b64 s[6:7], s[4:5]
	s_xor_b64 s[4:5], exec, s[6:7]
	s_cbranch_execz .LBB25_201
; %bb.200:                              ;   in Loop: Header=BB25_15 Depth=1
	v_add_f32_e64 v17, |v29|, |v29|
	v_mul_f32_e32 v32, 0x3fb8aa3b, v17
	v_rndne_f32_e32 v33, v32
	v_sub_f32_e32 v66, v32, v33
	v_fma_f32 v32, v17, s50, -v32
	v_fmac_f32_e32 v32, 0x32a5705f, v17
	v_add_f32_e32 v32, v66, v32
	v_cvt_i32_f32_e32 v33, v33
	v_exp_f32_e32 v32, v32
	v_cmp_ngt_f32_e32 vcc, s51, v17
	v_ldexp_f32 v32, v32, v33
	v_cndmask_b32_e32 v32, 0, v32, vcc
	v_cmp_nlt_f32_e32 vcc, s30, v17
	v_cndmask_b32_e32 v17, v203, v32, vcc
	v_add_f32_e32 v17, 1.0, v17
	v_rcp_f32_e32 v17, v17
	v_fma_f32 v17, v17, -2.0, 1.0
.LBB25_201:                             ;   in Loop: Header=BB25_15 Depth=1
	s_andn2_saveexec_b64 s[4:5], s[4:5]
; %bb.202:                              ;   in Loop: Header=BB25_15 Depth=1
	v_mul_f32_e32 v17, v29, v29
	v_mov_b32_e32 v32, 0x3ca908c9
	v_fmac_f32_e32 v32, 0xbbbac73d, v17
	v_fma_f32 v32, v17, v32, v200
	v_fma_f32 v32, v17, v32, v201
	;; [unrolled: 1-line block ×3, first 2 shown]
	v_mul_f32_e64 v32, |v29|, v32
	v_fma_f32 v17, v17, v32, |v29|
; %bb.203:                              ;   in Loop: Header=BB25_15 Depth=1
	s_or_b64 exec, exec, s[4:5]
	v_cmp_nlt_f32_e64 s[4:5], |v2|, s43
                                        ; implicit-def: $vgpr32
	s_and_saveexec_b64 s[6:7], s[4:5]
	s_xor_b64 s[4:5], exec, s[6:7]
	s_cbranch_execz .LBB25_205
; %bb.204:                              ;   in Loop: Header=BB25_15 Depth=1
	v_add_f32_e64 v32, |v2|, |v2|
	v_mul_f32_e32 v33, 0x3fb8aa3b, v32
	v_rndne_f32_e32 v66, v33
	v_sub_f32_e32 v67, v33, v66
	v_fma_f32 v33, v32, s50, -v33
	v_fmac_f32_e32 v33, 0x32a5705f, v32
	v_add_f32_e32 v33, v67, v33
	v_cvt_i32_f32_e32 v66, v66
	v_exp_f32_e32 v33, v33
	v_cmp_ngt_f32_e32 vcc, s51, v32
	v_ldexp_f32 v33, v33, v66
	v_cndmask_b32_e32 v33, 0, v33, vcc
	v_cmp_nlt_f32_e32 vcc, s30, v32
	v_cndmask_b32_e32 v32, v203, v33, vcc
	v_add_f32_e32 v32, 1.0, v32
	v_rcp_f32_e32 v32, v32
	v_fma_f32 v32, v32, -2.0, 1.0
.LBB25_205:                             ;   in Loop: Header=BB25_15 Depth=1
	s_andn2_saveexec_b64 s[4:5], s[4:5]
; %bb.206:                              ;   in Loop: Header=BB25_15 Depth=1
	v_mul_f32_e32 v32, v2, v2
	v_mov_b32_e32 v33, 0x3ca908c9
	v_fmac_f32_e32 v33, 0xbbbac73d, v32
	v_fma_f32 v33, v32, v33, v200
	v_fma_f32 v33, v32, v33, v201
	;; [unrolled: 1-line block ×3, first 2 shown]
	v_mul_f32_e64 v33, |v2|, v33
	v_fma_f32 v32, v32, v33, |v2|
; %bb.207:                              ;   in Loop: Header=BB25_15 Depth=1
	s_or_b64 exec, exec, s[4:5]
	v_cmp_nlt_f32_e64 s[4:5], |v3|, s43
                                        ; implicit-def: $vgpr33
	s_and_saveexec_b64 s[6:7], s[4:5]
	s_xor_b64 s[4:5], exec, s[6:7]
	s_cbranch_execz .LBB25_209
; %bb.208:                              ;   in Loop: Header=BB25_15 Depth=1
	v_add_f32_e64 v33, |v3|, |v3|
	v_mul_f32_e32 v66, 0x3fb8aa3b, v33
	v_rndne_f32_e32 v67, v66
	v_sub_f32_e32 v68, v66, v67
	v_fma_f32 v66, v33, s50, -v66
	v_fmac_f32_e32 v66, 0x32a5705f, v33
	v_add_f32_e32 v66, v68, v66
	v_cvt_i32_f32_e32 v67, v67
	v_exp_f32_e32 v66, v66
	v_cmp_ngt_f32_e32 vcc, s51, v33
	v_ldexp_f32 v66, v66, v67
	v_cndmask_b32_e32 v66, 0, v66, vcc
	v_cmp_nlt_f32_e32 vcc, s30, v33
	v_cndmask_b32_e32 v33, v203, v66, vcc
	v_add_f32_e32 v33, 1.0, v33
	v_rcp_f32_e32 v33, v33
	v_fma_f32 v33, v33, -2.0, 1.0
.LBB25_209:                             ;   in Loop: Header=BB25_15 Depth=1
	s_andn2_saveexec_b64 s[4:5], s[4:5]
; %bb.210:                              ;   in Loop: Header=BB25_15 Depth=1
	v_mul_f32_e32 v33, v3, v3
	v_mov_b32_e32 v66, 0x3ca908c9
	v_fmac_f32_e32 v66, 0xbbbac73d, v33
	v_fma_f32 v66, v33, v66, v200
	v_fma_f32 v66, v33, v66, v201
	;; [unrolled: 1-line block ×3, first 2 shown]
	v_mul_f32_e64 v66, |v3|, v66
	v_fma_f32 v33, v33, v66, |v3|
; %bb.211:                              ;   in Loop: Header=BB25_15 Depth=1
	s_or_b64 exec, exec, s[4:5]
	v_cmp_nlt_f32_e64 s[4:5], |v4|, s43
                                        ; implicit-def: $vgpr66
	s_and_saveexec_b64 s[6:7], s[4:5]
	s_xor_b64 s[4:5], exec, s[6:7]
	s_cbranch_execz .LBB25_213
; %bb.212:                              ;   in Loop: Header=BB25_15 Depth=1
	v_add_f32_e64 v66, |v4|, |v4|
	v_mul_f32_e32 v67, 0x3fb8aa3b, v66
	v_rndne_f32_e32 v68, v67
	v_sub_f32_e32 v69, v67, v68
	v_fma_f32 v67, v66, s50, -v67
	v_fmac_f32_e32 v67, 0x32a5705f, v66
	v_add_f32_e32 v67, v69, v67
	v_cvt_i32_f32_e32 v68, v68
	v_exp_f32_e32 v67, v67
	v_cmp_ngt_f32_e32 vcc, s51, v66
	v_ldexp_f32 v67, v67, v68
	v_cndmask_b32_e32 v67, 0, v67, vcc
	v_cmp_nlt_f32_e32 vcc, s30, v66
	v_cndmask_b32_e32 v66, v203, v67, vcc
	v_add_f32_e32 v66, 1.0, v66
	v_rcp_f32_e32 v66, v66
	v_fma_f32 v66, v66, -2.0, 1.0
.LBB25_213:                             ;   in Loop: Header=BB25_15 Depth=1
	s_andn2_saveexec_b64 s[4:5], s[4:5]
; %bb.214:                              ;   in Loop: Header=BB25_15 Depth=1
	v_mul_f32_e32 v66, v4, v4
	v_mov_b32_e32 v67, 0x3ca908c9
	v_fmac_f32_e32 v67, 0xbbbac73d, v66
	v_fma_f32 v67, v66, v67, v200
	v_fma_f32 v67, v66, v67, v201
	;; [unrolled: 1-line block ×3, first 2 shown]
	v_mul_f32_e64 v67, |v4|, v67
	v_fma_f32 v66, v66, v67, |v4|
; %bb.215:                              ;   in Loop: Header=BB25_15 Depth=1
	s_or_b64 exec, exec, s[4:5]
	v_cmp_nlt_f32_e64 s[4:5], |v5|, s43
                                        ; implicit-def: $vgpr67
	s_and_saveexec_b64 s[6:7], s[4:5]
	s_xor_b64 s[4:5], exec, s[6:7]
	s_cbranch_execz .LBB25_217
; %bb.216:                              ;   in Loop: Header=BB25_15 Depth=1
	v_add_f32_e64 v67, |v5|, |v5|
	v_mul_f32_e32 v68, 0x3fb8aa3b, v67
	v_rndne_f32_e32 v69, v68
	v_sub_f32_e32 v75, v68, v69
	v_fma_f32 v68, v67, s50, -v68
	v_fmac_f32_e32 v68, 0x32a5705f, v67
	v_add_f32_e32 v68, v75, v68
	v_cvt_i32_f32_e32 v69, v69
	v_exp_f32_e32 v68, v68
	v_cmp_ngt_f32_e32 vcc, s51, v67
	v_ldexp_f32 v68, v68, v69
	v_cndmask_b32_e32 v68, 0, v68, vcc
	v_cmp_nlt_f32_e32 vcc, s30, v67
	v_cndmask_b32_e32 v67, v203, v68, vcc
	v_add_f32_e32 v67, 1.0, v67
	v_rcp_f32_e32 v67, v67
	v_fma_f32 v67, v67, -2.0, 1.0
.LBB25_217:                             ;   in Loop: Header=BB25_15 Depth=1
	s_andn2_saveexec_b64 s[4:5], s[4:5]
; %bb.218:                              ;   in Loop: Header=BB25_15 Depth=1
	v_mul_f32_e32 v67, v5, v5
	v_mov_b32_e32 v68, 0x3ca908c9
	v_fmac_f32_e32 v68, 0xbbbac73d, v67
	v_fma_f32 v68, v67, v68, v200
	v_fma_f32 v68, v67, v68, v201
	;; [unrolled: 1-line block ×3, first 2 shown]
	v_mul_f32_e64 v68, |v5|, v68
	v_fma_f32 v67, v67, v68, |v5|
; %bb.219:                              ;   in Loop: Header=BB25_15 Depth=1
	s_or_b64 exec, exec, s[4:5]
	v_bfi_b32 v33, s0, v33, v3
	v_add_u32_e32 v3, 0x4400, v179
	v_bfi_b32 v32, s0, v32, v2
	v_bfi_b32 v15, s0, v15, v27
	;; [unrolled: 1-line block ×4, first 2 shown]
	ds_read_b32 v2, v104 offset:17408
	ds_read_b32 v27, v105 offset:17408
	ds_read2_b32 v[24:25], v3 offset1:1
	v_add_u32_e32 v3, 0x4400, v180
	v_bfi_b32 v23, s0, v11, v23
	v_bfi_b32 v22, s0, v10, v22
	ds_read2_b32 v[10:11], v3 offset1:1
	v_add_u32_e32 v3, 0x4400, v181
	v_bfi_b32 v19, s0, v7, v19
	v_bfi_b32 v18, s0, v6, v18
	ds_read2_b32 v[6:7], v3 offset1:1
	v_and_b32_e32 v3, 64, v170
	v_bfi_b32 v20, s0, v8, v20
	v_add_u32_e32 v3, 64, v3
	v_xor_b32_e32 v8, 32, v170
	v_cmp_lt_i32_e32 vcc, v8, v3
	v_cndmask_b32_e32 v8, v170, v8, vcc
	v_bfi_b32 v14, s0, v14, v26
	v_lshlrev_b32_e32 v26, 2, v8
	v_xor_b32_e32 v8, 16, v170
	v_cmp_lt_i32_e32 vcc, v8, v3
	v_bfi_b32 v21, s0, v9, v21
	v_cndmask_b32_e32 v3, v170, v8, vcc
	s_waitcnt lgkmcnt(0)
	v_cvt_f32_f16_e32 v8, v7
	v_cvt_f32_f16_sdwa v9, v7 dst_sel:DWORD dst_unused:UNUSED_PAD src0_sel:WORD_1
	v_bfi_b32 v5, s0, v67, v5
	v_bfi_b32 v4, s0, v66, v4
	;; [unrolled: 1-line block ×3, first 2 shown]
	v_pk_fma_f32 v[4:5], v[4:5], s[36:37], v[8:9]
	v_cvt_f32_f16_e32 v8, v6
	v_cvt_f32_f16_sdwa v9, v6 dst_sel:DWORD dst_unused:UNUSED_PAD src0_sel:WORD_1
	v_bfi_b32 v16, s0, v16, v28
	v_add_f32_e32 v28, 0x40051340, v4
	v_add_f32_e32 v29, 0x40051340, v5
	v_pk_fma_f32 v[6:7], v[32:33], s[36:37], v[8:9]
	v_cvt_f32_f16_e32 v8, v11
	v_cvt_f32_f16_sdwa v9, v11 dst_sel:DWORD dst_unused:UNUSED_PAD src0_sel:WORD_1
	v_add_f32_e32 v32, 0x40051340, v6
	v_add_f32_e32 v33, 0x40051340, v7
	v_lshlrev_b32_e32 v3, 2, v3
	v_pk_fma_f32 v[8:9], v[16:17], s[36:37], v[8:9]
	v_cvt_f32_f16_e32 v16, v10
	v_cvt_f32_f16_sdwa v17, v10 dst_sel:DWORD dst_unused:UNUSED_PAD src0_sel:WORD_1
	v_add_f32_e32 v66, 0x40051340, v8
	v_add_f32_e32 v67, 0x40051340, v9
	s_mul_hi_i32 s3, s2, s26
	v_pk_fma_f32 v[10:11], v[14:15], s[36:37], v[16:17]
	v_cvt_f32_f16_e32 v14, v25
	v_cvt_f32_f16_sdwa v15, v25 dst_sel:DWORD dst_unused:UNUSED_PAD src0_sel:WORD_1
	v_add_f32_e32 v68, 0x40051340, v10
	v_add_f32_e32 v69, 0x40051340, v11
	s_mul_i32 s2, s2, s26
	v_pk_fma_f32 v[12:13], v[12:13], s[36:37], v[14:15]
	v_cvt_f32_f16_e32 v14, v24
	v_cvt_f32_f16_sdwa v15, v24 dst_sel:DWORD dst_unused:UNUSED_PAD src0_sel:WORD_1
	v_add_f32_e32 v25, 0x40051340, v12
	v_add_f32_e32 v75, 0x40051340, v13
	s_lshl_b64 s[2:3], s[2:3], 2
	v_pk_fma_f32 v[16:17], v[22:23], s[36:37], v[14:15]
	v_cvt_f32_f16_sdwa v15, v27 dst_sel:DWORD dst_unused:UNUSED_PAD src0_sel:WORD_1
	v_cvt_f32_f16_e32 v14, v27
	v_add_f32_e32 v22, 0x40051340, v16
	v_add_f32_e32 v23, 0x40051340, v17
	s_add_u32 s2, s48, s2
	v_pk_fma_f32 v[20:21], v[20:21], s[36:37], v[14:15]
	v_cvt_f32_f16_sdwa v15, v2 dst_sel:DWORD dst_unused:UNUSED_PAD src0_sel:WORD_1
	v_cvt_f32_f16_e32 v14, v2
	v_add_f32_e32 v24, 0x40051340, v20
	v_add_f32_e32 v27, 0x40051340, v21
	s_addc_u32 s3, s86, s3
	v_pk_fma_f32 v[14:15], v[18:19], s[36:37], v[14:15]
	v_add_f32_e32 v2, 0x40051340, v14
	v_add_f32_e32 v18, 0x40051340, v15
	v_max3_f32 v2, v30, v2, v18
	v_max3_f32 v2, v2, v24, v27
	;; [unrolled: 1-line block ×8, first 2 shown]
	ds_bpermute_b32 v18, v26, v2
	s_cmp_lg_u64 s[70:71], 0
	s_waitcnt lgkmcnt(0)
	v_max_f32_e32 v18, v18, v18
	v_max_f32_e32 v2, v2, v18
	ds_bpermute_b32 v18, v3, v2
	s_waitcnt lgkmcnt(0)
	v_max_f32_e32 v18, v18, v18
	v_max_f32_e32 v2, v2, v18
	v_pk_add_f32 v[18:19], v[14:15], v[2:3] op_sel_hi:[1,0] neg_lo:[0,1] neg_hi:[0,1]
	v_mul_f32_e32 v14, 0x3fb8aa3b, v19
	v_fma_f32 v15, v19, s50, -v14
	v_rndne_f32_e32 v22, v14
	v_fmac_f32_e32 v15, 0x32a5705f, v19
	v_sub_f32_e32 v14, v14, v22
	v_add_f32_e32 v14, v14, v15
	v_exp_f32_e32 v14, v14
	v_cvt_i32_f32_e32 v15, v22
	v_cmp_ngt_f32_e32 vcc, s51, v19
	v_pk_add_f32 v[16:17], v[16:17], v[2:3] op_sel_hi:[1,0] neg_lo:[0,1] neg_hi:[0,1]
	v_pk_add_f32 v[12:13], v[12:13], v[2:3] op_sel_hi:[1,0] neg_lo:[0,1] neg_hi:[0,1]
	v_ldexp_f32 v14, v14, v15
	v_mul_f32_e32 v15, 0x3fb8aa3b, v18
	v_cndmask_b32_e32 v14, 0, v14, vcc
	v_cmp_nlt_f32_e32 vcc, s30, v19
	v_fma_f32 v19, v18, s50, -v15
	v_rndne_f32_e32 v22, v15
	v_fmac_f32_e32 v19, 0x32a5705f, v18
	v_sub_f32_e32 v15, v15, v22
	v_add_f32_e32 v15, v15, v19
	v_exp_f32_e32 v15, v15
	v_cvt_i32_f32_e32 v19, v22
	v_cndmask_b32_e32 v14, v203, v14, vcc
	v_cmp_ngt_f32_e32 vcc, s51, v18
	v_pk_add_f32 v[10:11], v[10:11], v[2:3] op_sel_hi:[1,0] neg_lo:[0,1] neg_hi:[0,1]
	v_ldexp_f32 v15, v15, v19
	v_cndmask_b32_e32 v15, 0, v15, vcc
	v_cmp_nlt_f32_e32 vcc, s30, v18
	v_pk_add_f32 v[18:19], v[20:21], v[2:3] op_sel_hi:[1,0] neg_lo:[0,1] neg_hi:[0,1]
	v_mul_f32_e32 v20, 0x3fb8aa3b, v19
	v_fma_f32 v21, v19, s50, -v20
	v_rndne_f32_e32 v22, v20
	v_fmac_f32_e32 v21, 0x32a5705f, v19
	v_sub_f32_e32 v20, v20, v22
	v_add_f32_e32 v20, v20, v21
	v_exp_f32_e32 v20, v20
	v_cvt_i32_f32_e32 v21, v22
	v_cndmask_b32_e32 v15, v203, v15, vcc
	v_cmp_ngt_f32_e32 vcc, s51, v19
	v_pk_add_f32 v[8:9], v[8:9], v[2:3] op_sel_hi:[1,0] neg_lo:[0,1] neg_hi:[0,1]
	v_ldexp_f32 v20, v20, v21
	v_cndmask_b32_e32 v20, 0, v20, vcc
	v_cmp_nlt_f32_e32 vcc, s30, v19
	v_cndmask_b32_e32 v19, v203, v20, vcc
	v_mul_f32_e32 v20, 0x3fb8aa3b, v18
	v_fma_f32 v21, v18, s50, -v20
	v_rndne_f32_e32 v22, v20
	v_fmac_f32_e32 v21, 0x32a5705f, v18
	v_sub_f32_e32 v20, v20, v22
	v_add_f32_e32 v20, v20, v21
	v_exp_f32_e32 v20, v20
	v_cvt_i32_f32_e32 v21, v22
	v_cmp_ngt_f32_e32 vcc, s51, v18
	v_pk_add_f32 v[6:7], v[6:7], v[2:3] op_sel_hi:[1,0] neg_lo:[0,1] neg_hi:[0,1]
	v_pk_add_f32 v[4:5], v[4:5], v[2:3] op_sel_hi:[1,0] neg_lo:[0,1] neg_hi:[0,1]
	v_ldexp_f32 v20, v20, v21
	v_cndmask_b32_e32 v20, 0, v20, vcc
	v_cmp_nlt_f32_e32 vcc, s30, v18
	v_mul_f32_e32 v18, 0x3fb8aa3b, v17
	v_cndmask_b32_e32 v32, v203, v20, vcc
	v_fma_f32 v20, v17, s50, -v18
	v_rndne_f32_e32 v21, v18
	v_fmac_f32_e32 v20, 0x32a5705f, v17
	v_sub_f32_e32 v18, v18, v21
	v_add_f32_e32 v18, v18, v20
	v_exp_f32_e32 v18, v18
	v_cvt_i32_f32_e32 v20, v21
	v_cmp_ngt_f32_e32 vcc, s51, v17
	v_ldexp_f32 v18, v18, v20
	v_cndmask_b32_e32 v18, 0, v18, vcc
	v_cmp_nlt_f32_e32 vcc, s30, v17
	v_cndmask_b32_e32 v17, v203, v18, vcc
	v_mul_f32_e32 v18, 0x3fb8aa3b, v16
	v_fma_f32 v20, v16, s50, -v18
	v_rndne_f32_e32 v21, v18
	v_fmac_f32_e32 v20, 0x32a5705f, v16
	v_sub_f32_e32 v18, v18, v21
	v_add_f32_e32 v18, v18, v20
	v_exp_f32_e32 v18, v18
	v_cvt_i32_f32_e32 v20, v21
	v_cmp_ngt_f32_e32 vcc, s51, v16
	v_ldexp_f32 v18, v18, v20
	v_cndmask_b32_e32 v18, 0, v18, vcc
	v_cmp_nlt_f32_e32 vcc, s30, v16
	v_cndmask_b32_e32 v16, v203, v18, vcc
	v_mul_f32_e32 v18, 0x3fb8aa3b, v13
	v_fma_f32 v20, v13, s50, -v18
	v_rndne_f32_e32 v21, v18
	v_fmac_f32_e32 v20, 0x32a5705f, v13
	v_sub_f32_e32 v18, v18, v21
	v_add_f32_e32 v18, v18, v20
	v_exp_f32_e32 v18, v18
	v_cvt_i32_f32_e32 v20, v21
	v_cmp_ngt_f32_e32 vcc, s51, v13
	v_ldexp_f32 v18, v18, v20
	v_cndmask_b32_e32 v18, 0, v18, vcc
	v_cmp_nlt_f32_e32 vcc, s30, v13
	v_mul_f32_e32 v13, 0x3fb8aa3b, v12
	v_cndmask_b32_e32 v33, v203, v18, vcc
	v_fma_f32 v18, v12, s50, -v13
	v_rndne_f32_e32 v20, v13
	v_fmac_f32_e32 v18, 0x32a5705f, v12
	v_sub_f32_e32 v13, v13, v20
	v_add_f32_e32 v13, v13, v18
	v_exp_f32_e32 v13, v13
	v_cvt_i32_f32_e32 v18, v20
	v_cmp_ngt_f32_e32 vcc, s51, v12
	v_ldexp_f32 v13, v13, v18
	v_cndmask_b32_e32 v13, 0, v13, vcc
	v_cmp_nlt_f32_e32 vcc, s30, v12
	v_mul_f32_e32 v12, 0x3fb8aa3b, v11
	v_cndmask_b32_e32 v66, v203, v13, vcc
	;; [unrolled: 13-line block ×8, first 2 shown]
	v_fma_f32 v7, v5, s50, -v6
	v_rndne_f32_e32 v8, v6
	v_fmac_f32_e32 v7, 0x32a5705f, v5
	v_sub_f32_e32 v6, v6, v8
	v_add_f32_e32 v6, v6, v7
	v_exp_f32_e32 v6, v6
	v_cvt_i32_f32_e32 v7, v8
	v_cmp_ngt_f32_e32 vcc, s51, v5
	v_ldexp_f32 v6, v6, v7
	v_cndmask_b32_e32 v6, 0, v6, vcc
	v_cmp_nlt_f32_e32 vcc, s30, v5
	v_cndmask_b32_e32 v5, v203, v6, vcc
	v_mul_f32_e32 v6, 0x3fb8aa3b, v4
	v_fma_f32 v7, v4, s50, -v6
	v_rndne_f32_e32 v8, v6
	v_fmac_f32_e32 v7, 0x32a5705f, v4
	v_sub_f32_e32 v6, v6, v8
	v_add_f32_e32 v6, v6, v7
	v_exp_f32_e32 v6, v6
	v_cvt_i32_f32_e32 v7, v8
	v_cmp_ngt_f32_e32 vcc, s51, v4
	v_ldexp_f32 v6, v6, v7
	v_cndmask_b32_e32 v6, 0, v6, vcc
	v_cmp_nlt_f32_e32 vcc, s30, v4
	v_add_f32_e32 v4, v15, v14
	v_add_f32_e32 v4, v32, v4
	;; [unrolled: 1-line block ×12, first 2 shown]
	v_cndmask_b32_e32 v145, v203, v6, vcc
	v_add_f32_e32 v4, v77, v4
	v_add_f32_e32 v4, v145, v4
	;; [unrolled: 1-line block ×3, first 2 shown]
	v_sub_f32_e32 v4, v30, v2
	v_mul_f32_e32 v6, 0x3fb8aa3b, v4
	v_fma_f32 v7, v4, s50, -v6
	v_rndne_f32_e32 v8, v6
	v_fmac_f32_e32 v7, 0x32a5705f, v4
	v_sub_f32_e32 v6, v6, v8
	v_add_f32_e32 v6, v6, v7
	v_exp_f32_e32 v6, v6
	v_cvt_i32_f32_e32 v7, v8
	v_cmp_ngt_f32_e32 vcc, s51, v4
	v_cvt_f16_f32_e32 v30, v144
	v_cvt_f16_f32_e32 v5, v5
	v_ldexp_f32 v6, v6, v7
	v_cndmask_b32_e32 v6, 0, v6, vcc
	v_cmp_nlt_f32_e32 vcc, s30, v4
	v_cndmask_b32_e32 v6, v203, v6, vcc
	v_cmp_le_f32_e32 vcc, s1, v4
	v_cndmask_b32_e32 v4, 0, v6, vcc
	v_fmac_f32_e32 v27, v31, v4
	v_cvt_f16_f32_e32 v4, v4
	v_mov_b32_e32 v31, s3
	v_pk_mul_f16 v7, v4, v86 op_sel_hi:[0,1]
	v_pk_mul_f16 v6, v4, v84 op_sel_hi:[0,1]
	;; [unrolled: 1-line block ×16, first 2 shown]
	v_cvt_f16_f32_e32 v4, v14
	v_cvt_f16_f32_e32 v14, v15
	;; [unrolled: 1-line block ×3, first 2 shown]
	v_pack_b32_f16 v18, v14, v4
	v_cvt_f16_f32_e32 v4, v19
	v_cvt_f16_f32_e32 v14, v32
	v_pack_b32_f16 v19, v14, v4
	v_cvt_f16_f32_e32 v4, v17
	v_cvt_f16_f32_e32 v14, v16
	;; [unrolled: 3-line block ×3, first 2 shown]
	v_mov_b32_e32 v33, s3
	v_pack_b32_f16 v17, v14, v4
	v_cvt_f16_f32_e32 v4, v67
	v_cvt_f16_f32_e32 v14, v68
	v_pack_b32_f16 v14, v14, v4
	v_cvt_f16_f32_e32 v4, v69
	v_pack_b32_f16 v15, v15, v4
	;; [unrolled: 2-line block ×4, first 2 shown]
	v_add_co_u32_e32 v30, vcc, s2, v40
	v_addc_co_u32_e32 v31, vcc, v31, v41, vcc
	v_add_co_u32_e32 v30, vcc, v30, v116
	v_addc_co_u32_e32 v31, vcc, 0, v31, vcc
	;; [unrolled: 2-line block ×4, first 2 shown]
	v_add_co_u32_e32 v32, vcc, s2, v44
	v_mov_b32_e32 v33, s3
	v_addc_co_u32_e32 v33, vcc, v33, v45, vcc
	v_add_co_u32_e32 v68, vcc, v32, v116
	v_addc_co_u32_e32 v69, vcc, 0, v33, vcc
	v_add_co_u32_e32 v32, vcc, s2, v46
	v_mov_b32_e32 v33, s3
	v_addc_co_u32_e32 v33, vcc, v33, v47, vcc
	v_add_co_u32_e32 v208, vcc, v32, v116
	v_addc_co_u32_e32 v209, vcc, 0, v33, vcc
	global_load_dwordx4 v[30:33], v[30:31], off
	s_waitcnt vmcnt(0)
	ds_write_b128 v103, v[30:33]
	global_load_dwordx4 v[30:33], v[66:67], off
	s_waitcnt vmcnt(0)
	ds_write_b128 v176, v[30:33]
	;; [unrolled: 3-line block ×4, first 2 shown]
	s_waitcnt lgkmcnt(0)
	s_barrier
	ds_read_u16 v66, v107 offset:544
	v_cvt_f32_f16_e32 v32, v6
	v_cvt_f32_f16_sdwa v33, v6 dst_sel:DWORD dst_unused:UNUSED_PAD src0_sel:WORD_1
	ds_read_u16 v6, v108
	ds_read_u16 v67, v108 offset:32
	v_cvt_f32_f16_e32 v30, v7
	v_cvt_f32_f16_sdwa v31, v7 dst_sel:DWORD dst_unused:UNUSED_PAD src0_sel:WORD_1
	s_waitcnt lgkmcnt(1)
	v_perm_b32 v7, v6, v66, s44
	ds_read_u16 v6, v106
	ds_read_u16 v66, v106 offset:32
	ds_read_u16 v68, v107 offset:272
	;; [unrolled: 1-line block ×3, first 2 shown]
	s_waitcnt lgkmcnt(1)
	v_perm_b32 v6, v68, v6, s44
	s_nop 1
	v_mfma_f32_16x16x16f16 v[30:33], v[6:7], v[18:19], v[30:33]
	ds_read_u16 v68, v106 offset:4352
	ds_read_u16 v75, v107 offset:4624
	;; [unrolled: 1-line block ×4, first 2 shown]
	s_nop 6
	v_cvt_f16_f32_e32 v6, v30
	v_cvt_f16_f32_e32 v7, v31
	;; [unrolled: 1-line block ×4, first 2 shown]
	v_cvt_f32_f16_e32 v30, v6
	v_cvt_f32_f16_e32 v31, v7
	s_waitcnt lgkmcnt(0)
	v_perm_b32 v7, v84, v77, s44
	v_perm_b32 v6, v75, v68, s44
	v_cvt_f32_f16_e32 v32, v32
	v_cvt_f32_f16_e32 v33, v33
	ds_read_u16 v68, v106 offset:8704
	ds_read_u16 v75, v107 offset:8976
	;; [unrolled: 1-line block ×4, first 2 shown]
	v_mfma_f32_16x16x16f16 v[30:33], v[6:7], v[16:17], v[30:33]
	s_nop 7
	s_nop 2
	v_cvt_f16_f32_e32 v6, v30
	v_cvt_f16_f32_e32 v7, v31
	;; [unrolled: 1-line block ×4, first 2 shown]
	v_cvt_f32_f16_e32 v30, v6
	v_cvt_f32_f16_e32 v31, v7
	s_waitcnt lgkmcnt(0)
	v_perm_b32 v7, v84, v77, s44
	v_perm_b32 v6, v75, v68, s44
	v_cvt_f32_f16_e32 v32, v32
	v_cvt_f32_f16_e32 v33, v33
	ds_read_u16 v68, v106 offset:13056
	ds_read_u16 v75, v107 offset:13328
	ds_read_u16 v77, v111 offset:544
	ds_read_u16 v84, v108 offset:13056
	v_mfma_f32_16x16x16f16 v[30:33], v[6:7], v[14:15], v[30:33]
	s_nop 7
	s_nop 2
	v_cvt_f16_f32_e32 v6, v30
	v_cvt_f16_f32_e32 v7, v31
	;; [unrolled: 1-line block ×4, first 2 shown]
	v_cvt_f32_f16_e32 v30, v6
	v_cvt_f32_f16_e32 v31, v7
	s_waitcnt lgkmcnt(0)
	v_perm_b32 v7, v84, v77, s44
	v_perm_b32 v6, v75, v68, s44
	v_cvt_f32_f16_e32 v32, v32
	v_cvt_f32_f16_e32 v33, v33
	ds_read_u16 v68, v112 offset:544
	s_nop 0
	v_mfma_f32_16x16x16f16 v[30:33], v[6:7], v[4:5], v[30:33]
	s_nop 7
	s_nop 2
	v_cvt_f16_f32_e32 v6, v30
	v_cvt_f16_f32_e32 v7, v31
	;; [unrolled: 1-line block ×4, first 2 shown]
	v_cvt_f32_f16_e32 v32, v8
	v_pack_b32_f16 v6, v6, v7
	v_cvt_f32_f16_sdwa v33, v8 dst_sel:DWORD dst_unused:UNUSED_PAD src0_sel:WORD_1
	v_pack_b32_f16 v7, v30, v31
	v_cvt_f32_f16_e32 v30, v9
	v_cvt_f32_f16_sdwa v31, v9 dst_sel:DWORD dst_unused:UNUSED_PAD src0_sel:WORD_1
	s_waitcnt lgkmcnt(0)
	v_perm_b32 v9, v67, v68, s44
	v_perm_b32 v8, v69, v66, s44
	ds_read_u16 v66, v106 offset:4384
	ds_read_u16 v67, v107 offset:4656
	ds_read_u16 v68, v113 offset:544
	ds_read_u16 v69, v108 offset:4384
	v_mfma_f32_16x16x16f16 v[30:33], v[8:9], v[18:19], v[30:33]
	s_nop 7
	s_nop 2
	v_cvt_f16_f32_e32 v8, v30
	v_cvt_f16_f32_e32 v9, v31
	v_cvt_f16_f32_e32 v32, v32
	v_cvt_f16_f32_e32 v33, v33
	v_cvt_f32_f16_e32 v30, v8
	v_cvt_f32_f16_e32 v31, v9
	s_waitcnt lgkmcnt(0)
	v_perm_b32 v9, v69, v68, s44
	v_perm_b32 v8, v67, v66, s44
	v_cvt_f32_f16_e32 v32, v32
	v_cvt_f32_f16_e32 v33, v33
	ds_read_u16 v66, v106 offset:8736
	ds_read_u16 v67, v107 offset:9008
	ds_read_u16 v68, v115 offset:544
	ds_read_u16 v69, v108 offset:8736
	v_mfma_f32_16x16x16f16 v[30:33], v[8:9], v[16:17], v[30:33]
	s_nop 7
	s_nop 2
	v_cvt_f16_f32_e32 v8, v30
	v_cvt_f16_f32_e32 v9, v31
	v_cvt_f16_f32_e32 v32, v32
	v_cvt_f16_f32_e32 v33, v33
	v_cvt_f32_f16_e32 v30, v8
	v_cvt_f32_f16_e32 v31, v9
	s_waitcnt lgkmcnt(0)
	v_perm_b32 v9, v69, v68, s44
	v_perm_b32 v8, v67, v66, s44
	v_cvt_f32_f16_e32 v32, v32
	v_cvt_f32_f16_e32 v33, v33
	;; [unrolled: 18-line block ×3, first 2 shown]
	ds_read_u16 v66, v106 offset:64
	ds_read_u16 v67, v107 offset:336
	;; [unrolled: 1-line block ×4, first 2 shown]
	v_mfma_f32_16x16x16f16 v[30:33], v[8:9], v[4:5], v[30:33]
	s_nop 7
	s_nop 2
	v_cvt_f16_f32_e32 v8, v30
	v_cvt_f16_f32_e32 v9, v31
	;; [unrolled: 1-line block ×4, first 2 shown]
	v_cvt_f32_f16_e32 v32, v10
	v_pack_b32_f16 v8, v8, v9
	v_cvt_f32_f16_sdwa v33, v10 dst_sel:DWORD dst_unused:UNUSED_PAD src0_sel:WORD_1
	v_pack_b32_f16 v9, v30, v31
	v_cvt_f32_f16_e32 v30, v11
	v_cvt_f32_f16_sdwa v31, v11 dst_sel:DWORD dst_unused:UNUSED_PAD src0_sel:WORD_1
	s_waitcnt lgkmcnt(0)
	v_perm_b32 v11, v69, v68, s44
	v_perm_b32 v10, v67, v66, s44
	ds_read_u16 v66, v106 offset:4416
	ds_read_u16 v67, v107 offset:4688
	ds_read_u16 v68, v119 offset:544
	ds_read_u16 v69, v108 offset:4416
	v_mfma_f32_16x16x16f16 v[30:33], v[10:11], v[18:19], v[30:33]
	s_nop 7
	s_nop 2
	v_cvt_f16_f32_e32 v10, v30
	v_cvt_f16_f32_e32 v11, v31
	v_cvt_f16_f32_e32 v32, v32
	v_cvt_f16_f32_e32 v33, v33
	v_cvt_f32_f16_e32 v30, v10
	v_cvt_f32_f16_e32 v31, v11
	s_waitcnt lgkmcnt(0)
	v_perm_b32 v11, v69, v68, s44
	v_perm_b32 v10, v67, v66, s44
	v_cvt_f32_f16_e32 v32, v32
	v_cvt_f32_f16_e32 v33, v33
	ds_read_u16 v66, v106 offset:8768
	ds_read_u16 v67, v107 offset:9040
	ds_read_u16 v68, v120 offset:544
	ds_read_u16 v69, v108 offset:8768
	v_mfma_f32_16x16x16f16 v[30:33], v[10:11], v[16:17], v[30:33]
	s_nop 7
	s_nop 2
	v_cvt_f16_f32_e32 v10, v30
	v_cvt_f16_f32_e32 v11, v31
	v_cvt_f16_f32_e32 v32, v32
	v_cvt_f16_f32_e32 v33, v33
	v_cvt_f32_f16_e32 v30, v10
	v_cvt_f32_f16_e32 v31, v11
	s_waitcnt lgkmcnt(0)
	v_perm_b32 v11, v69, v68, s44
	v_perm_b32 v10, v67, v66, s44
	v_cvt_f32_f16_e32 v32, v32
	v_cvt_f32_f16_e32 v33, v33
	;; [unrolled: 18-line block ×3, first 2 shown]
	ds_read_u16 v66, v106 offset:96
	ds_read_u16 v67, v107 offset:368
	;; [unrolled: 1-line block ×4, first 2 shown]
	v_mfma_f32_16x16x16f16 v[30:33], v[10:11], v[4:5], v[30:33]
	s_nop 7
	s_nop 2
	v_cvt_f16_f32_e32 v10, v30
	v_cvt_f16_f32_e32 v11, v31
	;; [unrolled: 1-line block ×4, first 2 shown]
	v_cvt_f32_f16_e32 v32, v12
	v_pack_b32_f16 v10, v10, v11
	v_cvt_f32_f16_sdwa v33, v12 dst_sel:DWORD dst_unused:UNUSED_PAD src0_sel:WORD_1
	v_pack_b32_f16 v11, v30, v31
	v_cvt_f32_f16_e32 v30, v13
	v_cvt_f32_f16_sdwa v31, v13 dst_sel:DWORD dst_unused:UNUSED_PAD src0_sel:WORD_1
	s_waitcnt lgkmcnt(0)
	v_perm_b32 v13, v69, v68, s44
	v_perm_b32 v12, v67, v66, s44
	ds_read_u16 v66, v106 offset:4448
	ds_read_u16 v67, v107 offset:4720
	ds_read_u16 v68, v123 offset:544
	ds_read_u16 v69, v108 offset:4448
	v_mfma_f32_16x16x16f16 v[30:33], v[12:13], v[18:19], v[30:33]
	s_nop 7
	s_nop 2
	v_cvt_f16_f32_e32 v12, v30
	v_cvt_f16_f32_e32 v13, v31
	v_cvt_f16_f32_e32 v32, v32
	v_cvt_f16_f32_e32 v33, v33
	v_cvt_f32_f16_e32 v30, v12
	v_cvt_f32_f16_e32 v31, v13
	s_waitcnt lgkmcnt(0)
	v_perm_b32 v13, v69, v68, s44
	v_perm_b32 v12, v67, v66, s44
	v_cvt_f32_f16_e32 v32, v32
	v_cvt_f32_f16_e32 v33, v33
	ds_read_u16 v66, v106 offset:8800
	ds_read_u16 v67, v107 offset:9072
	ds_read_u16 v68, v124 offset:544
	ds_read_u16 v69, v108 offset:8800
	v_mfma_f32_16x16x16f16 v[30:33], v[12:13], v[16:17], v[30:33]
	s_nop 7
	s_nop 2
	v_cvt_f16_f32_e32 v12, v30
	v_cvt_f16_f32_e32 v13, v31
	v_cvt_f16_f32_e32 v32, v32
	v_cvt_f16_f32_e32 v33, v33
	v_cvt_f32_f16_e32 v30, v12
	v_cvt_f32_f16_e32 v31, v13
	s_waitcnt lgkmcnt(0)
	v_perm_b32 v13, v69, v68, s44
	v_perm_b32 v12, v67, v66, s44
	v_cvt_f32_f16_e32 v32, v32
	v_cvt_f32_f16_e32 v33, v33
	;; [unrolled: 18-line block ×3, first 2 shown]
	ds_read_u16 v66, v106 offset:128
	ds_read_u16 v67, v107 offset:400
	;; [unrolled: 1-line block ×4, first 2 shown]
	v_mfma_f32_16x16x16f16 v[30:33], v[12:13], v[4:5], v[30:33]
	s_nop 7
	s_nop 2
	v_cvt_f16_f32_e32 v12, v30
	v_cvt_f16_f32_e32 v13, v31
	v_cvt_f16_f32_e32 v30, v32
	v_cvt_f16_f32_e32 v31, v33
	v_cvt_f32_f16_e32 v32, v20
	v_pack_b32_f16 v12, v12, v13
	v_cvt_f32_f16_sdwa v33, v20 dst_sel:DWORD dst_unused:UNUSED_PAD src0_sel:WORD_1
	v_pack_b32_f16 v13, v30, v31
	v_cvt_f32_f16_e32 v30, v21
	v_cvt_f32_f16_sdwa v31, v21 dst_sel:DWORD dst_unused:UNUSED_PAD src0_sel:WORD_1
	s_waitcnt lgkmcnt(0)
	v_perm_b32 v21, v69, v68, s44
	v_perm_b32 v20, v67, v66, s44
	ds_read_u16 v66, v106 offset:4480
	ds_read_u16 v67, v107 offset:4752
	ds_read_u16 v68, v127 offset:544
	ds_read_u16 v69, v108 offset:4480
	v_mfma_f32_16x16x16f16 v[30:33], v[20:21], v[18:19], v[30:33]
	s_nop 7
	s_nop 2
	v_cvt_f16_f32_e32 v20, v30
	v_cvt_f16_f32_e32 v21, v31
	v_cvt_f16_f32_e32 v32, v32
	v_cvt_f16_f32_e32 v33, v33
	v_cvt_f32_f16_e32 v30, v20
	v_cvt_f32_f16_e32 v31, v21
	s_waitcnt lgkmcnt(0)
	v_perm_b32 v21, v69, v68, s44
	v_perm_b32 v20, v67, v66, s44
	v_cvt_f32_f16_e32 v32, v32
	v_cvt_f32_f16_e32 v33, v33
	ds_read_u16 v66, v106 offset:8832
	ds_read_u16 v67, v107 offset:9104
	ds_read_u16 v68, v128 offset:544
	ds_read_u16 v69, v108 offset:8832
	v_mfma_f32_16x16x16f16 v[30:33], v[20:21], v[16:17], v[30:33]
	s_nop 7
	s_nop 2
	v_cvt_f16_f32_e32 v20, v30
	v_cvt_f16_f32_e32 v21, v31
	v_cvt_f16_f32_e32 v32, v32
	v_cvt_f16_f32_e32 v33, v33
	v_cvt_f32_f16_e32 v30, v20
	v_cvt_f32_f16_e32 v31, v21
	s_waitcnt lgkmcnt(0)
	v_perm_b32 v21, v69, v68, s44
	v_perm_b32 v20, v67, v66, s44
	v_cvt_f32_f16_e32 v32, v32
	v_cvt_f32_f16_e32 v33, v33
	;; [unrolled: 18-line block ×3, first 2 shown]
	ds_read_u16 v66, v106 offset:160
	ds_read_u16 v67, v107 offset:432
	;; [unrolled: 1-line block ×4, first 2 shown]
	v_mfma_f32_16x16x16f16 v[30:33], v[20:21], v[4:5], v[30:33]
	s_nop 7
	s_nop 2
	v_cvt_f16_f32_e32 v20, v30
	v_cvt_f16_f32_e32 v21, v31
	v_cvt_f16_f32_e32 v30, v32
	v_cvt_f16_f32_e32 v31, v33
	v_cvt_f32_f16_e32 v32, v22
	v_pack_b32_f16 v20, v20, v21
	v_cvt_f32_f16_sdwa v33, v22 dst_sel:DWORD dst_unused:UNUSED_PAD src0_sel:WORD_1
	v_pack_b32_f16 v21, v30, v31
	v_cvt_f32_f16_e32 v30, v23
	v_cvt_f32_f16_sdwa v31, v23 dst_sel:DWORD dst_unused:UNUSED_PAD src0_sel:WORD_1
	s_waitcnt lgkmcnt(0)
	v_perm_b32 v23, v69, v68, s44
	v_perm_b32 v22, v67, v66, s44
	ds_read_u16 v66, v106 offset:4512
	ds_read_u16 v67, v107 offset:4784
	ds_read_u16 v68, v131 offset:544
	ds_read_u16 v69, v108 offset:4512
	v_mfma_f32_16x16x16f16 v[30:33], v[22:23], v[18:19], v[30:33]
	s_nop 7
	s_nop 2
	v_cvt_f16_f32_e32 v22, v30
	v_cvt_f16_f32_e32 v23, v31
	v_cvt_f16_f32_e32 v32, v32
	v_cvt_f16_f32_e32 v33, v33
	v_cvt_f32_f16_e32 v30, v22
	v_cvt_f32_f16_e32 v31, v23
	s_waitcnt lgkmcnt(0)
	v_perm_b32 v23, v69, v68, s44
	v_perm_b32 v22, v67, v66, s44
	v_cvt_f32_f16_e32 v32, v32
	v_cvt_f32_f16_e32 v33, v33
	ds_read_u16 v66, v106 offset:8864
	ds_read_u16 v67, v107 offset:9136
	ds_read_u16 v68, v132 offset:544
	ds_read_u16 v69, v108 offset:8864
	v_mfma_f32_16x16x16f16 v[30:33], v[22:23], v[16:17], v[30:33]
	s_nop 7
	s_nop 2
	v_cvt_f16_f32_e32 v22, v30
	v_cvt_f16_f32_e32 v23, v31
	v_cvt_f16_f32_e32 v32, v32
	v_cvt_f16_f32_e32 v33, v33
	v_cvt_f32_f16_e32 v30, v22
	v_cvt_f32_f16_e32 v31, v23
	s_waitcnt lgkmcnt(0)
	v_perm_b32 v23, v69, v68, s44
	v_perm_b32 v22, v67, v66, s44
	v_cvt_f32_f16_e32 v32, v32
	v_cvt_f32_f16_e32 v33, v33
	;; [unrolled: 18-line block ×3, first 2 shown]
	ds_read_u16 v66, v106 offset:192
	ds_read_u16 v67, v107 offset:464
	ds_read_u16 v68, v134 offset:544
	ds_read_u16 v69, v108 offset:192
	v_mfma_f32_16x16x16f16 v[30:33], v[22:23], v[4:5], v[30:33]
	s_nop 7
	s_nop 2
	v_cvt_f16_f32_e32 v22, v30
	v_cvt_f16_f32_e32 v23, v31
	;; [unrolled: 1-line block ×4, first 2 shown]
	v_cvt_f32_f16_e32 v32, v24
	v_pack_b32_f16 v22, v22, v23
	v_cvt_f32_f16_sdwa v33, v24 dst_sel:DWORD dst_unused:UNUSED_PAD src0_sel:WORD_1
	v_pack_b32_f16 v23, v30, v31
	v_cvt_f32_f16_e32 v30, v25
	v_cvt_f32_f16_sdwa v31, v25 dst_sel:DWORD dst_unused:UNUSED_PAD src0_sel:WORD_1
	s_waitcnt lgkmcnt(0)
	v_perm_b32 v25, v69, v68, s44
	v_perm_b32 v24, v67, v66, s44
	ds_read_u16 v66, v106 offset:4544
	ds_read_u16 v67, v107 offset:4816
	ds_read_u16 v68, v135 offset:544
	ds_read_u16 v69, v108 offset:4544
	v_mfma_f32_16x16x16f16 v[30:33], v[24:25], v[18:19], v[30:33]
	s_nop 7
	s_nop 2
	v_cvt_f16_f32_e32 v24, v30
	v_cvt_f16_f32_e32 v25, v31
	v_cvt_f16_f32_e32 v32, v32
	v_cvt_f16_f32_e32 v33, v33
	v_cvt_f32_f16_e32 v30, v24
	v_cvt_f32_f16_e32 v31, v25
	s_waitcnt lgkmcnt(0)
	v_perm_b32 v25, v69, v68, s44
	v_perm_b32 v24, v67, v66, s44
	v_cvt_f32_f16_e32 v32, v32
	v_cvt_f32_f16_e32 v33, v33
	ds_read_u16 v66, v106 offset:8896
	ds_read_u16 v67, v107 offset:9168
	ds_read_u16 v68, v136 offset:544
	ds_read_u16 v69, v108 offset:8896
	v_mfma_f32_16x16x16f16 v[30:33], v[24:25], v[16:17], v[30:33]
	s_nop 7
	s_nop 2
	v_cvt_f16_f32_e32 v24, v30
	v_cvt_f16_f32_e32 v25, v31
	v_cvt_f16_f32_e32 v32, v32
	v_cvt_f16_f32_e32 v33, v33
	v_cvt_f32_f16_e32 v30, v24
	v_cvt_f32_f16_e32 v31, v25
	s_waitcnt lgkmcnt(0)
	v_perm_b32 v25, v69, v68, s44
	v_perm_b32 v24, v67, v66, s44
	v_cvt_f32_f16_e32 v32, v32
	v_cvt_f32_f16_e32 v33, v33
	;; [unrolled: 18-line block ×3, first 2 shown]
	ds_read_u16 v66, v106 offset:224
	ds_read_u16 v67, v107 offset:496
	;; [unrolled: 1-line block ×4, first 2 shown]
	v_mfma_f32_16x16x16f16 v[30:33], v[24:25], v[4:5], v[30:33]
	s_nop 7
	s_nop 2
	v_cvt_f16_f32_e32 v24, v30
	v_cvt_f16_f32_e32 v25, v31
	;; [unrolled: 1-line block ×4, first 2 shown]
	v_cvt_f32_f16_e32 v32, v28
	v_pack_b32_f16 v24, v24, v25
	v_cvt_f32_f16_sdwa v33, v28 dst_sel:DWORD dst_unused:UNUSED_PAD src0_sel:WORD_1
	v_pack_b32_f16 v25, v30, v31
	v_cvt_f32_f16_e32 v30, v29
	v_cvt_f32_f16_sdwa v31, v29 dst_sel:DWORD dst_unused:UNUSED_PAD src0_sel:WORD_1
	s_waitcnt lgkmcnt(0)
	v_perm_b32 v29, v69, v68, s44
	v_perm_b32 v28, v67, v66, s44
	s_nop 1
	v_mfma_f32_16x16x16f16 v[28:31], v[28:29], v[18:19], v[30:33]
	s_nop 6
	ds_read_u16 v32, v106 offset:4576
	ds_read_u16 v33, v107 offset:4848
	;; [unrolled: 1-line block ×4, first 2 shown]
	v_cvt_f16_f32_e32 v18, v28
	v_cvt_f16_f32_e32 v19, v29
	;; [unrolled: 1-line block ×4, first 2 shown]
	v_cvt_f32_f16_e32 v28, v18
	v_cvt_f32_f16_e32 v29, v19
	s_waitcnt lgkmcnt(0)
	v_perm_b32 v19, v67, v66, s44
	v_perm_b32 v18, v33, v32, s44
	v_cvt_f32_f16_e32 v30, v30
	v_cvt_f32_f16_e32 v31, v31
	s_nop 1
	v_mfma_f32_16x16x16f16 v[16:19], v[18:19], v[16:17], v[28:31]
	s_nop 6
	ds_read_u16 v28, v106 offset:8928
	ds_read_u16 v30, v107 offset:9200
	;; [unrolled: 1-line block ×4, first 2 shown]
	s_waitcnt lgkmcnt(2)
	v_perm_b32 v28, v30, v28, s44
	s_waitcnt lgkmcnt(0)
	v_perm_b32 v29, v31, v29, s44
	v_cvt_f16_f32_e32 v16, v16
	v_cvt_f16_f32_e32 v17, v17
	;; [unrolled: 1-line block ×4, first 2 shown]
	v_cvt_f32_f16_e32 v16, v16
	v_cvt_f32_f16_e32 v17, v17
	v_cvt_f32_f16_e32 v18, v18
	v_cvt_f32_f16_e32 v19, v19
	s_nop 1
	v_mfma_f32_16x16x16f16 v[16:19], v[28:29], v[14:15], v[16:19]
	s_nop 7
	s_nop 2
	v_cvt_f16_f32_e32 v15, v16
	v_cvt_f16_f32_e32 v16, v17
	;; [unrolled: 1-line block ×4, first 2 shown]
	ds_read_u16 v14, v106 offset:13280
	ds_read_u16 v19, v107 offset:13552
	;; [unrolled: 1-line block ×4, first 2 shown]
	v_cvt_f32_f16_e32 v30, v15
	v_cvt_f32_f16_e32 v31, v16
	s_waitcnt lgkmcnt(2)
	v_perm_b32 v14, v19, v14, s44
	v_cvt_f32_f16_e32 v32, v17
	s_waitcnt lgkmcnt(0)
	v_perm_b32 v15, v29, v28, s44
	v_cvt_f32_f16_e32 v33, v18
	s_barrier
	s_nop 0
	v_mfma_f32_16x16x16f16 v[14:17], v[14:15], v[4:5], v[30:33]
	s_nop 7
	s_nop 2
	v_cvt_f16_f32_e32 v4, v14
	v_cvt_f16_f32_e32 v5, v15
	;; [unrolled: 1-line block ×4, first 2 shown]
	v_pack_b32_f16 v4, v4, v5
	v_pack_b32_f16 v5, v14, v15
	ds_bpermute_b32 v14, v26, v27
	s_waitcnt lgkmcnt(0)
	v_add_f32_e32 v14, v27, v14
	ds_bpermute_b32 v3, v3, v14
	s_waitcnt lgkmcnt(0)
	v_add_f32_e32 v3, v14, v3
	s_cbranch_scc0 .LBB25_615
; %bb.220:                              ;   in Loop: Header=BB25_15 Depth=1
	v_lshlrev_b32_e32 v14, 2, v60
	global_load_dword v15, v14, s[70:71]
	v_max_f32_e32 v14, v2, v2
	s_waitcnt vmcnt(0)
	v_max_f32_e32 v16, v15, v15
	v_max_f32_e32 v14, v14, v16
	v_sub_f32_e32 v16, v2, v14
	v_sub_f32_e32 v15, v15, v14
	v_mul_f32_e32 v17, 0x3fb8aa3b, v16
	v_mul_f32_e32 v18, 0x3fb8aa3b, v15
	v_fma_f32 v19, v16, s50, -v17
	v_rndne_f32_e32 v26, v17
	v_fma_f32 v27, v15, s50, -v18
	v_rndne_f32_e32 v28, v18
	v_fmac_f32_e32 v19, 0x32a5705f, v16
	v_sub_f32_e32 v17, v17, v26
	v_fmac_f32_e32 v27, 0x32a5705f, v15
	v_sub_f32_e32 v18, v18, v28
	v_add_f32_e32 v17, v17, v19
	v_cvt_i32_f32_e32 v26, v26
	v_add_f32_e32 v18, v18, v27
	v_exp_f32_e32 v17, v17
	v_cvt_i32_f32_e32 v28, v28
	v_exp_f32_e32 v18, v18
	v_cmp_ngt_f32_e32 vcc, s51, v16
	v_ldexp_f32 v17, v17, v26
	v_cndmask_b32_e32 v17, 0, v17, vcc
	v_ldexp_f32 v18, v18, v28
	v_cmp_ngt_f32_e32 vcc, s51, v15
	v_cndmask_b32_e32 v18, 0, v18, vcc
	v_cmp_nlt_f32_e32 vcc, s30, v16
	v_cndmask_b32_e32 v17, v203, v17, vcc
	v_cmp_le_f32_e32 vcc, s1, v16
	v_cndmask_b32_e32 v16, 0, v17, vcc
	v_cvt_f16_f32_e32 v69, v16
	v_cmp_nlt_f32_e32 vcc, s30, v15
	v_cndmask_b32_e32 v15, v203, v18, vcc
	v_fmac_f32_e32 v15, v3, v16
	v_pk_mul_f16 v16, v69, v6 op_sel_hi:[0,1]
	v_pk_mul_f16 v17, v69, v7 op_sel_hi:[0,1]
	;; [unrolled: 1-line block ×16, first 2 shown]
	s_cbranch_execnz .LBB25_222
.LBB25_221:                             ;   in Loop: Header=BB25_15 Depth=1
	v_pk_mov_b32 v[68:69], v[4:5], v[4:5] op_sel:[0,1]
	v_pk_mov_b32 v[66:67], v[24:25], v[24:25] op_sel:[0,1]
	;; [unrolled: 1-line block ×9, first 2 shown]
.LBB25_222:                             ;   in Loop: Header=BB25_15 Depth=1
	s_barrier
	s_mov_b64 s[2:3], exec
	v_readlane_b32 s4, v254, 29
	v_readlane_b32 s5, v254, 30
	s_and_b64 s[4:5], s[2:3], s[4:5]
	s_mov_b64 exec, s[4:5]
	s_cbranch_execz .LBB25_224
; %bb.223:                              ;   in Loop: Header=BB25_15 Depth=1
	global_store_dwordx2 v[38:39], v[14:15], off
.LBB25_224:                             ;   in Loop: Header=BB25_15 Depth=1
	s_or_b64 exec, exec, s[2:3]
	v_cmp_gt_i32_e64 s[2:3], s24, v82
	v_cmp_gt_i32_e64 s[4:5], s33, v1
	v_cmp_le_i32_e32 vcc, s33, v1
	s_and_b64 s[2:3], s[2:3], s[4:5]
	v_mov_b32_e32 v2, 50
	ds_write2_b32 v171, v16, v17 offset1:1
	ds_write2_b32 v171, v18, v19 offset0:8 offset1:9
	ds_write2_b32 v171, v26, v27 offset0:16 offset1:17
	;; [unrolled: 1-line block ×7, first 2 shown]
	s_waitcnt lgkmcnt(0)
	s_barrier
	s_and_saveexec_b64 s[4:5], s[2:3]
	s_cbranch_execz .LBB25_226
; %bb.225:                              ;   in Loop: Header=BB25_15 Depth=1
	ds_read_b32 v4, v143
	v_mad_u64_u32 v[2:3], s[2:3], v82, s25, v[34:35]
	v_lshl_add_u32 v2, v2, 6, v36
	v_ashrrev_i32_e32 v3, 31, v2
	s_waitcnt lgkmcnt(0)
	v_cvt_f32_f16_sdwa v5, v4 dst_sel:DWORD dst_unused:UNUSED_PAD src0_sel:WORD_1
	v_cvt_f32_f16_e32 v4, v4
	v_lshlrev_b64 v[2:3], 3, v[2:3]
	v_mov_b32_e32 v6, s47
	v_add_co_u32_e64 v2, s[2:3], s46, v2
	v_addc_co_u32_e64 v3, s[2:3], v6, v3, s[2:3]
	v_pk_add_f32 v[4:5], v[4:5], 0 op_sel_hi:[1,0]
	global_store_dwordx2 v[2:3], v[4:5], off
	v_mov_b32_e32 v2, 0
.LBB25_226:                             ;   in Loop: Header=BB25_15 Depth=1
	s_or_b64 exec, exec, s[4:5]
	v_cmp_gt_i32_e64 s[2:3], 50, v2
	s_mov_b64 s[6:7], -1
	s_and_saveexec_b64 s[4:5], s[2:3]
; %bb.227:                              ;   in Loop: Header=BB25_15 Depth=1
	v_cmp_eq_u32_e64 s[2:3], 0, v2
	s_orn2_b64 s[6:7], s[2:3], exec
; %bb.228:                              ;   in Loop: Header=BB25_15 Depth=1
	s_or_b64 exec, exec, s[4:5]
	s_mov_b64 s[34:35], 0
	s_mov_b64 s[4:5], 0
                                        ; implicit-def: $vgpr2_vgpr3
	s_and_saveexec_b64 s[54:55], s[6:7]
	s_cbranch_execz .LBB25_316
; %bb.229:                              ;   in Loop: Header=BB25_15 Depth=1
	v_cmp_gt_i32_e64 s[2:3], s24, v80
	s_xor_b64 s[64:65], vcc, -1
	s_and_b64 s[4:5], s[2:3], s[64:65]
	v_mov_b32_e32 v2, 50
	s_and_saveexec_b64 s[2:3], s[4:5]
	s_cbranch_execz .LBB25_231
; %bb.230:                              ;   in Loop: Header=BB25_15 Depth=1
	ds_read_b32 v4, v183
	v_mad_u64_u32 v[2:3], s[4:5], v80, s25, v[34:35]
	v_lshl_add_u32 v2, v2, 6, v36
	v_ashrrev_i32_e32 v3, 31, v2
	s_waitcnt lgkmcnt(0)
	v_cvt_f32_f16_sdwa v5, v4 dst_sel:DWORD dst_unused:UNUSED_PAD src0_sel:WORD_1
	v_cvt_f32_f16_e32 v4, v4
	v_lshlrev_b64 v[2:3], 3, v[2:3]
	v_mov_b32_e32 v6, s47
	v_add_co_u32_e32 v2, vcc, s46, v2
	v_addc_co_u32_e32 v3, vcc, v6, v3, vcc
	v_pk_add_f32 v[4:5], v[4:5], 0 op_sel_hi:[1,0]
	global_store_dwordx2 v[2:3], v[4:5], off
	v_mov_b32_e32 v2, 0
.LBB25_231:                             ;   in Loop: Header=BB25_15 Depth=1
	s_or_b64 exec, exec, s[2:3]
	v_cmp_gt_i32_e32 vcc, 50, v2
	s_mov_b64 s[6:7], -1
	s_and_saveexec_b64 s[2:3], vcc
; %bb.232:                              ;   in Loop: Header=BB25_15 Depth=1
	v_cmp_eq_u32_e32 vcc, 0, v2
	s_orn2_b64 s[6:7], vcc, exec
; %bb.233:                              ;   in Loop: Header=BB25_15 Depth=1
	s_or_b64 exec, exec, s[2:3]
	s_mov_b64 s[4:5], 0
                                        ; implicit-def: $vgpr2_vgpr3
	s_and_saveexec_b64 s[2:3], s[6:7]
	s_cbranch_execz .LBB25_315
; %bb.234:                              ;   in Loop: Header=BB25_15 Depth=1
	v_cmp_gt_i32_e32 vcc, s24, v78
	s_and_b64 s[6:7], vcc, s[64:65]
	v_mov_b32_e32 v2, 50
	s_and_saveexec_b64 s[4:5], s[6:7]
	s_cbranch_execz .LBB25_236
; %bb.235:                              ;   in Loop: Header=BB25_15 Depth=1
	ds_read_b32 v4, v185
	v_mad_u64_u32 v[2:3], s[6:7], v78, s25, v[34:35]
	v_lshl_add_u32 v2, v2, 6, v36
	v_ashrrev_i32_e32 v3, 31, v2
	s_waitcnt lgkmcnt(0)
	v_cvt_f32_f16_sdwa v5, v4 dst_sel:DWORD dst_unused:UNUSED_PAD src0_sel:WORD_1
	v_cvt_f32_f16_e32 v4, v4
	v_lshlrev_b64 v[2:3], 3, v[2:3]
	v_mov_b32_e32 v6, s47
	v_add_co_u32_e32 v2, vcc, s46, v2
	v_addc_co_u32_e32 v3, vcc, v6, v3, vcc
	v_pk_add_f32 v[4:5], v[4:5], 0 op_sel_hi:[1,0]
	global_store_dwordx2 v[2:3], v[4:5], off
	v_mov_b32_e32 v2, 0
.LBB25_236:                             ;   in Loop: Header=BB25_15 Depth=1
	s_or_b64 exec, exec, s[4:5]
	v_cmp_gt_i32_e32 vcc, 50, v2
	s_mov_b64 s[72:73], -1
	s_and_saveexec_b64 s[4:5], vcc
; %bb.237:                              ;   in Loop: Header=BB25_15 Depth=1
	v_cmp_eq_u32_e32 vcc, 0, v2
	s_orn2_b64 s[72:73], vcc, exec
; %bb.238:                              ;   in Loop: Header=BB25_15 Depth=1
	s_or_b64 exec, exec, s[4:5]
	s_mov_b64 s[6:7], 0
                                        ; implicit-def: $vgpr2_vgpr3
	s_and_saveexec_b64 s[4:5], s[72:73]
	s_cbranch_execz .LBB25_314
; %bb.239:                              ;   in Loop: Header=BB25_15 Depth=1
	v_cmp_gt_i32_e32 vcc, s24, v76
	s_and_b64 s[6:7], vcc, s[64:65]
	v_mov_b32_e32 v2, 50
	s_and_saveexec_b64 s[72:73], s[6:7]
	s_cbranch_execz .LBB25_241
; %bb.240:                              ;   in Loop: Header=BB25_15 Depth=1
	ds_read_b32 v4, v187
	v_mad_u64_u32 v[2:3], s[6:7], v76, s25, v[34:35]
	v_lshl_add_u32 v2, v2, 6, v36
	v_ashrrev_i32_e32 v3, 31, v2
	s_waitcnt lgkmcnt(0)
	v_cvt_f32_f16_sdwa v5, v4 dst_sel:DWORD dst_unused:UNUSED_PAD src0_sel:WORD_1
	v_cvt_f32_f16_e32 v4, v4
	v_lshlrev_b64 v[2:3], 3, v[2:3]
	v_mov_b32_e32 v6, s47
	v_add_co_u32_e32 v2, vcc, s46, v2
	v_addc_co_u32_e32 v3, vcc, v6, v3, vcc
	v_pk_add_f32 v[4:5], v[4:5], 0 op_sel_hi:[1,0]
	global_store_dwordx2 v[2:3], v[4:5], off
	v_mov_b32_e32 v2, 0
.LBB25_241:                             ;   in Loop: Header=BB25_15 Depth=1
	s_or_b64 exec, exec, s[72:73]
	v_cmp_gt_i32_e32 vcc, 50, v2
	s_mov_b64 s[74:75], -1
	s_and_saveexec_b64 s[6:7], vcc
; %bb.242:                              ;   in Loop: Header=BB25_15 Depth=1
	v_cmp_eq_u32_e32 vcc, 0, v2
	s_orn2_b64 s[74:75], vcc, exec
; %bb.243:                              ;   in Loop: Header=BB25_15 Depth=1
	s_or_b64 exec, exec, s[6:7]
	s_mov_b64 s[6:7], 0
                                        ; implicit-def: $vgpr2_vgpr3
	s_and_saveexec_b64 s[72:73], s[74:75]
	s_cbranch_execz .LBB25_313
; %bb.244:                              ;   in Loop: Header=BB25_15 Depth=1
	v_cmp_gt_i32_e32 vcc, s24, v74
	s_and_b64 s[6:7], vcc, s[64:65]
	v_mov_b32_e32 v2, 50
	s_and_saveexec_b64 s[74:75], s[6:7]
	s_cbranch_execz .LBB25_246
; %bb.245:                              ;   in Loop: Header=BB25_15 Depth=1
	v_mad_u64_u32 v[2:3], s[6:7], v74, s25, v[34:35]
	buffer_load_dword v3, off, s[96:99], 0 offset:8 ; 4-byte Folded Reload
	v_lshl_add_u32 v2, v2, 6, v36
	v_mov_b32_e32 v6, s47
	s_waitcnt vmcnt(0)
	ds_read_b32 v4, v3
	v_ashrrev_i32_e32 v3, 31, v2
	v_lshlrev_b64 v[2:3], 3, v[2:3]
	v_add_co_u32_e32 v2, vcc, s46, v2
	s_waitcnt lgkmcnt(0)
	v_cvt_f32_f16_sdwa v5, v4 dst_sel:DWORD dst_unused:UNUSED_PAD src0_sel:WORD_1
	v_cvt_f32_f16_e32 v4, v4
	v_addc_co_u32_e32 v3, vcc, v6, v3, vcc
	v_pk_add_f32 v[4:5], v[4:5], 0 op_sel_hi:[1,0]
	global_store_dwordx2 v[2:3], v[4:5], off
	v_mov_b32_e32 v2, 0
.LBB25_246:                             ;   in Loop: Header=BB25_15 Depth=1
	s_or_b64 exec, exec, s[74:75]
	v_cmp_gt_i32_e32 vcc, 50, v2
	s_mov_b64 s[76:77], -1
	s_and_saveexec_b64 s[6:7], vcc
; %bb.247:                              ;   in Loop: Header=BB25_15 Depth=1
	v_cmp_eq_u32_e32 vcc, 0, v2
	s_orn2_b64 s[76:77], vcc, exec
; %bb.248:                              ;   in Loop: Header=BB25_15 Depth=1
	s_or_b64 exec, exec, s[6:7]
	s_mov_b64 s[6:7], 0
                                        ; implicit-def: $vgpr2_vgpr3
	s_and_saveexec_b64 s[74:75], s[76:77]
	s_cbranch_execz .LBB25_312
; %bb.249:                              ;   in Loop: Header=BB25_15 Depth=1
	v_cmp_gt_i32_e32 vcc, s24, v73
	s_and_b64 s[6:7], vcc, s[64:65]
	v_mov_b32_e32 v2, 50
	s_and_saveexec_b64 s[76:77], s[6:7]
	s_cbranch_execz .LBB25_251
; %bb.250:                              ;   in Loop: Header=BB25_15 Depth=1
	ds_read_b32 v4, v187 offset:2176
	v_mad_u64_u32 v[2:3], s[6:7], v73, s25, v[34:35]
	v_lshl_add_u32 v2, v2, 6, v36
	v_ashrrev_i32_e32 v3, 31, v2
	s_waitcnt lgkmcnt(0)
	v_cvt_f32_f16_sdwa v5, v4 dst_sel:DWORD dst_unused:UNUSED_PAD src0_sel:WORD_1
	v_cvt_f32_f16_e32 v4, v4
	v_lshlrev_b64 v[2:3], 3, v[2:3]
	v_mov_b32_e32 v6, s47
	v_add_co_u32_e32 v2, vcc, s46, v2
	v_addc_co_u32_e32 v3, vcc, v6, v3, vcc
	v_pk_add_f32 v[4:5], v[4:5], 0 op_sel_hi:[1,0]
	global_store_dwordx2 v[2:3], v[4:5], off
	v_mov_b32_e32 v2, 0
.LBB25_251:                             ;   in Loop: Header=BB25_15 Depth=1
	s_or_b64 exec, exec, s[76:77]
	v_cmp_gt_i32_e32 vcc, 50, v2
	s_mov_b64 s[78:79], -1
	s_and_saveexec_b64 s[6:7], vcc
; %bb.252:                              ;   in Loop: Header=BB25_15 Depth=1
	v_cmp_eq_u32_e32 vcc, 0, v2
	s_orn2_b64 s[78:79], vcc, exec
; %bb.253:                              ;   in Loop: Header=BB25_15 Depth=1
	s_or_b64 exec, exec, s[6:7]
	s_mov_b64 s[6:7], 0
                                        ; implicit-def: $vgpr2_vgpr3
	s_and_saveexec_b64 s[76:77], s[78:79]
	s_cbranch_execz .LBB25_311
; %bb.254:                              ;   in Loop: Header=BB25_15 Depth=1
	v_cmp_gt_i32_e32 vcc, s24, v72
	s_and_b64 s[6:7], vcc, s[64:65]
	v_mov_b32_e32 v2, 50
	s_and_saveexec_b64 s[78:79], s[6:7]
	s_cbranch_execz .LBB25_256
; %bb.255:                              ;   in Loop: Header=BB25_15 Depth=1
	ds_read_b32 v4, v187 offset:3264
	v_mad_u64_u32 v[2:3], s[6:7], v72, s25, v[34:35]
	v_lshl_add_u32 v2, v2, 6, v36
	v_ashrrev_i32_e32 v3, 31, v2
	s_waitcnt lgkmcnt(0)
	v_cvt_f32_f16_sdwa v5, v4 dst_sel:DWORD dst_unused:UNUSED_PAD src0_sel:WORD_1
	v_cvt_f32_f16_e32 v4, v4
	v_lshlrev_b64 v[2:3], 3, v[2:3]
	v_mov_b32_e32 v6, s47
	v_add_co_u32_e32 v2, vcc, s46, v2
	v_addc_co_u32_e32 v3, vcc, v6, v3, vcc
	v_pk_add_f32 v[4:5], v[4:5], 0 op_sel_hi:[1,0]
	global_store_dwordx2 v[2:3], v[4:5], off
	v_mov_b32_e32 v2, 0
.LBB25_256:                             ;   in Loop: Header=BB25_15 Depth=1
	;; [unrolled: 35-line block ×3, first 2 shown]
	s_or_b64 exec, exec, s[80:81]
	v_cmp_gt_i32_e32 vcc, 50, v2
	s_mov_b64 s[82:83], -1
	s_and_saveexec_b64 s[6:7], vcc
; %bb.262:                              ;   in Loop: Header=BB25_15 Depth=1
	v_cmp_eq_u32_e32 vcc, 0, v2
	s_orn2_b64 s[82:83], vcc, exec
; %bb.263:                              ;   in Loop: Header=BB25_15 Depth=1
	s_or_b64 exec, exec, s[6:7]
	s_mov_b64 s[6:7], 0
                                        ; implicit-def: $vgpr2_vgpr3
	s_and_saveexec_b64 s[80:81], s[82:83]
	s_cbranch_execz .LBB25_309
; %bb.264:                              ;   in Loop: Header=BB25_15 Depth=1
	v_cmp_gt_i32_e32 vcc, s24, v70
	s_and_b64 s[6:7], vcc, s[64:65]
	v_mov_b32_e32 v2, 50
	s_and_saveexec_b64 s[82:83], s[6:7]
	s_cbranch_execz .LBB25_266
; %bb.265:                              ;   in Loop: Header=BB25_15 Depth=1
	v_mad_u64_u32 v[2:3], s[6:7], v70, s25, v[34:35]
	buffer_load_dword v3, off, s[96:99], 0 offset:16 ; 4-byte Folded Reload
	v_lshl_add_u32 v2, v2, 6, v36
	v_mov_b32_e32 v6, s47
	s_waitcnt vmcnt(0)
	ds_read_b32 v4, v3
	v_ashrrev_i32_e32 v3, 31, v2
	v_lshlrev_b64 v[2:3], 3, v[2:3]
	v_add_co_u32_e32 v2, vcc, s46, v2
	s_waitcnt lgkmcnt(0)
	v_cvt_f32_f16_sdwa v5, v4 dst_sel:DWORD dst_unused:UNUSED_PAD src0_sel:WORD_1
	v_cvt_f32_f16_e32 v4, v4
	v_addc_co_u32_e32 v3, vcc, v6, v3, vcc
	v_pk_add_f32 v[4:5], v[4:5], 0 op_sel_hi:[1,0]
	global_store_dwordx2 v[2:3], v[4:5], off
	v_mov_b32_e32 v2, 0
.LBB25_266:                             ;   in Loop: Header=BB25_15 Depth=1
	s_or_b64 exec, exec, s[82:83]
	v_cmp_gt_i32_e32 vcc, 50, v2
	s_mov_b64 s[84:85], -1
	s_and_saveexec_b64 s[6:7], vcc
; %bb.267:                              ;   in Loop: Header=BB25_15 Depth=1
	v_cmp_eq_u32_e32 vcc, 0, v2
	s_orn2_b64 s[84:85], vcc, exec
; %bb.268:                              ;   in Loop: Header=BB25_15 Depth=1
	s_or_b64 exec, exec, s[6:7]
	s_mov_b64 s[6:7], 0
                                        ; implicit-def: $vgpr2_vgpr3
	s_and_saveexec_b64 s[82:83], s[84:85]
	s_cbranch_execz .LBB25_308
; %bb.269:                              ;   in Loop: Header=BB25_15 Depth=1
	v_cmp_gt_i32_e32 vcc, s24, v63
	s_and_b64 s[6:7], vcc, s[64:65]
	v_mov_b32_e32 v2, 50
	s_and_saveexec_b64 s[84:85], s[6:7]
	s_cbranch_execz .LBB25_271
; %bb.270:                              ;   in Loop: Header=BB25_15 Depth=1
	ds_read_b32 v4, v187 offset:6528
	v_mad_u64_u32 v[2:3], s[6:7], v63, s25, v[34:35]
	v_lshl_add_u32 v2, v2, 6, v36
	v_ashrrev_i32_e32 v3, 31, v2
	s_waitcnt lgkmcnt(0)
	v_cvt_f32_f16_sdwa v5, v4 dst_sel:DWORD dst_unused:UNUSED_PAD src0_sel:WORD_1
	v_cvt_f32_f16_e32 v4, v4
	v_lshlrev_b64 v[2:3], 3, v[2:3]
	v_mov_b32_e32 v6, s47
	v_add_co_u32_e32 v2, vcc, s46, v2
	v_addc_co_u32_e32 v3, vcc, v6, v3, vcc
	v_pk_add_f32 v[4:5], v[4:5], 0 op_sel_hi:[1,0]
	global_store_dwordx2 v[2:3], v[4:5], off
	v_mov_b32_e32 v2, 0
.LBB25_271:                             ;   in Loop: Header=BB25_15 Depth=1
	s_or_b64 exec, exec, s[84:85]
	v_cmp_gt_i32_e32 vcc, 50, v2
	s_mov_b64 s[84:85], -1
	s_and_saveexec_b64 s[6:7], vcc
; %bb.272:                              ;   in Loop: Header=BB25_15 Depth=1
	v_cmp_eq_u32_e32 vcc, 0, v2
	s_orn2_b64 s[84:85], vcc, exec
; %bb.273:                              ;   in Loop: Header=BB25_15 Depth=1
	s_or_b64 exec, exec, s[6:7]
	s_mov_b64 s[6:7], 0
                                        ; implicit-def: $vgpr2_vgpr3
	s_and_saveexec_b64 vcc, s[84:85]
	s_cbranch_execz .LBB25_307
; %bb.274:                              ;   in Loop: Header=BB25_15 Depth=1
	v_writelane_b32 v254, vcc_lo, 55
	v_writelane_b32 v254, vcc_hi, 56
	v_cmp_gt_i32_e32 vcc, s24, v61
	s_and_b64 s[84:85], vcc, s[64:65]
	v_mov_b32_e32 v2, 50
	s_and_saveexec_b64 s[6:7], s[84:85]
	s_cbranch_execz .LBB25_276
; %bb.275:                              ;   in Loop: Header=BB25_15 Depth=1
	ds_read_b32 v4, v187 offset:7616
	v_mad_u64_u32 v[2:3], s[84:85], v61, s25, v[34:35]
	v_lshl_add_u32 v2, v2, 6, v36
	v_ashrrev_i32_e32 v3, 31, v2
	s_waitcnt lgkmcnt(0)
	v_cvt_f32_f16_sdwa v5, v4 dst_sel:DWORD dst_unused:UNUSED_PAD src0_sel:WORD_1
	v_cvt_f32_f16_e32 v4, v4
	v_lshlrev_b64 v[2:3], 3, v[2:3]
	v_mov_b32_e32 v6, s47
	v_add_co_u32_e32 v2, vcc, s46, v2
	v_addc_co_u32_e32 v3, vcc, v6, v3, vcc
	v_pk_add_f32 v[4:5], v[4:5], 0 op_sel_hi:[1,0]
	global_store_dwordx2 v[2:3], v[4:5], off
	v_mov_b32_e32 v2, 0
.LBB25_276:                             ;   in Loop: Header=BB25_15 Depth=1
	s_or_b64 exec, exec, s[6:7]
	v_cmp_gt_i32_e32 vcc, 50, v2
	s_mov_b64 s[84:85], -1
	s_and_saveexec_b64 s[6:7], vcc
; %bb.277:                              ;   in Loop: Header=BB25_15 Depth=1
	v_cmp_eq_u32_e32 vcc, 0, v2
	s_orn2_b64 s[84:85], vcc, exec
; %bb.278:                              ;   in Loop: Header=BB25_15 Depth=1
	s_or_b64 exec, exec, s[6:7]
	s_mov_b64 s[6:7], 0
                                        ; implicit-def: $vgpr2_vgpr3
	s_and_saveexec_b64 vcc, s[84:85]
	s_cbranch_execz .LBB25_306
; %bb.279:                              ;   in Loop: Header=BB25_15 Depth=1
	v_writelane_b32 v254, vcc_lo, 57
	v_writelane_b32 v254, vcc_hi, 58
	;; [unrolled: 37-line block ×3, first 2 shown]
	v_cmp_gt_i32_e32 vcc, s24, v57
	s_and_b64 s[84:85], vcc, s[64:65]
	v_mov_b32_e32 v2, 50
	s_and_saveexec_b64 s[6:7], s[84:85]
	s_cbranch_execz .LBB25_286
; %bb.285:                              ;   in Loop: Header=BB25_15 Depth=1
	v_mad_u64_u32 v[2:3], s[84:85], v57, s25, v[34:35]
	buffer_load_dword v3, off, s[96:99], 0 offset:24 ; 4-byte Folded Reload
	v_lshl_add_u32 v2, v2, 6, v36
	v_mov_b32_e32 v6, s47
	s_waitcnt vmcnt(0)
	ds_read_b32 v4, v3
	v_ashrrev_i32_e32 v3, 31, v2
	v_lshlrev_b64 v[2:3], 3, v[2:3]
	v_add_co_u32_e32 v2, vcc, s46, v2
	s_waitcnt lgkmcnt(0)
	v_cvt_f32_f16_sdwa v5, v4 dst_sel:DWORD dst_unused:UNUSED_PAD src0_sel:WORD_1
	v_cvt_f32_f16_e32 v4, v4
	v_addc_co_u32_e32 v3, vcc, v6, v3, vcc
	v_pk_add_f32 v[4:5], v[4:5], 0 op_sel_hi:[1,0]
	global_store_dwordx2 v[2:3], v[4:5], off
	v_mov_b32_e32 v2, 0
.LBB25_286:                             ;   in Loop: Header=BB25_15 Depth=1
	s_or_b64 exec, exec, s[6:7]
	v_cmp_gt_i32_e32 vcc, 50, v2
	s_mov_b64 s[84:85], -1
	s_and_saveexec_b64 s[6:7], vcc
; %bb.287:                              ;   in Loop: Header=BB25_15 Depth=1
	v_cmp_eq_u32_e32 vcc, 0, v2
	s_orn2_b64 s[84:85], vcc, exec
; %bb.288:                              ;   in Loop: Header=BB25_15 Depth=1
	s_or_b64 exec, exec, s[6:7]
	s_mov_b64 s[6:7], 0
                                        ; implicit-def: $vgpr2_vgpr3
	s_and_saveexec_b64 vcc, s[84:85]
	s_cbranch_execz .LBB25_304
; %bb.289:                              ;   in Loop: Header=BB25_15 Depth=1
	v_writelane_b32 v254, vcc_lo, 61
	v_writelane_b32 v254, vcc_hi, 62
	v_cmp_gt_i32_e32 vcc, s24, v37
	s_and_b64 s[84:85], vcc, s[64:65]
	v_mov_b32_e32 v2, 50
	s_and_saveexec_b64 s[6:7], s[84:85]
	s_cbranch_execz .LBB25_291
; %bb.290:                              ;   in Loop: Header=BB25_15 Depth=1
	ds_read_b32 v4, v187 offset:10880
	v_mad_u64_u32 v[2:3], s[84:85], v37, s25, v[34:35]
	v_lshl_add_u32 v2, v2, 6, v36
	v_ashrrev_i32_e32 v3, 31, v2
	s_waitcnt lgkmcnt(0)
	v_cvt_f32_f16_sdwa v5, v4 dst_sel:DWORD dst_unused:UNUSED_PAD src0_sel:WORD_1
	v_cvt_f32_f16_e32 v4, v4
	v_lshlrev_b64 v[2:3], 3, v[2:3]
	v_mov_b32_e32 v6, s47
	v_add_co_u32_e32 v2, vcc, s46, v2
	v_addc_co_u32_e32 v3, vcc, v6, v3, vcc
	v_pk_add_f32 v[4:5], v[4:5], 0 op_sel_hi:[1,0]
	global_store_dwordx2 v[2:3], v[4:5], off
	v_mov_b32_e32 v2, 0
.LBB25_291:                             ;   in Loop: Header=BB25_15 Depth=1
	s_or_b64 exec, exec, s[6:7]
	v_cmp_gt_i32_e32 vcc, 50, v2
	s_mov_b64 s[84:85], -1
	s_and_saveexec_b64 s[6:7], vcc
; %bb.292:                              ;   in Loop: Header=BB25_15 Depth=1
	v_cmp_eq_u32_e32 vcc, 0, v2
	s_orn2_b64 s[84:85], vcc, exec
; %bb.293:                              ;   in Loop: Header=BB25_15 Depth=1
	s_or_b64 exec, exec, s[6:7]
	s_mov_b64 s[6:7], 0
                                        ; implicit-def: $vgpr2_vgpr3
	s_and_saveexec_b64 vcc, s[84:85]
	s_cbranch_execz .LBB25_303
; %bb.294:                              ;   in Loop: Header=BB25_15 Depth=1
                                        ; implicit-def: $vgpr255 : SGPR spill to VGPR lane
	v_writelane_b32 v254, vcc_lo, 63
	v_writelane_b32 v255, vcc_hi, 0
	v_cmp_gt_i32_e32 vcc, s24, v35
	s_and_b64 s[84:85], vcc, s[64:65]
	v_mov_b32_e32 v2, 50
	s_and_saveexec_b64 s[6:7], s[84:85]
	s_cbranch_execz .LBB25_296
; %bb.295:                              ;   in Loop: Header=BB25_15 Depth=1
	ds_read_b32 v4, v187 offset:11968
	v_mad_u64_u32 v[2:3], s[84:85], v35, s25, v[34:35]
	v_lshl_add_u32 v2, v2, 6, v36
	v_ashrrev_i32_e32 v3, 31, v2
	s_waitcnt lgkmcnt(0)
	v_cvt_f32_f16_sdwa v5, v4 dst_sel:DWORD dst_unused:UNUSED_PAD src0_sel:WORD_1
	v_cvt_f32_f16_e32 v4, v4
	v_lshlrev_b64 v[2:3], 3, v[2:3]
	v_mov_b32_e32 v6, s47
	v_add_co_u32_e32 v2, vcc, s46, v2
	v_addc_co_u32_e32 v3, vcc, v6, v3, vcc
	v_pk_add_f32 v[4:5], v[4:5], 0 op_sel_hi:[1,0]
	global_store_dwordx2 v[2:3], v[4:5], off
	v_mov_b32_e32 v2, 0
.LBB25_296:                             ;   in Loop: Header=BB25_15 Depth=1
	s_or_b64 exec, exec, s[6:7]
	v_cmp_gt_i32_e32 vcc, 50, v2
	s_mov_b64 s[84:85], -1
	s_and_saveexec_b64 s[6:7], vcc
; %bb.297:                              ;   in Loop: Header=BB25_15 Depth=1
	v_cmp_eq_u32_e32 vcc, 0, v2
	s_orn2_b64 s[84:85], vcc, exec
; %bb.298:                              ;   in Loop: Header=BB25_15 Depth=1
	s_or_b64 exec, exec, s[6:7]
	s_mov_b64 s[6:7], 0
                                        ; implicit-def: $vgpr2_vgpr3
	s_and_saveexec_b64 vcc, s[84:85]
	s_cbranch_execz .LBB25_302
; %bb.299:                              ;   in Loop: Header=BB25_15 Depth=1
	v_writelane_b32 v254, vcc_lo, 41
	v_writelane_b32 v254, vcc_hi, 42
	v_cmp_gt_i32_e32 vcc, s24, v204
	s_and_b64 s[64:65], vcc, s[64:65]
                                        ; implicit-def: $vgpr2_vgpr3
	s_and_saveexec_b64 s[84:85], s[64:65]
	s_xor_b64 s[64:65], exec, s[84:85]
	s_cbranch_execz .LBB25_301
; %bb.300:                              ;   in Loop: Header=BB25_15 Depth=1
	ds_read_b32 v2, v187 offset:13056
	s_mov_b64 s[6:7], exec
	s_waitcnt lgkmcnt(0)
	v_cvt_f32_f16_sdwa v3, v2 dst_sel:DWORD dst_unused:UNUSED_PAD src0_sel:WORD_1
	v_cvt_f32_f16_e32 v2, v2
	v_pk_add_f32 v[2:3], v[2:3], 0 op_sel_hi:[1,0]
.LBB25_301:                             ;   in Loop: Header=BB25_15 Depth=1
	s_or_b64 exec, exec, s[64:65]
	v_readlane_b32 vcc_lo, v254, 41
	s_and_b64 s[6:7], s[6:7], exec
	v_readlane_b32 vcc_hi, v254, 42
.LBB25_302:                             ;   in Loop: Header=BB25_15 Depth=1
	s_or_b64 exec, exec, vcc
	v_readlane_b32 vcc_lo, v254, 63
	s_and_b64 s[6:7], s[6:7], exec
	v_readlane_b32 vcc_hi, v255, 0
.LBB25_303:                             ;   in Loop: Header=BB25_15 Depth=1
	s_or_b64 exec, exec, vcc
	v_readlane_b32 vcc_lo, v254, 61
	s_and_b64 s[6:7], s[6:7], exec
	v_readlane_b32 vcc_hi, v254, 62
.LBB25_304:                             ;   in Loop: Header=BB25_15 Depth=1
	s_or_b64 exec, exec, vcc
	v_readlane_b32 vcc_lo, v254, 59
	s_and_b64 s[6:7], s[6:7], exec
	v_readlane_b32 vcc_hi, v254, 60
.LBB25_305:                             ;   in Loop: Header=BB25_15 Depth=1
	s_or_b64 exec, exec, vcc
	v_readlane_b32 vcc_lo, v254, 57
	s_and_b64 s[6:7], s[6:7], exec
	v_readlane_b32 vcc_hi, v254, 58
.LBB25_306:                             ;   in Loop: Header=BB25_15 Depth=1
	s_or_b64 exec, exec, vcc
	v_readlane_b32 vcc_lo, v254, 55
	s_and_b64 s[6:7], s[6:7], exec
	v_readlane_b32 vcc_hi, v254, 56
.LBB25_307:                             ;   in Loop: Header=BB25_15 Depth=1
	s_or_b64 exec, exec, vcc
	s_and_b64 s[6:7], s[6:7], exec
.LBB25_308:                             ;   in Loop: Header=BB25_15 Depth=1
	s_or_b64 exec, exec, s[82:83]
	s_and_b64 s[6:7], s[6:7], exec
.LBB25_309:                             ;   in Loop: Header=BB25_15 Depth=1
	s_or_b64 exec, exec, s[80:81]
	s_and_b64 s[6:7], s[6:7], exec
.LBB25_310:                             ;   in Loop: Header=BB25_15 Depth=1
	s_or_b64 exec, exec, s[78:79]
	s_and_b64 s[6:7], s[6:7], exec
.LBB25_311:                             ;   in Loop: Header=BB25_15 Depth=1
	s_or_b64 exec, exec, s[76:77]
	s_and_b64 s[6:7], s[6:7], exec
.LBB25_312:                             ;   in Loop: Header=BB25_15 Depth=1
	s_or_b64 exec, exec, s[74:75]
	s_and_b64 s[6:7], s[6:7], exec
.LBB25_313:                             ;   in Loop: Header=BB25_15 Depth=1
	s_or_b64 exec, exec, s[72:73]
	s_and_b64 s[6:7], s[6:7], exec
.LBB25_314:                             ;   in Loop: Header=BB25_15 Depth=1
	s_or_b64 exec, exec, s[4:5]
	s_and_b64 s[4:5], s[6:7], exec
.LBB25_315:                             ;   in Loop: Header=BB25_15 Depth=1
	s_or_b64 exec, exec, s[2:3]
	s_and_b64 s[4:5], s[4:5], exec
.LBB25_316:                             ;   in Loop: Header=BB25_15 Depth=1
	s_or_b64 exec, exec, s[54:55]
	s_and_b64 vcc, exec, s[34:35]
	s_cbranch_vccz .LBB25_85
.LBB25_317:                             ;   in Loop: Header=BB25_15 Depth=1
	s_lshl_b32 s80, s94, 4
	v_add_u32_e32 v221, s80, v100
	v_cmp_gt_i32_e64 s[2:3], s24, v221
	v_cmp_gt_i32_e32 vcc, s33, v1
	s_and_b64 s[64:65], s[2:3], vcc
	s_xor_b64 s[2:3], s[64:65], -1
	s_and_saveexec_b64 s[6:7], s[2:3]
	s_xor_b64 s[2:3], exec, s[6:7]
	s_cbranch_execz .LBB25_319
; %bb.318:                              ;   in Loop: Header=BB25_15 Depth=1
	ds_write_b32 v143, v172
.LBB25_319:                             ;   in Loop: Header=BB25_15 Depth=1
	s_andn2_saveexec_b64 s[6:7], s[2:3]
	s_cbranch_execz .LBB25_321
; %bb.320:                              ;   in Loop: Header=BB25_15 Depth=1
	v_mad_u64_u32 v[2:3], s[2:3], v221, s53, v[62:63]
	v_ashrrev_i32_e32 v3, 31, v2
	v_lshlrev_b64 v[2:3], 3, v[2:3]
	v_mov_b32_e32 v1, s93
	v_add_co_u32_e64 v2, s[2:3], s92, v2
	v_addc_co_u32_e64 v3, s[2:3], v1, v3, s[2:3]
	global_load_dwordx2 v[2:3], v[2:3], off
	s_waitcnt vmcnt(0)
	v_cvt_f16_f32_e32 v1, v2
	v_cvt_f16_f32_e32 v2, v3
	v_pack_b32_f16 v1, v1, v2
	v_pk_mul_f16 v1, v99, v1
	ds_write_b32 v143, v1
.LBB25_321:                             ;   in Loop: Header=BB25_15 Depth=1
	s_or_b64 exec, exec, s[6:7]
	v_add_u32_e32 v220, s80, v182
	v_cmp_gt_i32_e64 s[2:3], s24, v220
	s_and_b64 s[34:35], s[2:3], vcc
	s_xor_b64 s[2:3], s[34:35], -1
	s_and_saveexec_b64 s[6:7], s[2:3]
	s_xor_b64 s[2:3], exec, s[6:7]
	s_cbranch_execz .LBB25_323
; %bb.322:                              ;   in Loop: Header=BB25_15 Depth=1
	ds_write_b32 v183, v172
.LBB25_323:                             ;   in Loop: Header=BB25_15 Depth=1
	s_andn2_saveexec_b64 s[6:7], s[2:3]
	s_cbranch_execz .LBB25_325
; %bb.324:                              ;   in Loop: Header=BB25_15 Depth=1
	v_mad_u64_u32 v[2:3], s[2:3], v220, s53, v[62:63]
	v_ashrrev_i32_e32 v3, 31, v2
	v_lshlrev_b64 v[2:3], 3, v[2:3]
	v_mov_b32_e32 v1, s93
	v_add_co_u32_e64 v2, s[2:3], s92, v2
	v_addc_co_u32_e64 v3, s[2:3], v1, v3, s[2:3]
	global_load_dwordx2 v[2:3], v[2:3], off
	s_waitcnt vmcnt(0)
	v_cvt_f16_f32_e32 v1, v2
	v_cvt_f16_f32_e32 v2, v3
	v_pack_b32_f16 v1, v1, v2
	v_pk_mul_f16 v1, v99, v1
	ds_write_b32 v183, v1
.LBB25_325:                             ;   in Loop: Header=BB25_15 Depth=1
	s_or_b64 exec, exec, s[6:7]
	v_add_u32_e32 v219, s80, v184
	v_cmp_gt_i32_e64 s[2:3], s24, v219
	;; [unrolled: 28-line block ×4, first 2 shown]
	s_and_b64 s[78:79], s[2:3], vcc
	s_xor_b64 s[2:3], s[78:79], -1
	s_and_saveexec_b64 s[6:7], s[2:3]
	s_xor_b64 s[2:3], exec, s[6:7]
	s_cbranch_execz .LBB25_335
; %bb.334:                              ;   in Loop: Header=BB25_15 Depth=1
	ds_write_b32 v187, v172 offset:1088
.LBB25_335:                             ;   in Loop: Header=BB25_15 Depth=1
	s_andn2_saveexec_b64 s[6:7], s[2:3]
	s_cbranch_execz .LBB25_337
; %bb.336:                              ;   in Loop: Header=BB25_15 Depth=1
	v_mad_u64_u32 v[2:3], s[2:3], v217, s53, v[62:63]
	v_ashrrev_i32_e32 v3, 31, v2
	v_lshlrev_b64 v[2:3], 3, v[2:3]
	v_mov_b32_e32 v1, s93
	v_add_co_u32_e64 v2, s[2:3], s92, v2
	v_addc_co_u32_e64 v3, s[2:3], v1, v3, s[2:3]
	global_load_dwordx2 v[2:3], v[2:3], off
	s_waitcnt vmcnt(0)
	v_cvt_f16_f32_e32 v1, v2
	v_cvt_f16_f32_e32 v2, v3
	v_pack_b32_f16 v1, v1, v2
	v_pk_mul_f16 v1, v99, v1
	ds_write_b32 v187, v1 offset:1088
.LBB25_337:                             ;   in Loop: Header=BB25_15 Depth=1
	s_or_b64 exec, exec, s[6:7]
	v_add_u32_e32 v216, s80, v189
	v_cmp_gt_i32_e64 s[2:3], s24, v216
	s_and_b64 s[76:77], s[2:3], vcc
	s_xor_b64 s[2:3], s[76:77], -1
	s_and_saveexec_b64 s[6:7], s[2:3]
	s_xor_b64 s[2:3], exec, s[6:7]
	s_cbranch_execz .LBB25_339
; %bb.338:                              ;   in Loop: Header=BB25_15 Depth=1
	ds_write_b32 v187, v172 offset:2176
.LBB25_339:                             ;   in Loop: Header=BB25_15 Depth=1
	s_andn2_saveexec_b64 s[6:7], s[2:3]
	s_cbranch_execz .LBB25_341
; %bb.340:                              ;   in Loop: Header=BB25_15 Depth=1
	v_mad_u64_u32 v[2:3], s[2:3], v216, s53, v[62:63]
	v_ashrrev_i32_e32 v3, 31, v2
	v_lshlrev_b64 v[2:3], 3, v[2:3]
	v_mov_b32_e32 v1, s93
	v_add_co_u32_e64 v2, s[2:3], s92, v2
	v_addc_co_u32_e64 v3, s[2:3], v1, v3, s[2:3]
	global_load_dwordx2 v[2:3], v[2:3], off
	s_waitcnt vmcnt(0)
	v_cvt_f16_f32_e32 v1, v2
	v_cvt_f16_f32_e32 v2, v3
	v_pack_b32_f16 v1, v1, v2
	v_pk_mul_f16 v1, v99, v1
	ds_write_b32 v187, v1 offset:2176
.LBB25_341:                             ;   in Loop: Header=BB25_15 Depth=1
	s_or_b64 exec, exec, s[6:7]
	v_add_u32_e32 v215, s80, v190
	v_cmp_gt_i32_e64 s[2:3], s24, v215
	;; [unrolled: 28-line block ×5, first 2 shown]
	s_and_b64 s[2:3], s[2:3], vcc
	v_writelane_b32 v254, s2, 43
	v_writelane_b32 v254, s3, 44
	s_xor_b64 s[2:3], s[2:3], -1
	s_and_saveexec_b64 s[6:7], s[2:3]
	s_xor_b64 s[2:3], exec, s[6:7]
	s_cbranch_execz .LBB25_355
; %bb.354:                              ;   in Loop: Header=BB25_15 Depth=1
	ds_write_b32 v187, v172 offset:6528
.LBB25_355:                             ;   in Loop: Header=BB25_15 Depth=1
	s_andn2_saveexec_b64 s[6:7], s[2:3]
	s_cbranch_execz .LBB25_357
; %bb.356:                              ;   in Loop: Header=BB25_15 Depth=1
	v_mad_u64_u32 v[2:3], s[2:3], v212, s53, v[62:63]
	v_ashrrev_i32_e32 v3, 31, v2
	v_lshlrev_b64 v[2:3], 3, v[2:3]
	v_mov_b32_e32 v1, s93
	v_add_co_u32_e64 v2, s[2:3], s92, v2
	v_addc_co_u32_e64 v3, s[2:3], v1, v3, s[2:3]
	global_load_dwordx2 v[2:3], v[2:3], off
	s_waitcnt vmcnt(0)
	v_cvt_f16_f32_e32 v1, v2
	v_cvt_f16_f32_e32 v2, v3
	v_pack_b32_f16 v1, v1, v2
	v_pk_mul_f16 v1, v99, v1
	ds_write_b32 v187, v1 offset:6528
.LBB25_357:                             ;   in Loop: Header=BB25_15 Depth=1
	s_or_b64 exec, exec, s[6:7]
	v_add_u32_e32 v211, s80, v194
	v_cmp_gt_i32_e64 s[2:3], s24, v211
	s_and_b64 s[2:3], s[2:3], vcc
	v_writelane_b32 v254, s2, 45
	v_writelane_b32 v254, s3, 46
	s_xor_b64 s[2:3], s[2:3], -1
	s_and_saveexec_b64 s[6:7], s[2:3]
	s_xor_b64 s[2:3], exec, s[6:7]
	s_cbranch_execz .LBB25_359
; %bb.358:                              ;   in Loop: Header=BB25_15 Depth=1
	ds_write_b32 v187, v172 offset:7616
.LBB25_359:                             ;   in Loop: Header=BB25_15 Depth=1
	s_andn2_saveexec_b64 s[6:7], s[2:3]
	s_cbranch_execz .LBB25_361
; %bb.360:                              ;   in Loop: Header=BB25_15 Depth=1
	v_mad_u64_u32 v[2:3], s[2:3], v211, s53, v[62:63]
	v_ashrrev_i32_e32 v3, 31, v2
	v_lshlrev_b64 v[2:3], 3, v[2:3]
	v_mov_b32_e32 v1, s93
	v_add_co_u32_e64 v2, s[2:3], s92, v2
	v_addc_co_u32_e64 v3, s[2:3], v1, v3, s[2:3]
	global_load_dwordx2 v[2:3], v[2:3], off
	s_waitcnt vmcnt(0)
	v_cvt_f16_f32_e32 v1, v2
	v_cvt_f16_f32_e32 v2, v3
	v_pack_b32_f16 v1, v1, v2
	v_pk_mul_f16 v1, v99, v1
	ds_write_b32 v187, v1 offset:7616
.LBB25_361:                             ;   in Loop: Header=BB25_15 Depth=1
	s_or_b64 exec, exec, s[6:7]
	v_add_u32_e32 v210, s80, v195
	v_cmp_gt_i32_e64 s[2:3], s24, v210
	;; [unrolled: 30-line block ×6, first 2 shown]
	s_and_b64 s[2:3], s[2:3], vcc
	s_xor_b64 s[6:7], s[2:3], -1
	s_and_saveexec_b64 s[82:83], s[6:7]
	s_xor_b64 s[6:7], exec, s[82:83]
	s_cbranch_execz .LBB25_379
; %bb.378:                              ;   in Loop: Header=BB25_15 Depth=1
	ds_write_b32 v187, v172 offset:13056
.LBB25_379:                             ;   in Loop: Header=BB25_15 Depth=1
	s_andn2_saveexec_b64 s[6:7], s[6:7]
	s_cbranch_execz .LBB25_381
; %bb.380:                              ;   in Loop: Header=BB25_15 Depth=1
	v_mad_u64_u32 v[2:3], s[82:83], v204, s53, v[62:63]
	v_ashrrev_i32_e32 v3, 31, v2
	v_lshlrev_b64 v[2:3], 3, v[2:3]
	v_mov_b32_e32 v1, s93
	v_add_co_u32_e32 v2, vcc, s92, v2
	v_addc_co_u32_e32 v3, vcc, v1, v3, vcc
	global_load_dwordx2 v[2:3], v[2:3], off
	s_waitcnt vmcnt(0)
	v_cvt_f16_f32_e32 v1, v2
	v_cvt_f16_f32_e32 v2, v3
	v_pack_b32_f16 v1, v1, v2
	v_pk_mul_f16 v1, v99, v1
	ds_write_b32 v187, v1 offset:13056
.LBB25_381:                             ;   in Loop: Header=BB25_15 Depth=1
	s_or_b64 exec, exec, s[6:7]
	s_waitcnt lgkmcnt(0)
	s_barrier
	ds_read2_b64 v[14:17], v171 offset1:4
	ds_read2_b64 v[10:13], v171 offset0:8 offset1:12
	ds_read2_b64 v[6:9], v171 offset0:16 offset1:20
	;; [unrolled: 1-line block ×3, first 2 shown]
	s_cmp_gt_i32 s41, 1
	s_waitcnt lgkmcnt(0)
	s_barrier
	s_cbranch_scc1 .LBB25_383
; %bb.382:                              ;   in Loop: Header=BB25_15 Depth=1
	v_add_u32_e32 v1, s80, v102
	v_readlane_b32 s82, v254, 26
	v_mul_hi_u32 v18, s82, v1
	v_readlane_b32 s83, v254, 27
	v_add_u32_e32 v18, v1, v18
	v_lshrrev_b32_e32 v18, s83, v18
	v_mul_lo_u32 v18, v18, s24
	v_sub_u32_e32 v1, v1, v18
	v_mad_i64_i32 v[66:67], s[6:7], v1, s42, 0
	v_add_u32_e32 v1, s80, v174
	v_mul_hi_u32 v18, s82, v1
	v_add_u32_e32 v18, v1, v18
	v_lshrrev_b32_e32 v18, s83, v18
	v_mul_lo_u32 v18, v18, s24
	v_sub_u32_e32 v1, v1, v18
	v_mad_i64_i32 v[68:69], s[6:7], v1, s42, 0
	s_mov_b64 vcc, 0
	s_mov_b32 s6, 0xfeffffff
	s_mov_b32 s7, 0
	s_mov_b32 s92, 0
	s_branch .LBB25_384
.LBB25_383:                             ;   in Loop: Header=BB25_15 Depth=1
	s_mov_b64 vcc, -1
                                        ; implicit-def: $sgpr92
                                        ; implicit-def: $sgpr7
                                        ; implicit-def: $sgpr6
                                        ; implicit-def: $vgpr66_vgpr67
                                        ; implicit-def: $vgpr68_vgpr69
.LBB25_384:                             ;   in Loop: Header=BB25_15 Depth=1
	s_andn2_b64 vcc, exec, vcc
	v_mov_b32_e32 v222, s92
	v_mov_b32_e32 v31, s7
	;; [unrolled: 1-line block ×18, first 2 shown]
	s_cbranch_vccnz .LBB25_452
; %bb.385:                              ;   in Loop: Header=BB25_15 Depth=1
	v_add_u32_e32 v1, s80, v102
	v_readlane_b32 s82, v254, 26
	v_mul_hi_u32 v18, s82, v1
	v_readlane_b32 s83, v254, 27
	v_add_u32_e32 v18, v1, v18
	v_lshrrev_b32_e32 v18, s83, v18
	v_mul_lo_u32 v18, v18, s24
	v_sub_u32_e32 v1, v1, v18
	v_add_u32_e32 v18, s80, v174
	v_mul_hi_u32 v19, s82, v18
	v_add_u32_e32 v19, v18, v19
	v_lshrrev_b32_e32 v19, s83, v19
	v_mul_lo_u32 v19, v19, s24
	v_sub_u32_e32 v20, v18, v19
	v_and_b32_e32 v18, 64, v170
	v_add_u32_e32 v18, 64, v18
	v_xor_b32_e32 v19, 32, v170
	v_cmp_lt_i32_e32 vcc, v19, v18
	v_cndmask_b32_e32 v19, v170, v19, vcc
	v_mad_i64_i32 v[66:67], s[6:7], v1, s42, 0
	v_mad_i64_i32 v[68:69], s[6:7], v20, s42, 0
	v_lshlrev_b32_e32 v234, 2, v19
	v_xor_b32_e32 v19, 16, v170
	v_cmp_lt_i32_e32 vcc, v19, v18
	v_readlane_b32 s6, v254, 37
	v_cndmask_b32_e32 v18, v170, v19, vcc
	v_readlane_b32 s7, v254, 38
	s_mov_b32 s80, s6
	v_lshlrev_b32_e32 v235, 2, v18
	v_mad_i64_i32 v[18:19], s[6:7], s80, v1, v[64:65]
	v_add_co_u32_e32 v70, vcc, v151, v18
	v_addc_co_u32_e32 v71, vcc, v152, v19, vcc
	v_mad_i64_i32 v[18:19], s[6:7], s80, v20, v[64:65]
	s_add_i32 s92, s41, -1
	v_readlane_b32 s6, v254, 40
	v_add_co_u32_e32 v64, vcc, v151, v18
	s_add_u32 s6, s6, s90
	v_addc_co_u32_e32 v65, vcc, v152, v19, vcc
	s_addc_u32 s7, s58, s91
	v_mov_b32_e32 v1, s7
	v_add_co_u32_e32 v72, vcc, s6, v153
	v_addc_co_u32_e32 v1, vcc, v154, v1, vcc
	v_mov_b32_e32 v18, s7
	v_add_co_u32_e32 v74, vcc, s6, v155
	v_addc_co_u32_e32 v35, vcc, v156, v18, vcc
	v_add_co_u32_e32 v76, vcc, s6, v157
	v_addc_co_u32_e32 v37, vcc, v158, v18, vcc
	v_add_co_u32_e32 v78, vcc, s6, v159
	v_readlane_b32 s6, v254, 39
	s_add_u32 s6, s6, s89
	v_addc_co_u32_e32 v57, vcc, v160, v18, vcc
	s_addc_u32 s7, s56, s88
	v_mov_b32_e32 v18, s7
	v_add_co_u32_e32 v80, vcc, s6, v161
	v_addc_co_u32_e32 v59, vcc, v162, v18, vcc
	v_add_co_u32_e32 v82, vcc, s6, v163
	v_addc_co_u32_e32 v61, vcc, v164, v18, vcc
	;; [unrolled: 2-line block ×3, first 2 shown]
	v_add_co_u32_e32 v86, vcc, s6, v167
	v_mov_b32_e32 v238, 0
	v_addc_co_u32_e32 v73, vcc, v168, v18, vcc
	v_mov_b32_e32 v240, 0
	v_mov_b32_e32 v241, 0xfeffffff
	s_mov_b32 s41, s92
	v_mov_b32_e32 v239, 0
	v_mov_b32_e32 v237, 0
	;; [unrolled: 1-line block ×15, first 2 shown]
.LBB25_386:                             ;   Parent Loop BB25_15 Depth=1
                                        ; =>  This Inner Loop Header: Depth=2
	global_load_dword v18, v[70:71], off
	v_add_u32_e32 v19, v175, v173
	v_add_u32_e32 v30, 0x1000, v101
	;; [unrolled: 1-line block ×3, first 2 shown]
	s_waitcnt vmcnt(0)
	ds_write_b32 v19, v18 offset:17408
	global_load_dword v18, v[64:65], off
	s_waitcnt vmcnt(0)
	ds_write_b32 v19, v18 offset:18560
	v_add_co_u32_e32 v18, vcc, v80, v58
	v_addc_co_u32_e32 v19, vcc, 0, v59, vcc
	global_load_dwordx4 v[18:21], v[18:19], off
	s_waitcnt vmcnt(0)
	ds_write_b128 v103, v[18:21]
	v_add_co_u32_e32 v18, vcc, v82, v58
	v_addc_co_u32_e32 v19, vcc, 0, v61, vcc
	global_load_dwordx4 v[18:21], v[18:19], off
	s_waitcnt vmcnt(0)
	ds_write_b128 v176, v[18:21]
	;; [unrolled: 5-line block ×4, first 2 shown]
	s_waitcnt lgkmcnt(0)
	s_barrier
	ds_read2_b64 v[18:21], v101 offset1:4
	s_waitcnt lgkmcnt(0)
	v_mfma_f32_16x16x16f16 v[22:25], v[18:19], v[14:15], 0
	v_mfma_f32_16x16x16f16 v[18:21], v[20:21], v[16:17], v[22:25]
	s_nop 7
	s_nop 1
	ds_read2_b64 v[22:25], v101 offset0:8 offset1:12
	s_waitcnt lgkmcnt(0)
	v_mfma_f32_16x16x16f16 v[18:21], v[22:23], v[10:11], v[18:21]
	v_mfma_f32_16x16x16f16 v[18:21], v[24:25], v[12:13], v[18:21]
	ds_read2_b64 v[22:25], v101 offset0:16 offset1:20
	s_waitcnt lgkmcnt(0)
	v_mfma_f32_16x16x16f16 v[18:21], v[22:23], v[6:7], v[18:21]
	v_mfma_f32_16x16x16f16 v[18:21], v[24:25], v[8:9], v[18:21]
	;; [unrolled: 4-line block ×3, first 2 shown]
	ds_read2_b64 v[22:25], v30 offset0:32 offset1:36
	s_waitcnt lgkmcnt(0)
	v_mfma_f32_16x16x16f16 v[26:29], v[22:23], v[14:15], 0
	s_nop 7
	v_cmp_nlt_f32_e64 s[6:7], |v18|, s43
	v_mfma_f32_16x16x16f16 v[22:25], v[24:25], v[16:17], v[26:29]
	s_nop 6
	ds_read2_b64 v[26:29], v30 offset0:40 offset1:44
	s_waitcnt lgkmcnt(0)
	v_mfma_f32_16x16x16f16 v[22:25], v[26:27], v[10:11], v[22:25]
	v_mfma_f32_16x16x16f16 v[22:25], v[28:29], v[12:13], v[22:25]
	ds_read2_b64 v[26:29], v30 offset0:48 offset1:52
	s_waitcnt lgkmcnt(0)
	v_mfma_f32_16x16x16f16 v[22:25], v[26:27], v[6:7], v[22:25]
	v_mfma_f32_16x16x16f16 v[22:25], v[28:29], v[8:9], v[22:25]
	;; [unrolled: 4-line block ×4, first 2 shown]
	s_nop 7
	s_nop 1
	ds_read2_b64 v[30:33], v145 offset0:72 offset1:76
	s_waitcnt lgkmcnt(0)
	v_mfma_f32_16x16x16f16 v[26:29], v[30:31], v[10:11], v[26:29]
	v_mfma_f32_16x16x16f16 v[26:29], v[32:33], v[12:13], v[26:29]
	ds_read2_b64 v[30:33], v145 offset0:80 offset1:84
	s_waitcnt lgkmcnt(0)
	v_mfma_f32_16x16x16f16 v[26:29], v[30:31], v[6:7], v[26:29]
	v_mfma_f32_16x16x16f16 v[26:29], v[32:33], v[8:9], v[26:29]
	ds_read2_b64 v[30:33], v145 offset0:88 offset1:92
	v_add_u32_e32 v145, 0x3000, v101
	s_waitcnt lgkmcnt(0)
	v_mfma_f32_16x16x16f16 v[26:29], v[30:31], v[2:3], v[26:29]
	v_mfma_f32_16x16x16f16 v[26:29], v[32:33], v[4:5], v[26:29]
	ds_read2_b64 v[30:33], v145 offset0:96 offset1:100
	s_waitcnt lgkmcnt(0)
	v_mfma_f32_16x16x16f16 v[242:245], v[30:31], v[14:15], 0
	v_mfma_f32_16x16x16f16 v[30:33], v[32:33], v[16:17], v[242:245]
	s_nop 7
	s_nop 1
	ds_read2_b64 v[242:245], v145 offset0:104 offset1:108
	s_waitcnt lgkmcnt(0)
	v_mfma_f32_16x16x16f16 v[30:33], v[242:243], v[10:11], v[30:33]
	v_mfma_f32_16x16x16f16 v[30:33], v[244:245], v[12:13], v[30:33]
	ds_read2_b64 v[242:245], v145 offset0:112 offset1:116
	s_waitcnt lgkmcnt(0)
	v_mfma_f32_16x16x16f16 v[30:33], v[242:243], v[6:7], v[30:33]
	v_mfma_f32_16x16x16f16 v[30:33], v[244:245], v[8:9], v[30:33]
	ds_read2_b64 v[242:245], v145 offset0:120 offset1:124
	s_waitcnt lgkmcnt(0)
	s_barrier
	v_mfma_f32_16x16x16f16 v[30:33], v[242:243], v[2:3], v[30:33]
                                        ; implicit-def: $vgpr242
	v_mfma_f32_16x16x16f16 v[30:33], v[244:245], v[4:5], v[30:33]
	s_and_saveexec_b64 s[80:81], s[6:7]
	s_xor_b64 s[6:7], exec, s[80:81]
	s_cbranch_execz .LBB25_388
; %bb.387:                              ;   in Loop: Header=BB25_386 Depth=2
	v_add_f32_e64 v145, |v18|, |v18|
	v_mul_f32_e32 v146, 0x3fb8aa3b, v145
	v_rndne_f32_e32 v149, v146
	v_sub_f32_e32 v150, v146, v149
	v_fma_f32 v146, v145, s50, -v146
	v_fmac_f32_e32 v146, 0x32a5705f, v145
	v_add_f32_e32 v146, v150, v146
	v_cvt_i32_f32_e32 v149, v149
	v_exp_f32_e32 v146, v146
	v_cmp_ngt_f32_e32 vcc, s51, v145
	v_ldexp_f32 v146, v146, v149
	v_cndmask_b32_e32 v146, 0, v146, vcc
	v_cmp_nlt_f32_e32 vcc, s30, v145
	v_cndmask_b32_e32 v145, v203, v146, vcc
	v_add_f32_e32 v145, 1.0, v145
	v_rcp_f32_e32 v145, v145
	v_fma_f32 v242, v145, -2.0, 1.0
.LBB25_388:                             ;   in Loop: Header=BB25_386 Depth=2
	s_andn2_saveexec_b64 s[6:7], s[6:7]
; %bb.389:                              ;   in Loop: Header=BB25_386 Depth=2
	v_mul_f32_e32 v145, v18, v18
	v_mov_b32_e32 v146, 0x3ca908c9
	v_fmac_f32_e32 v146, 0xbbbac73d, v145
	v_fma_f32 v146, v145, v146, v200
	v_fma_f32 v146, v145, v146, v201
	;; [unrolled: 1-line block ×3, first 2 shown]
	v_mul_f32_e64 v146, |v18|, v146
	v_fma_f32 v242, v145, v146, |v18|
; %bb.390:                              ;   in Loop: Header=BB25_386 Depth=2
	s_or_b64 exec, exec, s[6:7]
	v_cmp_nlt_f32_e64 s[6:7], |v19|, s43
                                        ; implicit-def: $vgpr243
	s_and_saveexec_b64 s[80:81], s[6:7]
	s_xor_b64 s[6:7], exec, s[80:81]
	s_cbranch_execz .LBB25_392
; %bb.391:                              ;   in Loop: Header=BB25_386 Depth=2
	v_add_f32_e64 v145, |v19|, |v19|
	v_mul_f32_e32 v146, 0x3fb8aa3b, v145
	v_rndne_f32_e32 v149, v146
	v_sub_f32_e32 v150, v146, v149
	v_fma_f32 v146, v145, s50, -v146
	v_fmac_f32_e32 v146, 0x32a5705f, v145
	v_add_f32_e32 v146, v150, v146
	v_cvt_i32_f32_e32 v149, v149
	v_exp_f32_e32 v146, v146
	v_cmp_ngt_f32_e32 vcc, s51, v145
	v_ldexp_f32 v146, v146, v149
	v_cndmask_b32_e32 v146, 0, v146, vcc
	v_cmp_nlt_f32_e32 vcc, s30, v145
	v_cndmask_b32_e32 v145, v203, v146, vcc
	v_add_f32_e32 v145, 1.0, v145
	v_rcp_f32_e32 v145, v145
	v_fma_f32 v243, v145, -2.0, 1.0
.LBB25_392:                             ;   in Loop: Header=BB25_386 Depth=2
	s_andn2_saveexec_b64 s[6:7], s[6:7]
; %bb.393:                              ;   in Loop: Header=BB25_386 Depth=2
	v_mul_f32_e32 v145, v19, v19
	v_mov_b32_e32 v146, 0x3ca908c9
	v_fmac_f32_e32 v146, 0xbbbac73d, v145
	v_fma_f32 v146, v145, v146, v200
	v_fma_f32 v146, v145, v146, v201
	;; [unrolled: 1-line block ×3, first 2 shown]
	v_mul_f32_e64 v146, |v19|, v146
	v_fma_f32 v243, v145, v146, |v19|
; %bb.394:                              ;   in Loop: Header=BB25_386 Depth=2
	s_or_b64 exec, exec, s[6:7]
	v_cmp_nlt_f32_e64 s[6:7], |v20|, s43
                                        ; implicit-def: $vgpr244
	s_and_saveexec_b64 s[80:81], s[6:7]
	s_xor_b64 s[6:7], exec, s[80:81]
	s_cbranch_execz .LBB25_396
; %bb.395:                              ;   in Loop: Header=BB25_386 Depth=2
	v_add_f32_e64 v145, |v20|, |v20|
	v_mul_f32_e32 v146, 0x3fb8aa3b, v145
	v_rndne_f32_e32 v149, v146
	v_sub_f32_e32 v150, v146, v149
	v_fma_f32 v146, v145, s50, -v146
	v_fmac_f32_e32 v146, 0x32a5705f, v145
	v_add_f32_e32 v146, v150, v146
	v_cvt_i32_f32_e32 v149, v149
	v_exp_f32_e32 v146, v146
	v_cmp_ngt_f32_e32 vcc, s51, v145
	v_ldexp_f32 v146, v146, v149
	v_cndmask_b32_e32 v146, 0, v146, vcc
	v_cmp_nlt_f32_e32 vcc, s30, v145
	v_cndmask_b32_e32 v145, v203, v146, vcc
	v_add_f32_e32 v145, 1.0, v145
	v_rcp_f32_e32 v145, v145
	v_fma_f32 v244, v145, -2.0, 1.0
.LBB25_396:                             ;   in Loop: Header=BB25_386 Depth=2
	s_andn2_saveexec_b64 s[6:7], s[6:7]
; %bb.397:                              ;   in Loop: Header=BB25_386 Depth=2
	v_mul_f32_e32 v145, v20, v20
	v_mov_b32_e32 v146, 0x3ca908c9
	v_fmac_f32_e32 v146, 0xbbbac73d, v145
	v_fma_f32 v146, v145, v146, v200
	v_fma_f32 v146, v145, v146, v201
	;; [unrolled: 1-line block ×3, first 2 shown]
	v_mul_f32_e64 v146, |v20|, v146
	v_fma_f32 v244, v145, v146, |v20|
; %bb.398:                              ;   in Loop: Header=BB25_386 Depth=2
	s_or_b64 exec, exec, s[6:7]
	v_cmp_nlt_f32_e64 s[6:7], |v21|, s43
                                        ; implicit-def: $vgpr245
	s_and_saveexec_b64 s[80:81], s[6:7]
	s_xor_b64 s[6:7], exec, s[80:81]
	s_cbranch_execz .LBB25_400
; %bb.399:                              ;   in Loop: Header=BB25_386 Depth=2
	v_add_f32_e64 v145, |v21|, |v21|
	v_mul_f32_e32 v146, 0x3fb8aa3b, v145
	v_rndne_f32_e32 v149, v146
	v_sub_f32_e32 v150, v146, v149
	v_fma_f32 v146, v145, s50, -v146
	v_fmac_f32_e32 v146, 0x32a5705f, v145
	v_add_f32_e32 v146, v150, v146
	v_cvt_i32_f32_e32 v149, v149
	v_exp_f32_e32 v146, v146
	v_cmp_ngt_f32_e32 vcc, s51, v145
	v_ldexp_f32 v146, v146, v149
	v_cndmask_b32_e32 v146, 0, v146, vcc
	v_cmp_nlt_f32_e32 vcc, s30, v145
	v_cndmask_b32_e32 v145, v203, v146, vcc
	v_add_f32_e32 v145, 1.0, v145
	v_rcp_f32_e32 v145, v145
	v_fma_f32 v245, v145, -2.0, 1.0
.LBB25_400:                             ;   in Loop: Header=BB25_386 Depth=2
	s_andn2_saveexec_b64 s[6:7], s[6:7]
; %bb.401:                              ;   in Loop: Header=BB25_386 Depth=2
	v_mul_f32_e32 v145, v21, v21
	v_mov_b32_e32 v146, 0x3ca908c9
	v_fmac_f32_e32 v146, 0xbbbac73d, v145
	v_fma_f32 v146, v145, v146, v200
	v_fma_f32 v146, v145, v146, v201
	;; [unrolled: 1-line block ×3, first 2 shown]
	v_mul_f32_e64 v146, |v21|, v146
	v_fma_f32 v245, v145, v146, |v21|
; %bb.402:                              ;   in Loop: Header=BB25_386 Depth=2
	s_or_b64 exec, exec, s[6:7]
	v_cmp_nlt_f32_e64 s[6:7], |v22|, s43
                                        ; implicit-def: $vgpr246
	s_and_saveexec_b64 s[80:81], s[6:7]
	s_xor_b64 s[6:7], exec, s[80:81]
	s_cbranch_execz .LBB25_404
; %bb.403:                              ;   in Loop: Header=BB25_386 Depth=2
	v_add_f32_e64 v145, |v22|, |v22|
	v_mul_f32_e32 v146, 0x3fb8aa3b, v145
	v_rndne_f32_e32 v149, v146
	v_sub_f32_e32 v150, v146, v149
	v_fma_f32 v146, v145, s50, -v146
	v_fmac_f32_e32 v146, 0x32a5705f, v145
	v_add_f32_e32 v146, v150, v146
	v_cvt_i32_f32_e32 v149, v149
	v_exp_f32_e32 v146, v146
	v_cmp_ngt_f32_e32 vcc, s51, v145
	v_ldexp_f32 v146, v146, v149
	v_cndmask_b32_e32 v146, 0, v146, vcc
	v_cmp_nlt_f32_e32 vcc, s30, v145
	v_cndmask_b32_e32 v145, v203, v146, vcc
	v_add_f32_e32 v145, 1.0, v145
	v_rcp_f32_e32 v145, v145
	v_fma_f32 v246, v145, -2.0, 1.0
.LBB25_404:                             ;   in Loop: Header=BB25_386 Depth=2
	s_andn2_saveexec_b64 s[6:7], s[6:7]
; %bb.405:                              ;   in Loop: Header=BB25_386 Depth=2
	v_mul_f32_e32 v145, v22, v22
	v_mov_b32_e32 v146, 0x3ca908c9
	v_fmac_f32_e32 v146, 0xbbbac73d, v145
	v_fma_f32 v146, v145, v146, v200
	v_fma_f32 v146, v145, v146, v201
	;; [unrolled: 1-line block ×3, first 2 shown]
	v_mul_f32_e64 v146, |v22|, v146
	v_fma_f32 v246, v145, v146, |v22|
; %bb.406:                              ;   in Loop: Header=BB25_386 Depth=2
	s_or_b64 exec, exec, s[6:7]
	v_cmp_nlt_f32_e64 s[6:7], |v23|, s43
                                        ; implicit-def: $vgpr247
	s_and_saveexec_b64 s[80:81], s[6:7]
	s_xor_b64 s[6:7], exec, s[80:81]
	s_cbranch_execz .LBB25_408
; %bb.407:                              ;   in Loop: Header=BB25_386 Depth=2
	v_add_f32_e64 v145, |v23|, |v23|
	v_mul_f32_e32 v146, 0x3fb8aa3b, v145
	v_rndne_f32_e32 v149, v146
	v_sub_f32_e32 v150, v146, v149
	v_fma_f32 v146, v145, s50, -v146
	v_fmac_f32_e32 v146, 0x32a5705f, v145
	v_add_f32_e32 v146, v150, v146
	v_cvt_i32_f32_e32 v149, v149
	v_exp_f32_e32 v146, v146
	v_cmp_ngt_f32_e32 vcc, s51, v145
	v_ldexp_f32 v146, v146, v149
	v_cndmask_b32_e32 v146, 0, v146, vcc
	v_cmp_nlt_f32_e32 vcc, s30, v145
	v_cndmask_b32_e32 v145, v203, v146, vcc
	v_add_f32_e32 v145, 1.0, v145
	v_rcp_f32_e32 v145, v145
	v_fma_f32 v247, v145, -2.0, 1.0
.LBB25_408:                             ;   in Loop: Header=BB25_386 Depth=2
	s_andn2_saveexec_b64 s[6:7], s[6:7]
; %bb.409:                              ;   in Loop: Header=BB25_386 Depth=2
	v_mul_f32_e32 v145, v23, v23
	v_mov_b32_e32 v146, 0x3ca908c9
	v_fmac_f32_e32 v146, 0xbbbac73d, v145
	v_fma_f32 v146, v145, v146, v200
	v_fma_f32 v146, v145, v146, v201
	;; [unrolled: 1-line block ×3, first 2 shown]
	v_mul_f32_e64 v146, |v23|, v146
	v_fma_f32 v247, v145, v146, |v23|
; %bb.410:                              ;   in Loop: Header=BB25_386 Depth=2
	s_or_b64 exec, exec, s[6:7]
	v_cmp_nlt_f32_e64 s[6:7], |v24|, s43
                                        ; implicit-def: $vgpr248
	s_and_saveexec_b64 s[80:81], s[6:7]
	s_xor_b64 s[6:7], exec, s[80:81]
	s_cbranch_execz .LBB25_412
; %bb.411:                              ;   in Loop: Header=BB25_386 Depth=2
	v_add_f32_e64 v145, |v24|, |v24|
	v_mul_f32_e32 v146, 0x3fb8aa3b, v145
	v_rndne_f32_e32 v149, v146
	v_sub_f32_e32 v150, v146, v149
	v_fma_f32 v146, v145, s50, -v146
	v_fmac_f32_e32 v146, 0x32a5705f, v145
	v_add_f32_e32 v146, v150, v146
	v_cvt_i32_f32_e32 v149, v149
	v_exp_f32_e32 v146, v146
	v_cmp_ngt_f32_e32 vcc, s51, v145
	v_ldexp_f32 v146, v146, v149
	v_cndmask_b32_e32 v146, 0, v146, vcc
	v_cmp_nlt_f32_e32 vcc, s30, v145
	v_cndmask_b32_e32 v145, v203, v146, vcc
	v_add_f32_e32 v145, 1.0, v145
	v_rcp_f32_e32 v145, v145
	v_fma_f32 v248, v145, -2.0, 1.0
.LBB25_412:                             ;   in Loop: Header=BB25_386 Depth=2
	s_andn2_saveexec_b64 s[6:7], s[6:7]
; %bb.413:                              ;   in Loop: Header=BB25_386 Depth=2
	v_mul_f32_e32 v145, v24, v24
	v_mov_b32_e32 v146, 0x3ca908c9
	v_fmac_f32_e32 v146, 0xbbbac73d, v145
	v_fma_f32 v146, v145, v146, v200
	v_fma_f32 v146, v145, v146, v201
	;; [unrolled: 1-line block ×3, first 2 shown]
	v_mul_f32_e64 v146, |v24|, v146
	v_fma_f32 v248, v145, v146, |v24|
; %bb.414:                              ;   in Loop: Header=BB25_386 Depth=2
	s_or_b64 exec, exec, s[6:7]
	v_cmp_nlt_f32_e64 s[6:7], |v25|, s43
                                        ; implicit-def: $vgpr249
	s_and_saveexec_b64 s[80:81], s[6:7]
	s_xor_b64 s[6:7], exec, s[80:81]
	s_cbranch_execz .LBB25_416
; %bb.415:                              ;   in Loop: Header=BB25_386 Depth=2
	v_add_f32_e64 v145, |v25|, |v25|
	v_mul_f32_e32 v146, 0x3fb8aa3b, v145
	v_rndne_f32_e32 v149, v146
	v_sub_f32_e32 v150, v146, v149
	v_fma_f32 v146, v145, s50, -v146
	v_fmac_f32_e32 v146, 0x32a5705f, v145
	v_add_f32_e32 v146, v150, v146
	v_cvt_i32_f32_e32 v149, v149
	v_exp_f32_e32 v146, v146
	v_cmp_ngt_f32_e32 vcc, s51, v145
	v_ldexp_f32 v146, v146, v149
	v_cndmask_b32_e32 v146, 0, v146, vcc
	v_cmp_nlt_f32_e32 vcc, s30, v145
	v_cndmask_b32_e32 v145, v203, v146, vcc
	v_add_f32_e32 v145, 1.0, v145
	v_rcp_f32_e32 v145, v145
	v_fma_f32 v249, v145, -2.0, 1.0
.LBB25_416:                             ;   in Loop: Header=BB25_386 Depth=2
	s_andn2_saveexec_b64 s[6:7], s[6:7]
; %bb.417:                              ;   in Loop: Header=BB25_386 Depth=2
	v_mul_f32_e32 v145, v25, v25
	v_mov_b32_e32 v146, 0x3ca908c9
	v_fmac_f32_e32 v146, 0xbbbac73d, v145
	v_fma_f32 v146, v145, v146, v200
	v_fma_f32 v146, v145, v146, v201
	;; [unrolled: 1-line block ×3, first 2 shown]
	v_mul_f32_e64 v146, |v25|, v146
	v_fma_f32 v249, v145, v146, |v25|
; %bb.418:                              ;   in Loop: Header=BB25_386 Depth=2
	s_or_b64 exec, exec, s[6:7]
	v_cmp_nlt_f32_e64 s[6:7], |v26|, s43
                                        ; implicit-def: $vgpr250
	s_and_saveexec_b64 s[80:81], s[6:7]
	s_xor_b64 s[6:7], exec, s[80:81]
	s_cbranch_execz .LBB25_420
; %bb.419:                              ;   in Loop: Header=BB25_386 Depth=2
	v_add_f32_e64 v145, |v26|, |v26|
	v_mul_f32_e32 v146, 0x3fb8aa3b, v145
	v_rndne_f32_e32 v149, v146
	v_sub_f32_e32 v150, v146, v149
	v_fma_f32 v146, v145, s50, -v146
	v_fmac_f32_e32 v146, 0x32a5705f, v145
	v_add_f32_e32 v146, v150, v146
	v_cvt_i32_f32_e32 v149, v149
	v_exp_f32_e32 v146, v146
	v_cmp_ngt_f32_e32 vcc, s51, v145
	v_ldexp_f32 v146, v146, v149
	v_cndmask_b32_e32 v146, 0, v146, vcc
	v_cmp_nlt_f32_e32 vcc, s30, v145
	v_cndmask_b32_e32 v145, v203, v146, vcc
	v_add_f32_e32 v145, 1.0, v145
	v_rcp_f32_e32 v145, v145
	v_fma_f32 v250, v145, -2.0, 1.0
.LBB25_420:                             ;   in Loop: Header=BB25_386 Depth=2
	s_andn2_saveexec_b64 s[6:7], s[6:7]
; %bb.421:                              ;   in Loop: Header=BB25_386 Depth=2
	v_mul_f32_e32 v145, v26, v26
	v_mov_b32_e32 v146, 0x3ca908c9
	v_fmac_f32_e32 v146, 0xbbbac73d, v145
	v_fma_f32 v146, v145, v146, v200
	v_fma_f32 v146, v145, v146, v201
	v_fma_f32 v146, v145, v146, v202
	v_mul_f32_e64 v146, |v26|, v146
	v_fma_f32 v250, v145, v146, |v26|
; %bb.422:                              ;   in Loop: Header=BB25_386 Depth=2
	s_or_b64 exec, exec, s[6:7]
	v_cmp_nlt_f32_e64 s[6:7], |v27|, s43
                                        ; implicit-def: $vgpr251
	s_and_saveexec_b64 s[80:81], s[6:7]
	s_xor_b64 s[6:7], exec, s[80:81]
	s_cbranch_execz .LBB25_424
; %bb.423:                              ;   in Loop: Header=BB25_386 Depth=2
	v_add_f32_e64 v145, |v27|, |v27|
	v_mul_f32_e32 v146, 0x3fb8aa3b, v145
	v_rndne_f32_e32 v149, v146
	v_sub_f32_e32 v150, v146, v149
	v_fma_f32 v146, v145, s50, -v146
	v_fmac_f32_e32 v146, 0x32a5705f, v145
	v_add_f32_e32 v146, v150, v146
	v_cvt_i32_f32_e32 v149, v149
	v_exp_f32_e32 v146, v146
	v_cmp_ngt_f32_e32 vcc, s51, v145
	v_ldexp_f32 v146, v146, v149
	v_cndmask_b32_e32 v146, 0, v146, vcc
	v_cmp_nlt_f32_e32 vcc, s30, v145
	v_cndmask_b32_e32 v145, v203, v146, vcc
	v_add_f32_e32 v145, 1.0, v145
	v_rcp_f32_e32 v145, v145
	v_fma_f32 v251, v145, -2.0, 1.0
.LBB25_424:                             ;   in Loop: Header=BB25_386 Depth=2
	s_andn2_saveexec_b64 s[6:7], s[6:7]
; %bb.425:                              ;   in Loop: Header=BB25_386 Depth=2
	v_mul_f32_e32 v145, v27, v27
	v_mov_b32_e32 v146, 0x3ca908c9
	v_fmac_f32_e32 v146, 0xbbbac73d, v145
	v_fma_f32 v146, v145, v146, v200
	v_fma_f32 v146, v145, v146, v201
	;; [unrolled: 1-line block ×3, first 2 shown]
	v_mul_f32_e64 v146, |v27|, v146
	v_fma_f32 v251, v145, v146, |v27|
; %bb.426:                              ;   in Loop: Header=BB25_386 Depth=2
	s_or_b64 exec, exec, s[6:7]
	v_cmp_nlt_f32_e64 s[6:7], |v28|, s43
                                        ; implicit-def: $vgpr252
	s_and_saveexec_b64 s[80:81], s[6:7]
	s_xor_b64 s[6:7], exec, s[80:81]
	s_cbranch_execz .LBB25_428
; %bb.427:                              ;   in Loop: Header=BB25_386 Depth=2
	v_add_f32_e64 v145, |v28|, |v28|
	v_mul_f32_e32 v146, 0x3fb8aa3b, v145
	v_rndne_f32_e32 v149, v146
	v_sub_f32_e32 v150, v146, v149
	v_fma_f32 v146, v145, s50, -v146
	v_fmac_f32_e32 v146, 0x32a5705f, v145
	v_add_f32_e32 v146, v150, v146
	v_cvt_i32_f32_e32 v149, v149
	v_exp_f32_e32 v146, v146
	v_cmp_ngt_f32_e32 vcc, s51, v145
	v_ldexp_f32 v146, v146, v149
	v_cndmask_b32_e32 v146, 0, v146, vcc
	v_cmp_nlt_f32_e32 vcc, s30, v145
	v_cndmask_b32_e32 v145, v203, v146, vcc
	v_add_f32_e32 v145, 1.0, v145
	v_rcp_f32_e32 v145, v145
	v_fma_f32 v252, v145, -2.0, 1.0
.LBB25_428:                             ;   in Loop: Header=BB25_386 Depth=2
	s_andn2_saveexec_b64 s[6:7], s[6:7]
; %bb.429:                              ;   in Loop: Header=BB25_386 Depth=2
	v_mul_f32_e32 v145, v28, v28
	v_mov_b32_e32 v146, 0x3ca908c9
	v_fmac_f32_e32 v146, 0xbbbac73d, v145
	v_fma_f32 v146, v145, v146, v200
	v_fma_f32 v146, v145, v146, v201
	;; [unrolled: 1-line block ×3, first 2 shown]
	v_mul_f32_e64 v146, |v28|, v146
	v_fma_f32 v252, v145, v146, |v28|
; %bb.430:                              ;   in Loop: Header=BB25_386 Depth=2
	s_or_b64 exec, exec, s[6:7]
	v_cmp_nlt_f32_e64 s[6:7], |v29|, s43
                                        ; implicit-def: $vgpr253
	s_and_saveexec_b64 s[80:81], s[6:7]
	s_xor_b64 s[6:7], exec, s[80:81]
	s_cbranch_execz .LBB25_432
; %bb.431:                              ;   in Loop: Header=BB25_386 Depth=2
	v_add_f32_e64 v145, |v29|, |v29|
	v_mul_f32_e32 v146, 0x3fb8aa3b, v145
	v_rndne_f32_e32 v149, v146
	v_sub_f32_e32 v150, v146, v149
	v_fma_f32 v146, v145, s50, -v146
	v_fmac_f32_e32 v146, 0x32a5705f, v145
	v_add_f32_e32 v146, v150, v146
	v_cvt_i32_f32_e32 v149, v149
	v_exp_f32_e32 v146, v146
	v_cmp_ngt_f32_e32 vcc, s51, v145
	v_ldexp_f32 v146, v146, v149
	v_cndmask_b32_e32 v146, 0, v146, vcc
	v_cmp_nlt_f32_e32 vcc, s30, v145
	v_cndmask_b32_e32 v145, v203, v146, vcc
	v_add_f32_e32 v145, 1.0, v145
	v_rcp_f32_e32 v145, v145
	v_fma_f32 v253, v145, -2.0, 1.0
.LBB25_432:                             ;   in Loop: Header=BB25_386 Depth=2
	s_andn2_saveexec_b64 s[6:7], s[6:7]
; %bb.433:                              ;   in Loop: Header=BB25_386 Depth=2
	v_mul_f32_e32 v145, v29, v29
	v_mov_b32_e32 v146, 0x3ca908c9
	v_fmac_f32_e32 v146, 0xbbbac73d, v145
	v_fma_f32 v146, v145, v146, v200
	v_fma_f32 v146, v145, v146, v201
	;; [unrolled: 1-line block ×3, first 2 shown]
	v_mul_f32_e64 v146, |v29|, v146
	v_fma_f32 v253, v145, v146, |v29|
; %bb.434:                              ;   in Loop: Header=BB25_386 Depth=2
	s_or_b64 exec, exec, s[6:7]
	v_cmp_nlt_f32_e64 s[6:7], |v30|, s43
                                        ; implicit-def: $vgpr150
	s_and_saveexec_b64 s[80:81], s[6:7]
	s_xor_b64 s[6:7], exec, s[80:81]
	s_cbranch_execz .LBB25_436
; %bb.435:                              ;   in Loop: Header=BB25_386 Depth=2
	v_add_f32_e64 v145, |v30|, |v30|
	v_mul_f32_e32 v146, 0x3fb8aa3b, v145
	v_rndne_f32_e32 v149, v146
	v_sub_f32_e32 v150, v146, v149
	v_fma_f32 v146, v145, s50, -v146
	v_fmac_f32_e32 v146, 0x32a5705f, v145
	v_add_f32_e32 v146, v150, v146
	v_cvt_i32_f32_e32 v149, v149
	v_exp_f32_e32 v146, v146
	v_cmp_ngt_f32_e32 vcc, s51, v145
	v_ldexp_f32 v146, v146, v149
	v_cndmask_b32_e32 v146, 0, v146, vcc
	v_cmp_nlt_f32_e32 vcc, s30, v145
	v_cndmask_b32_e32 v145, v203, v146, vcc
	v_add_f32_e32 v145, 1.0, v145
	v_rcp_f32_e32 v145, v145
	v_fma_f32 v150, v145, -2.0, 1.0
.LBB25_436:                             ;   in Loop: Header=BB25_386 Depth=2
	s_andn2_saveexec_b64 s[6:7], s[6:7]
; %bb.437:                              ;   in Loop: Header=BB25_386 Depth=2
	v_mul_f32_e32 v145, v30, v30
	v_mov_b32_e32 v146, 0x3ca908c9
	v_fmac_f32_e32 v146, 0xbbbac73d, v145
	v_fma_f32 v146, v145, v146, v200
	v_fma_f32 v146, v145, v146, v201
	;; [unrolled: 1-line block ×3, first 2 shown]
	v_mul_f32_e64 v146, |v30|, v146
	v_fma_f32 v150, v145, v146, |v30|
; %bb.438:                              ;   in Loop: Header=BB25_386 Depth=2
	s_or_b64 exec, exec, s[6:7]
	v_cmp_nlt_f32_e64 s[6:7], |v31|, s43
                                        ; implicit-def: $vgpr146
	s_and_saveexec_b64 s[80:81], s[6:7]
	s_xor_b64 s[6:7], exec, s[80:81]
	s_cbranch_execz .LBB25_440
; %bb.439:                              ;   in Loop: Header=BB25_386 Depth=2
	v_add_f32_e64 v145, |v31|, |v31|
	v_mul_f32_e32 v146, 0x3fb8aa3b, v145
	v_rndne_f32_e32 v149, v146
	v_sub_f32_e32 v148, v146, v149
	v_fma_f32 v146, v145, s50, -v146
	v_fmac_f32_e32 v146, 0x32a5705f, v145
	v_add_f32_e32 v146, v148, v146
	v_cvt_i32_f32_e32 v148, v149
	v_exp_f32_e32 v146, v146
	v_cmp_ngt_f32_e32 vcc, s51, v145
	v_ldexp_f32 v146, v146, v148
	v_cndmask_b32_e32 v146, 0, v146, vcc
	v_cmp_nlt_f32_e32 vcc, s30, v145
	v_cndmask_b32_e32 v145, v203, v146, vcc
	v_add_f32_e32 v145, 1.0, v145
	v_rcp_f32_e32 v145, v145
	v_fma_f32 v146, v145, -2.0, 1.0
.LBB25_440:                             ;   in Loop: Header=BB25_386 Depth=2
	s_andn2_saveexec_b64 s[6:7], s[6:7]
; %bb.441:                              ;   in Loop: Header=BB25_386 Depth=2
	v_mul_f32_e32 v145, v31, v31
	v_mov_b32_e32 v146, 0x3ca908c9
	v_fmac_f32_e32 v146, 0xbbbac73d, v145
	v_fma_f32 v146, v145, v146, v200
	v_fma_f32 v146, v145, v146, v201
	;; [unrolled: 1-line block ×3, first 2 shown]
	v_mul_f32_e64 v146, |v31|, v146
	v_fma_f32 v146, v145, v146, |v31|
; %bb.442:                              ;   in Loop: Header=BB25_386 Depth=2
	s_or_b64 exec, exec, s[6:7]
	v_cmp_nlt_f32_e64 s[6:7], |v32|, s43
                                        ; implicit-def: $vgpr149
	s_and_saveexec_b64 s[80:81], s[6:7]
	s_xor_b64 s[6:7], exec, s[80:81]
	s_cbranch_execz .LBB25_444
; %bb.443:                              ;   in Loop: Header=BB25_386 Depth=2
	v_add_f32_e64 v145, |v32|, |v32|
	v_mul_f32_e32 v148, 0x3fb8aa3b, v145
	v_rndne_f32_e32 v149, v148
	v_sub_f32_e32 v144, v148, v149
	v_fma_f32 v148, v145, s50, -v148
	v_fmac_f32_e32 v148, 0x32a5705f, v145
	v_add_f32_e32 v144, v144, v148
	v_cvt_i32_f32_e32 v148, v149
	v_exp_f32_e32 v144, v144
	v_cmp_ngt_f32_e32 vcc, s51, v145
	v_ldexp_f32 v144, v144, v148
	v_cndmask_b32_e32 v144, 0, v144, vcc
	v_cmp_nlt_f32_e32 vcc, s30, v145
	v_cndmask_b32_e32 v144, v203, v144, vcc
	v_add_f32_e32 v144, 1.0, v144
	v_rcp_f32_e32 v144, v144
	v_fma_f32 v149, v144, -2.0, 1.0
.LBB25_444:                             ;   in Loop: Header=BB25_386 Depth=2
	s_andn2_saveexec_b64 s[6:7], s[6:7]
; %bb.445:                              ;   in Loop: Header=BB25_386 Depth=2
	v_mul_f32_e32 v144, v32, v32
	v_mov_b32_e32 v145, 0x3ca908c9
	v_fmac_f32_e32 v145, 0xbbbac73d, v144
	v_fma_f32 v145, v144, v145, v200
	v_fma_f32 v145, v144, v145, v201
	;; [unrolled: 1-line block ×3, first 2 shown]
	v_mul_f32_e64 v145, |v32|, v145
	v_fma_f32 v149, v144, v145, |v32|
; %bb.446:                              ;   in Loop: Header=BB25_386 Depth=2
	s_or_b64 exec, exec, s[6:7]
	v_cmp_nlt_f32_e64 s[6:7], |v33|, s43
                                        ; implicit-def: $vgpr145
	s_and_saveexec_b64 s[80:81], s[6:7]
	s_xor_b64 s[6:7], exec, s[80:81]
	s_cbranch_execz .LBB25_448
; %bb.447:                              ;   in Loop: Header=BB25_386 Depth=2
	v_add_f32_e64 v144, |v33|, |v33|
	v_mul_f32_e32 v145, 0x3fb8aa3b, v144
	v_rndne_f32_e32 v148, v145
	v_sub_f32_e32 v75, v145, v148
	v_fma_f32 v145, v144, s50, -v145
	v_fmac_f32_e32 v145, 0x32a5705f, v144
	v_add_f32_e32 v75, v75, v145
	v_cvt_i32_f32_e32 v145, v148
	v_exp_f32_e32 v75, v75
	v_cmp_ngt_f32_e32 vcc, s51, v144
	v_ldexp_f32 v75, v75, v145
	v_cndmask_b32_e32 v75, 0, v75, vcc
	v_cmp_nlt_f32_e32 vcc, s30, v144
	v_cndmask_b32_e32 v75, v203, v75, vcc
	v_add_f32_e32 v75, 1.0, v75
	v_rcp_f32_e32 v75, v75
	v_fma_f32 v145, v75, -2.0, 1.0
.LBB25_448:                             ;   in Loop: Header=BB25_386 Depth=2
	s_andn2_saveexec_b64 s[6:7], s[6:7]
; %bb.449:                              ;   in Loop: Header=BB25_386 Depth=2
	v_mul_f32_e32 v75, v33, v33
	v_mov_b32_e32 v144, 0x3ca908c9
	v_fmac_f32_e32 v144, 0xbbbac73d, v75
	v_fma_f32 v144, v75, v144, v200
	v_fma_f32 v144, v75, v144, v201
	;; [unrolled: 1-line block ×3, first 2 shown]
	v_mul_f32_e64 v144, |v33|, v144
	v_fma_f32 v145, v75, v144, |v33|
; %bb.450:                              ;   in Loop: Header=BB25_386 Depth=2
	s_or_b64 exec, exec, s[6:7]
	v_bfi_b32 v242, s0, v242, v18
	v_add_u32_e32 v18, 0x4400, v179
	v_bfi_b32 v27, s0, v251, v27
	v_bfi_b32 v26, s0, v250, v26
	ds_read_b32 v75, v104 offset:17408
	ds_read_b32 v144, v105 offset:17408
	ds_read2_b32 v[250:251], v18 offset1:1
	v_add_u32_e32 v18, 0x4400, v180
	v_bfi_b32 v249, s0, v249, v25
	v_bfi_b32 v248, s0, v248, v24
	ds_read2_b32 v[24:25], v18 offset1:1
	v_add_u32_e32 v18, 0x4400, v181
	v_bfi_b32 v245, s0, v245, v21
	v_bfi_b32 v244, s0, v244, v20
	ds_read2_b32 v[20:21], v18 offset1:1
	v_bfi_b32 v247, s0, v247, v23
	v_bfi_b32 v246, s0, v246, v22
	;; [unrolled: 1-line block ×4, first 2 shown]
	s_waitcnt lgkmcnt(0)
	v_cvt_f32_f16_e32 v22, v20
	v_cvt_f32_f16_sdwa v23, v20 dst_sel:DWORD dst_unused:UNUSED_PAD src0_sel:WORD_1
	v_bfi_b32 v243, s0, v243, v19
	v_cvt_f32_f16_e32 v18, v21
	v_cvt_f32_f16_sdwa v19, v21 dst_sel:DWORD dst_unused:UNUSED_PAD src0_sel:WORD_1
	v_pk_fma_f32 v[20:21], v[30:31], s[36:37], v[22:23]
	v_cvt_f32_f16_e32 v22, v25
	v_cvt_f32_f16_sdwa v23, v25 dst_sel:DWORD dst_unused:UNUSED_PAD src0_sel:WORD_1
	v_cvt_f32_f16_sdwa v31, v144 dst_sel:DWORD dst_unused:UNUSED_PAD src0_sel:WORD_1
	v_cvt_f32_f16_e32 v30, v144
	v_bfi_b32 v29, s0, v253, v29
	v_bfi_b32 v28, s0, v252, v28
	v_pk_fma_f32 v[22:23], v[28:29], s[36:37], v[22:23]
	v_cvt_f32_f16_e32 v28, v24
	v_cvt_f32_f16_sdwa v29, v24 dst_sel:DWORD dst_unused:UNUSED_PAD src0_sel:WORD_1
	v_bfi_b32 v33, s0, v145, v33
	v_bfi_b32 v32, s0, v149, v32
	v_pk_fma_f32 v[18:19], v[32:33], s[36:37], v[18:19]
	v_pk_fma_f32 v[32:33], v[244:245], s[36:37], v[30:31]
	v_cvt_f32_f16_sdwa v31, v75 dst_sel:DWORD dst_unused:UNUSED_PAD src0_sel:WORD_1
	v_cvt_f32_f16_e32 v30, v75
	v_pk_fma_f32 v[24:25], v[26:27], s[36:37], v[28:29]
	v_cvt_f32_f16_e32 v28, v250
	v_cvt_f32_f16_sdwa v29, v250 dst_sel:DWORD dst_unused:UNUSED_PAD src0_sel:WORD_1
	v_cvt_f32_f16_e32 v26, v251
	v_cvt_f32_f16_sdwa v27, v251 dst_sel:DWORD dst_unused:UNUSED_PAD src0_sel:WORD_1
	v_pk_fma_f32 v[242:243], v[242:243], s[36:37], v[30:31]
	v_add_f32_e32 v30, 0x40051340, v242
	v_add_f32_e32 v31, 0x40051340, v243
	v_pk_fma_f32 v[28:29], v[246:247], s[36:37], v[28:29]
	v_add_f32_e32 v144, 0x40051340, v32
	v_add_f32_e32 v244, 0x40051340, v33
	v_max3_f32 v30, v241, v30, v31
	v_pk_fma_f32 v[26:27], v[248:249], s[36:37], v[26:27]
	v_add_f32_e32 v246, 0x40051340, v28
	v_add_f32_e32 v247, 0x40051340, v29
	v_max3_f32 v30, v30, v144, v244
	v_add_f32_e32 v248, 0x40051340, v26
	v_add_f32_e32 v249, 0x40051340, v27
	v_max3_f32 v30, v30, v246, v247
	;; [unrolled: 3-line block ×6, first 2 shown]
	v_max3_f32 v30, v30, v145, v146
	ds_bpermute_b32 v31, v234, v30
	s_add_i32 s41, s41, -1
	s_cmp_lg_u32 s41, 0
	s_waitcnt lgkmcnt(0)
	v_max_f32_e32 v31, v31, v31
	v_max_f32_e32 v30, v30, v31
	ds_bpermute_b32 v31, v235, v30
	s_waitcnt lgkmcnt(0)
	v_max_f32_e32 v31, v31, v31
	v_max_f32_e32 v30, v30, v31
	v_pk_add_f32 v[244:245], v[242:243], v[30:31] op_sel_hi:[1,0] neg_lo:[0,1] neg_hi:[0,1]
	v_mul_f32_e32 v31, 0x3fb8aa3b, v245
	v_fma_f32 v75, v245, s50, -v31
	v_rndne_f32_e32 v77, v31
	v_fmac_f32_e32 v75, 0x32a5705f, v245
	v_sub_f32_e32 v31, v31, v77
	v_add_f32_e32 v31, v31, v75
	v_exp_f32_e32 v31, v31
	v_cvt_i32_f32_e32 v75, v77
	v_cmp_ngt_f32_e32 vcc, s51, v245
	v_ldexp_f32 v31, v31, v75
	v_cndmask_b32_e32 v31, 0, v31, vcc
	v_cmp_nlt_f32_e32 vcc, s30, v245
	v_cndmask_b32_e32 v242, v203, v31, vcc
	v_mul_f32_e32 v31, 0x3fb8aa3b, v244
	v_fma_f32 v75, v244, s50, -v31
	v_rndne_f32_e32 v77, v31
	v_fmac_f32_e32 v75, 0x32a5705f, v244
	v_sub_f32_e32 v31, v31, v77
	v_add_f32_e32 v31, v31, v75
	v_exp_f32_e32 v31, v31
	v_cvt_i32_f32_e32 v75, v77
	v_cmp_ngt_f32_e32 vcc, s51, v244
	v_ldexp_f32 v31, v31, v75
	v_cndmask_b32_e32 v31, 0, v31, vcc
	v_cmp_nlt_f32_e32 vcc, s30, v244
	v_pk_add_f32 v[32:33], v[32:33], v[30:31] op_sel_hi:[1,0] neg_lo:[0,1] neg_hi:[0,1]
	v_cndmask_b32_e32 v75, v203, v31, vcc
	v_mul_f32_e32 v31, 0x3fb8aa3b, v33
	v_fma_f32 v77, v33, s50, -v31
	v_rndne_f32_e32 v144, v31
	v_fmac_f32_e32 v77, 0x32a5705f, v33
	v_sub_f32_e32 v31, v31, v144
	v_add_f32_e32 v31, v31, v77
	v_exp_f32_e32 v31, v31
	v_cvt_i32_f32_e32 v77, v144
	v_cmp_ngt_f32_e32 vcc, s51, v33
	v_ldexp_f32 v31, v31, v77
	v_cndmask_b32_e32 v31, 0, v31, vcc
	v_cmp_nlt_f32_e32 vcc, s30, v33
	v_cndmask_b32_e32 v77, v203, v31, vcc
	v_mul_f32_e32 v31, 0x3fb8aa3b, v32
	v_fma_f32 v33, v32, s50, -v31
	v_rndne_f32_e32 v144, v31
	v_fmac_f32_e32 v33, 0x32a5705f, v32
	v_sub_f32_e32 v31, v31, v144
	v_add_f32_e32 v31, v31, v33
	v_exp_f32_e32 v31, v31
	v_cvt_i32_f32_e32 v33, v144
	v_cmp_ngt_f32_e32 vcc, s51, v32
	v_ldexp_f32 v31, v31, v33
	v_cndmask_b32_e32 v31, 0, v31, vcc
	v_cmp_nlt_f32_e32 vcc, s30, v32
	v_pk_add_f32 v[28:29], v[28:29], v[30:31] op_sel_hi:[1,0] neg_lo:[0,1] neg_hi:[0,1]
	v_cndmask_b32_e32 v144, v203, v31, vcc
	v_mul_f32_e32 v31, 0x3fb8aa3b, v29
	v_fma_f32 v32, v29, s50, -v31
	v_rndne_f32_e32 v33, v31
	v_fmac_f32_e32 v32, 0x32a5705f, v29
	v_sub_f32_e32 v31, v31, v33
	v_add_f32_e32 v31, v31, v32
	v_exp_f32_e32 v31, v31
	v_cvt_i32_f32_e32 v32, v33
	v_cmp_ngt_f32_e32 vcc, s51, v29
	v_ldexp_f32 v31, v31, v32
	v_cndmask_b32_e32 v31, 0, v31, vcc
	v_cmp_nlt_f32_e32 vcc, s30, v29
	v_mul_f32_e32 v29, 0x3fb8aa3b, v28
	v_cndmask_b32_e32 v145, v203, v31, vcc
	v_fma_f32 v31, v28, s50, -v29
	v_rndne_f32_e32 v32, v29
	v_fmac_f32_e32 v31, 0x32a5705f, v28
	v_sub_f32_e32 v29, v29, v32
	v_add_f32_e32 v29, v29, v31
	v_exp_f32_e32 v29, v29
	v_cvt_i32_f32_e32 v31, v32
	v_cmp_ngt_f32_e32 vcc, s51, v28
	v_ldexp_f32 v29, v29, v31
	v_pk_add_f32 v[26:27], v[26:27], v[30:31] op_sel_hi:[1,0] neg_lo:[0,1] neg_hi:[0,1]
	v_cndmask_b32_e32 v29, 0, v29, vcc
	v_cmp_nlt_f32_e32 vcc, s30, v28
	v_mul_f32_e32 v28, 0x3fb8aa3b, v27
	v_cndmask_b32_e32 v146, v203, v29, vcc
	v_fma_f32 v29, v27, s50, -v28
	v_rndne_f32_e32 v31, v28
	v_fmac_f32_e32 v29, 0x32a5705f, v27
	v_sub_f32_e32 v28, v28, v31
	v_add_f32_e32 v28, v28, v29
	v_exp_f32_e32 v28, v28
	v_cvt_i32_f32_e32 v29, v31
	v_cmp_ngt_f32_e32 vcc, s51, v27
	v_pk_add_f32 v[24:25], v[24:25], v[30:31] op_sel_hi:[1,0] neg_lo:[0,1] neg_hi:[0,1]
	v_pk_add_f32 v[22:23], v[22:23], v[30:31] op_sel_hi:[1,0] neg_lo:[0,1] neg_hi:[0,1]
	v_ldexp_f32 v28, v28, v29
	v_cndmask_b32_e32 v28, 0, v28, vcc
	v_cmp_nlt_f32_e32 vcc, s30, v27
	v_mul_f32_e32 v27, 0x3fb8aa3b, v26
	v_cndmask_b32_e32 v148, v203, v28, vcc
	v_fma_f32 v28, v26, s50, -v27
	v_rndne_f32_e32 v29, v27
	v_fmac_f32_e32 v28, 0x32a5705f, v26
	v_sub_f32_e32 v27, v27, v29
	v_add_f32_e32 v27, v27, v28
	v_exp_f32_e32 v27, v27
	v_cvt_i32_f32_e32 v28, v29
	v_cmp_ngt_f32_e32 vcc, s51, v26
	v_pk_add_f32 v[20:21], v[20:21], v[30:31] op_sel_hi:[1,0] neg_lo:[0,1] neg_hi:[0,1]
	v_pk_add_f32 v[18:19], v[18:19], v[30:31] op_sel_hi:[1,0] neg_lo:[0,1] neg_hi:[0,1]
	v_ldexp_f32 v27, v27, v28
	v_cndmask_b32_e32 v27, 0, v27, vcc
	v_cmp_nlt_f32_e32 vcc, s30, v26
	v_mul_f32_e32 v26, 0x3fb8aa3b, v25
	v_cndmask_b32_e32 v149, v203, v27, vcc
	v_fma_f32 v27, v25, s50, -v26
	v_rndne_f32_e32 v28, v26
	v_fmac_f32_e32 v27, 0x32a5705f, v25
	v_sub_f32_e32 v26, v26, v28
	v_add_f32_e32 v26, v26, v27
	v_exp_f32_e32 v26, v26
	v_cvt_i32_f32_e32 v27, v28
	v_cmp_ngt_f32_e32 vcc, s51, v25
	v_ldexp_f32 v26, v26, v27
	v_cndmask_b32_e32 v26, 0, v26, vcc
	v_cmp_nlt_f32_e32 vcc, s30, v25
	v_mul_f32_e32 v25, 0x3fb8aa3b, v24
	v_cndmask_b32_e32 v150, v203, v26, vcc
	v_fma_f32 v26, v24, s50, -v25
	v_rndne_f32_e32 v27, v25
	v_fmac_f32_e32 v26, 0x32a5705f, v24
	v_sub_f32_e32 v25, v25, v27
	v_add_f32_e32 v25, v25, v26
	v_exp_f32_e32 v25, v25
	v_cvt_i32_f32_e32 v26, v27
	v_cmp_ngt_f32_e32 vcc, s51, v24
	;; [unrolled: 13-line block ×7, first 2 shown]
	v_ldexp_f32 v20, v20, v21
	v_cndmask_b32_e32 v20, 0, v20, vcc
	v_cmp_nlt_f32_e32 vcc, s30, v19
	v_cndmask_b32_e32 v19, v203, v20, vcc
	v_mul_f32_e32 v20, 0x3fb8aa3b, v18
	v_fma_f32 v21, v18, s50, -v20
	v_rndne_f32_e32 v22, v20
	v_fmac_f32_e32 v21, 0x32a5705f, v18
	v_sub_f32_e32 v20, v20, v22
	v_add_f32_e32 v20, v20, v21
	v_exp_f32_e32 v20, v20
	v_cvt_i32_f32_e32 v21, v22
	v_cmp_ngt_f32_e32 vcc, s51, v18
	v_ldexp_f32 v20, v20, v21
	v_cndmask_b32_e32 v20, 0, v20, vcc
	v_cmp_nlt_f32_e32 vcc, s30, v18
	v_add_f32_e32 v18, v75, v242
	v_add_f32_e32 v18, v144, v18
	v_add_f32_e32 v18, v77, v18
	v_add_f32_e32 v18, v146, v18
	v_add_f32_e32 v18, v145, v18
	v_add_f32_e32 v18, v149, v18
	v_add_f32_e32 v18, v148, v18
	v_add_f32_e32 v18, v243, v18
	v_add_f32_e32 v18, v150, v18
	v_add_f32_e32 v18, v245, v18
	v_add_f32_e32 v18, v244, v18
	v_add_f32_e32 v18, v247, v18
	v_cndmask_b32_e32 v248, v203, v20, vcc
	v_add_f32_e32 v18, v246, v18
	v_add_f32_e32 v18, v248, v18
	;; [unrolled: 1-line block ×3, first 2 shown]
	v_sub_f32_e32 v18, v241, v30
	v_mul_f32_e32 v20, 0x3fb8aa3b, v18
	v_fma_f32 v21, v18, s50, -v20
	v_rndne_f32_e32 v22, v20
	v_fmac_f32_e32 v21, 0x32a5705f, v18
	v_sub_f32_e32 v20, v20, v22
	v_add_f32_e32 v20, v20, v21
	v_exp_f32_e32 v20, v20
	v_cvt_i32_f32_e32 v21, v22
	v_cmp_ngt_f32_e32 vcc, s51, v18
	v_cvt_f16_f32_e32 v19, v19
	v_ldexp_f32 v20, v20, v21
	v_cndmask_b32_e32 v20, 0, v20, vcc
	v_cmp_nlt_f32_e32 vcc, s30, v18
	v_cndmask_b32_e32 v20, v203, v20, vcc
	v_cmp_le_f32_e32 vcc, s1, v18
	v_cndmask_b32_e32 v18, 0, v20, vcc
	v_fmac_f32_e32 v31, v240, v18
	v_cvt_f16_f32_e32 v18, v18
	v_cvt_f16_f32_e32 v20, v75
	v_cvt_f16_f32_e32 v21, v245
	v_cvt_f16_f32_e32 v75, v247
	v_pk_mul_f16 v32, v18, v232 op_sel_hi:[0,1]
	v_add_co_u32_e32 v232, vcc, v72, v58
	v_pk_mul_f16 v33, v18, v233 op_sel_hi:[0,1]
	v_addc_co_u32_e32 v233, vcc, 0, v1, vcc
	v_pk_mul_f16 v29, v18, v237 op_sel_hi:[0,1]
	v_pk_mul_f16 v28, v18, v236 op_sel_hi:[0,1]
	;; [unrolled: 1-line block ×4, first 2 shown]
	global_load_dwordx4 v[236:239], v[232:233], off
	v_add_co_u32_e32 v240, vcc, v74, v58
	v_addc_co_u32_e32 v241, vcc, 0, v35, vcc
	v_pk_mul_f16 v223, v18, v223 op_sel_hi:[0,1]
	v_pk_mul_f16 v222, v18, v222 op_sel_hi:[0,1]
	;; [unrolled: 1-line block ×10, first 2 shown]
	v_cvt_f16_f32_e32 v18, v242
	v_add_co_u32_e32 v242, vcc, v76, v58
	v_pack_b32_f16 v24, v20, v18
	v_cvt_f16_f32_e32 v18, v77
	v_cvt_f16_f32_e32 v20, v144
	v_pack_b32_f16 v25, v20, v18
	v_cvt_f16_f32_e32 v18, v145
	v_cvt_f16_f32_e32 v20, v146
	;; [unrolled: 3-line block ×3, first 2 shown]
	v_pack_b32_f16 v23, v20, v18
	v_cvt_f16_f32_e32 v20, v243
	v_addc_co_u32_e32 v243, vcc, 0, v37, vcc
	v_cvt_f16_f32_e32 v18, v150
	v_pack_b32_f16 v20, v20, v18
	v_cvt_f16_f32_e32 v18, v244
	v_add_co_u32_e32 v244, vcc, v78, v58
	v_addc_co_u32_e32 v245, vcc, 0, v57, vcc
	v_pack_b32_f16 v21, v21, v18
	v_cvt_f16_f32_e32 v18, v246
	v_add_co_u32_e32 v70, vcc, s45, v70
	v_addc_co_u32_e32 v71, vcc, 0, v71, vcc
	;; [unrolled: 4-line block ×3, first 2 shown]
	v_pack_b32_f16 v19, v75, v19
	v_add_co_u32_e32 v72, vcc, s66, v72
	s_waitcnt vmcnt(0)
	ds_write_b128 v103, v[236:239]
	global_load_dwordx4 v[236:239], v[240:241], off
	v_cvt_f32_f16_e32 v240, v26
	v_cvt_f32_f16_sdwa v241, v26 dst_sel:DWORD dst_unused:UNUSED_PAD src0_sel:WORD_1
	s_waitcnt vmcnt(0)
	ds_write_b128 v176, v[236:239]
	global_load_dwordx4 v[236:239], v[242:243], off
	s_waitcnt vmcnt(0)
	ds_write_b128 v177, v[236:239]
	global_load_dwordx4 v[236:239], v[244:245], off
	s_waitcnt vmcnt(0)
	ds_write_b128 v178, v[236:239]
	s_waitcnt lgkmcnt(0)
	s_barrier
	ds_read_u16 v75, v107 offset:544
	ds_read_u16 v77, v108
	ds_read_u16 v144, v108 offset:32
	v_cvt_f32_f16_e32 v236, v223
	v_cvt_f32_f16_sdwa v237, v223 dst_sel:DWORD dst_unused:UNUSED_PAD src0_sel:WORD_1
	v_cvt_f32_f16_e32 v238, v222
	s_waitcnt lgkmcnt(1)
	v_perm_b32 v223, v77, v75, s44
	ds_read_u16 v75, v106
	ds_read_u16 v77, v106 offset:32
	ds_read_u16 v145, v107 offset:272
	;; [unrolled: 1-line block ×3, first 2 shown]
	v_cvt_f32_f16_sdwa v239, v222 dst_sel:DWORD dst_unused:UNUSED_PAD src0_sel:WORD_1
	s_waitcnt lgkmcnt(1)
	v_perm_b32 v222, v145, v75, s44
	s_nop 1
	v_mfma_f32_16x16x16f16 v[236:239], v[222:223], v[24:25], v[236:239]
	ds_read_u16 v150, v106 offset:4352
	ds_read_u16 v222, v107 offset:4624
	ds_read_u16 v223, v109 offset:544
	ds_read_u16 v232, v108 offset:4352
	s_waitcnt lgkmcnt(2)
	v_perm_b32 v222, v222, v150, s44
	s_waitcnt lgkmcnt(0)
	v_perm_b32 v223, v232, v223, s44
	s_nop 2
	v_cvt_f16_f32_e32 v75, v236
	v_cvt_f16_f32_e32 v145, v237
	v_cvt_f16_f32_e32 v148, v238
	v_cvt_f16_f32_e32 v149, v239
	v_cvt_f32_f16_e32 v236, v75
	v_cvt_f32_f16_e32 v237, v145
	v_cvt_f32_f16_e32 v238, v148
	v_cvt_f32_f16_e32 v239, v149
	s_nop 1
	v_mfma_f32_16x16x16f16 v[236:239], v[222:223], v[22:23], v[236:239]
	ds_read_u16 v150, v106 offset:8704
	ds_read_u16 v222, v107 offset:8976
	ds_read_u16 v223, v110 offset:544
	ds_read_u16 v232, v108 offset:8704
	s_waitcnt lgkmcnt(2)
	v_perm_b32 v222, v222, v150, s44
	s_waitcnt lgkmcnt(0)
	v_perm_b32 v223, v232, v223, s44
	s_nop 2
	v_cvt_f16_f32_e32 v75, v236
	v_cvt_f16_f32_e32 v145, v237
	v_cvt_f16_f32_e32 v148, v238
	v_cvt_f16_f32_e32 v149, v239
	v_cvt_f32_f16_e32 v236, v75
	v_cvt_f32_f16_e32 v237, v145
	v_cvt_f32_f16_e32 v238, v148
	v_cvt_f32_f16_e32 v239, v149
	;; [unrolled: 19-line block ×3, first 2 shown]
	s_nop 1
	v_mfma_f32_16x16x16f16 v[236:239], v[222:223], v[18:19], v[236:239]
	s_nop 7
	s_nop 2
	v_cvt_f16_f32_e32 v75, v236
	v_cvt_f16_f32_e32 v145, v237
	;; [unrolled: 1-line block ×4, first 2 shown]
	v_cvt_f32_f16_e32 v236, v225
	v_pack_b32_f16 v223, v75, v145
	ds_read_u16 v75, v112 offset:544
	v_cvt_f32_f16_sdwa v237, v225 dst_sel:DWORD dst_unused:UNUSED_PAD src0_sel:WORD_1
	v_cvt_f32_f16_e32 v238, v224
	v_cvt_f32_f16_sdwa v239, v224 dst_sel:DWORD dst_unused:UNUSED_PAD src0_sel:WORD_1
	v_perm_b32 v224, v146, v77, s44
	s_waitcnt lgkmcnt(0)
	v_perm_b32 v225, v144, v75, s44
	v_pack_b32_f16 v222, v148, v149
	ds_read_u16 v146, v106 offset:4384
	ds_read_u16 v148, v107 offset:4656
	;; [unrolled: 1-line block ×4, first 2 shown]
	v_mfma_f32_16x16x16f16 v[236:239], v[224:225], v[24:25], v[236:239]
	s_waitcnt lgkmcnt(2)
	v_perm_b32 v224, v148, v146, s44
	s_waitcnt lgkmcnt(0)
	v_perm_b32 v225, v150, v149, s44
	ds_read_u16 v146, v106 offset:8736
	ds_read_u16 v148, v107 offset:9008
	;; [unrolled: 1-line block ×4, first 2 shown]
	s_nop 2
	v_cvt_f16_f32_e32 v75, v236
	v_cvt_f16_f32_e32 v77, v237
	v_cvt_f16_f32_e32 v144, v238
	v_cvt_f16_f32_e32 v145, v239
	v_cvt_f32_f16_e32 v236, v75
	v_cvt_f32_f16_e32 v237, v77
	;; [unrolled: 1-line block ×4, first 2 shown]
	s_nop 1
	v_mfma_f32_16x16x16f16 v[236:239], v[224:225], v[22:23], v[236:239]
	s_waitcnt lgkmcnt(0)
	v_perm_b32 v225, v150, v149, s44
	v_perm_b32 v224, v148, v146, s44
	ds_read_u16 v146, v106 offset:13088
	ds_read_u16 v148, v107 offset:13360
	;; [unrolled: 1-line block ×4, first 2 shown]
	s_nop 3
	v_cvt_f16_f32_e32 v75, v236
	v_cvt_f16_f32_e32 v77, v237
	;; [unrolled: 1-line block ×4, first 2 shown]
	v_cvt_f32_f16_e32 v236, v75
	v_cvt_f32_f16_e32 v237, v77
	;; [unrolled: 1-line block ×4, first 2 shown]
	s_nop 1
	v_mfma_f32_16x16x16f16 v[236:239], v[224:225], v[20:21], v[236:239]
	s_waitcnt lgkmcnt(0)
	v_perm_b32 v225, v150, v149, s44
	v_perm_b32 v224, v148, v146, s44
	s_nop 7
	v_cvt_f16_f32_e32 v75, v236
	v_cvt_f16_f32_e32 v77, v237
	;; [unrolled: 1-line block ×4, first 2 shown]
	v_cvt_f32_f16_e32 v236, v75
	v_cvt_f32_f16_e32 v237, v77
	;; [unrolled: 1-line block ×4, first 2 shown]
	s_nop 1
	v_mfma_f32_16x16x16f16 v[236:239], v[224:225], v[18:19], v[236:239]
	s_nop 7
	s_nop 2
	v_cvt_f16_f32_e32 v75, v236
	v_cvt_f16_f32_e32 v77, v237
	;; [unrolled: 1-line block ×4, first 2 shown]
	v_cvt_f32_f16_e32 v236, v227
	v_pack_b32_f16 v225, v75, v77
	v_cvt_f32_f16_sdwa v237, v227 dst_sel:DWORD dst_unused:UNUSED_PAD src0_sel:WORD_1
	v_pack_b32_f16 v224, v144, v145
	ds_read_u16 v75, v106 offset:64
	ds_read_u16 v77, v107 offset:336
	;; [unrolled: 1-line block ×4, first 2 shown]
	v_cvt_f32_f16_e32 v238, v226
	v_cvt_f32_f16_sdwa v239, v226 dst_sel:DWORD dst_unused:UNUSED_PAD src0_sel:WORD_1
	s_waitcnt lgkmcnt(2)
	v_perm_b32 v226, v77, v75, s44
	ds_read_u16 v146, v106 offset:4416
	ds_read_u16 v148, v107 offset:4688
	;; [unrolled: 1-line block ×4, first 2 shown]
	s_waitcnt lgkmcnt(4)
	v_perm_b32 v227, v145, v144, s44
	s_nop 1
	v_mfma_f32_16x16x16f16 v[236:239], v[226:227], v[24:25], v[236:239]
	s_waitcnt lgkmcnt(0)
	v_perm_b32 v227, v150, v149, s44
	v_perm_b32 v226, v148, v146, s44
	ds_read_u16 v146, v106 offset:8768
	ds_read_u16 v148, v107 offset:9040
	;; [unrolled: 1-line block ×4, first 2 shown]
	s_nop 3
	v_cvt_f16_f32_e32 v75, v236
	v_cvt_f16_f32_e32 v77, v237
	;; [unrolled: 1-line block ×4, first 2 shown]
	v_cvt_f32_f16_e32 v236, v75
	v_cvt_f32_f16_e32 v237, v77
	;; [unrolled: 1-line block ×4, first 2 shown]
	s_nop 1
	v_mfma_f32_16x16x16f16 v[236:239], v[226:227], v[22:23], v[236:239]
	s_waitcnt lgkmcnt(0)
	v_perm_b32 v227, v150, v149, s44
	v_perm_b32 v226, v148, v146, s44
	ds_read_u16 v146, v106 offset:13120
	ds_read_u16 v148, v107 offset:13392
	;; [unrolled: 1-line block ×4, first 2 shown]
	s_nop 3
	v_cvt_f16_f32_e32 v75, v236
	v_cvt_f16_f32_e32 v77, v237
	;; [unrolled: 1-line block ×4, first 2 shown]
	v_cvt_f32_f16_e32 v236, v75
	v_cvt_f32_f16_e32 v237, v77
	;; [unrolled: 1-line block ×4, first 2 shown]
	s_nop 1
	v_mfma_f32_16x16x16f16 v[236:239], v[226:227], v[20:21], v[236:239]
	s_waitcnt lgkmcnt(0)
	v_perm_b32 v227, v150, v149, s44
	v_perm_b32 v226, v148, v146, s44
	s_nop 7
	v_cvt_f16_f32_e32 v75, v236
	v_cvt_f16_f32_e32 v77, v237
	;; [unrolled: 1-line block ×4, first 2 shown]
	v_cvt_f32_f16_e32 v236, v75
	v_cvt_f32_f16_e32 v237, v77
	;; [unrolled: 1-line block ×4, first 2 shown]
	s_nop 1
	v_mfma_f32_16x16x16f16 v[236:239], v[226:227], v[18:19], v[236:239]
	s_nop 7
	s_nop 2
	v_cvt_f16_f32_e32 v75, v236
	v_cvt_f16_f32_e32 v77, v237
	v_cvt_f16_f32_e32 v144, v238
	v_cvt_f16_f32_e32 v145, v239
	v_cvt_f32_f16_e32 v236, v229
	v_pack_b32_f16 v227, v75, v77
	v_cvt_f32_f16_sdwa v237, v229 dst_sel:DWORD dst_unused:UNUSED_PAD src0_sel:WORD_1
	v_pack_b32_f16 v226, v144, v145
	ds_read_u16 v75, v106 offset:96
	ds_read_u16 v77, v107 offset:368
	ds_read_u16 v144, v122 offset:544
	ds_read_u16 v145, v108 offset:96
	v_cvt_f32_f16_e32 v238, v228
	v_cvt_f32_f16_sdwa v239, v228 dst_sel:DWORD dst_unused:UNUSED_PAD src0_sel:WORD_1
	s_waitcnt lgkmcnt(2)
	v_perm_b32 v228, v77, v75, s44
	ds_read_u16 v146, v106 offset:4448
	ds_read_u16 v148, v107 offset:4720
	;; [unrolled: 1-line block ×4, first 2 shown]
	s_waitcnt lgkmcnt(4)
	v_perm_b32 v229, v145, v144, s44
	s_nop 1
	v_mfma_f32_16x16x16f16 v[236:239], v[228:229], v[24:25], v[236:239]
	s_waitcnt lgkmcnt(0)
	v_perm_b32 v229, v150, v149, s44
	v_perm_b32 v228, v148, v146, s44
	ds_read_u16 v146, v106 offset:8800
	ds_read_u16 v148, v107 offset:9072
	ds_read_u16 v149, v124 offset:544
	ds_read_u16 v150, v108 offset:8800
	s_nop 3
	v_cvt_f16_f32_e32 v75, v236
	v_cvt_f16_f32_e32 v77, v237
	;; [unrolled: 1-line block ×4, first 2 shown]
	v_cvt_f32_f16_e32 v236, v75
	v_cvt_f32_f16_e32 v237, v77
	;; [unrolled: 1-line block ×4, first 2 shown]
	s_nop 1
	v_mfma_f32_16x16x16f16 v[236:239], v[228:229], v[22:23], v[236:239]
	s_waitcnt lgkmcnt(0)
	v_perm_b32 v229, v150, v149, s44
	v_perm_b32 v228, v148, v146, s44
	ds_read_u16 v146, v106 offset:13152
	ds_read_u16 v148, v107 offset:13424
	;; [unrolled: 1-line block ×4, first 2 shown]
	s_nop 3
	v_cvt_f16_f32_e32 v75, v236
	v_cvt_f16_f32_e32 v77, v237
	;; [unrolled: 1-line block ×4, first 2 shown]
	v_cvt_f32_f16_e32 v236, v75
	v_cvt_f32_f16_e32 v237, v77
	;; [unrolled: 1-line block ×4, first 2 shown]
	s_nop 1
	v_mfma_f32_16x16x16f16 v[236:239], v[228:229], v[20:21], v[236:239]
	s_waitcnt lgkmcnt(0)
	v_perm_b32 v229, v150, v149, s44
	v_perm_b32 v228, v148, v146, s44
	s_nop 7
	v_cvt_f16_f32_e32 v75, v236
	v_cvt_f16_f32_e32 v77, v237
	;; [unrolled: 1-line block ×4, first 2 shown]
	v_cvt_f32_f16_e32 v236, v75
	v_cvt_f32_f16_e32 v237, v77
	;; [unrolled: 1-line block ×4, first 2 shown]
	s_nop 1
	v_mfma_f32_16x16x16f16 v[236:239], v[228:229], v[18:19], v[236:239]
	s_nop 7
	s_nop 2
	v_cvt_f16_f32_e32 v75, v236
	v_cvt_f16_f32_e32 v77, v237
	;; [unrolled: 1-line block ×4, first 2 shown]
	v_cvt_f32_f16_e32 v236, v231
	v_pack_b32_f16 v229, v75, v77
	v_cvt_f32_f16_sdwa v237, v231 dst_sel:DWORD dst_unused:UNUSED_PAD src0_sel:WORD_1
	v_pack_b32_f16 v228, v144, v145
	ds_read_u16 v75, v106 offset:128
	ds_read_u16 v77, v107 offset:400
	;; [unrolled: 1-line block ×4, first 2 shown]
	v_cvt_f32_f16_e32 v238, v230
	v_cvt_f32_f16_sdwa v239, v230 dst_sel:DWORD dst_unused:UNUSED_PAD src0_sel:WORD_1
	s_waitcnt lgkmcnt(2)
	v_perm_b32 v230, v77, v75, s44
	ds_read_u16 v146, v106 offset:4480
	ds_read_u16 v148, v107 offset:4752
	;; [unrolled: 1-line block ×4, first 2 shown]
	s_waitcnt lgkmcnt(4)
	v_perm_b32 v231, v145, v144, s44
	s_nop 1
	v_mfma_f32_16x16x16f16 v[230:233], v[230:231], v[24:25], v[236:239]
	s_waitcnt lgkmcnt(0)
	s_nop 5
	v_perm_b32 v237, v150, v149, s44
	v_perm_b32 v236, v148, v146, s44
	s_nop 1
	v_cvt_f16_f32_e32 v75, v230
	v_cvt_f16_f32_e32 v77, v231
	;; [unrolled: 1-line block ×4, first 2 shown]
	v_cvt_f32_f16_e32 v230, v75
	v_cvt_f32_f16_e32 v231, v77
	;; [unrolled: 1-line block ×4, first 2 shown]
	ds_read_u16 v146, v106 offset:8832
	ds_read_u16 v148, v107 offset:9104
	;; [unrolled: 1-line block ×4, first 2 shown]
	v_mfma_f32_16x16x16f16 v[230:233], v[236:237], v[22:23], v[230:233]
	s_waitcnt lgkmcnt(2)
	v_perm_b32 v236, v148, v146, s44
	s_waitcnt lgkmcnt(0)
	v_perm_b32 v237, v150, v149, s44
	ds_read_u16 v146, v106 offset:13184
	ds_read_u16 v148, v107 offset:13456
	;; [unrolled: 1-line block ×4, first 2 shown]
	v_cvt_f32_f16_e32 v238, v32
	v_cvt_f32_f16_sdwa v239, v32 dst_sel:DWORD dst_unused:UNUSED_PAD src0_sel:WORD_1
	s_nop 0
	v_cvt_f16_f32_e32 v75, v230
	v_cvt_f16_f32_e32 v77, v231
	;; [unrolled: 1-line block ×4, first 2 shown]
	v_cvt_f32_f16_e32 v230, v75
	v_cvt_f32_f16_e32 v231, v77
	;; [unrolled: 1-line block ×4, first 2 shown]
	s_nop 1
	v_mfma_f32_16x16x16f16 v[230:233], v[236:237], v[20:21], v[230:233]
	s_waitcnt lgkmcnt(0)
	v_perm_b32 v237, v150, v149, s44
	v_perm_b32 v236, v148, v146, s44
	s_nop 7
	v_cvt_f16_f32_e32 v75, v230
	v_cvt_f16_f32_e32 v77, v231
	v_cvt_f16_f32_e32 v144, v232
	v_cvt_f16_f32_e32 v145, v233
	v_cvt_f32_f16_e32 v230, v75
	v_cvt_f32_f16_e32 v231, v77
	;; [unrolled: 1-line block ×4, first 2 shown]
	s_nop 1
	v_mfma_f32_16x16x16f16 v[230:233], v[236:237], v[18:19], v[230:233]
	v_cvt_f32_f16_e32 v236, v33
	v_cvt_f32_f16_sdwa v237, v33 dst_sel:DWORD dst_unused:UNUSED_PAD src0_sel:WORD_1
	s_nop 7
	s_nop 0
	v_cvt_f16_f32_e32 v75, v230
	v_cvt_f16_f32_e32 v77, v231
	;; [unrolled: 1-line block ×4, first 2 shown]
	v_pack_b32_f16 v231, v75, v77
	v_pack_b32_f16 v230, v144, v145
	ds_read_u16 v75, v106 offset:160
	ds_read_u16 v77, v107 offset:432
	;; [unrolled: 1-line block ×4, first 2 shown]
	s_waitcnt lgkmcnt(2)
	v_perm_b32 v32, v77, v75, s44
	s_waitcnt lgkmcnt(0)
	v_perm_b32 v33, v145, v144, s44
	ds_read_u16 v144, v106 offset:4512
	ds_read_u16 v145, v107 offset:4784
	ds_read_u16 v146, v131 offset:544
	ds_read_u16 v148, v108 offset:4512
	v_mfma_f32_16x16x16f16 v[236:239], v[32:33], v[24:25], v[236:239]
	s_nop 7
	s_nop 2
	v_cvt_f16_f32_e32 v32, v236
	v_cvt_f16_f32_e32 v33, v237
	v_cvt_f16_f32_e32 v75, v238
	v_cvt_f16_f32_e32 v77, v239
	v_cvt_f32_f16_e32 v236, v32
	v_cvt_f32_f16_e32 v237, v33
	s_waitcnt lgkmcnt(0)
	v_perm_b32 v33, v148, v146, s44
	v_perm_b32 v32, v145, v144, s44
	v_cvt_f32_f16_e32 v238, v75
	v_cvt_f32_f16_e32 v239, v77
	ds_read_u16 v144, v106 offset:8864
	ds_read_u16 v145, v107 offset:9136
	ds_read_u16 v146, v132 offset:544
	ds_read_u16 v148, v108 offset:8864
	v_mfma_f32_16x16x16f16 v[236:239], v[32:33], v[22:23], v[236:239]
	s_nop 7
	s_nop 2
	v_cvt_f16_f32_e32 v32, v236
	v_cvt_f16_f32_e32 v33, v237
	v_cvt_f16_f32_e32 v75, v238
	v_cvt_f16_f32_e32 v77, v239
	v_cvt_f32_f16_e32 v236, v32
	v_cvt_f32_f16_e32 v237, v33
	s_waitcnt lgkmcnt(0)
	v_perm_b32 v33, v148, v146, s44
	v_perm_b32 v32, v145, v144, s44
	v_cvt_f32_f16_e32 v238, v75
	v_cvt_f32_f16_e32 v239, v77
	;; [unrolled: 18-line block ×3, first 2 shown]
	s_nop 1
	v_mfma_f32_16x16x16f16 v[236:239], v[32:33], v[18:19], v[236:239]
	s_nop 7
	s_nop 2
	v_cvt_f16_f32_e32 v32, v236
	v_cvt_f16_f32_e32 v33, v237
	;; [unrolled: 1-line block ×4, first 2 shown]
	v_cvt_f32_f16_e32 v236, v29
	v_pack_b32_f16 v233, v32, v33
	v_cvt_f32_f16_sdwa v237, v29 dst_sel:DWORD dst_unused:UNUSED_PAD src0_sel:WORD_1
	v_pack_b32_f16 v232, v75, v77
	ds_read_u16 v32, v106 offset:192
	ds_read_u16 v33, v107 offset:464
	;; [unrolled: 1-line block ×4, first 2 shown]
	v_cvt_f32_f16_e32 v238, v28
	v_cvt_f32_f16_sdwa v239, v28 dst_sel:DWORD dst_unused:UNUSED_PAD src0_sel:WORD_1
	s_waitcnt lgkmcnt(2)
	v_perm_b32 v28, v33, v32, s44
	s_waitcnt lgkmcnt(0)
	v_perm_b32 v29, v77, v75, s44
	ds_read_u16 v75, v106 offset:4544
	ds_read_u16 v77, v107 offset:4816
	ds_read_u16 v144, v135 offset:544
	ds_read_u16 v145, v108 offset:4544
	v_mfma_f32_16x16x16f16 v[236:239], v[28:29], v[24:25], v[236:239]
	s_nop 7
	s_nop 2
	v_cvt_f16_f32_e32 v28, v236
	v_cvt_f16_f32_e32 v29, v237
	v_cvt_f16_f32_e32 v32, v238
	v_cvt_f16_f32_e32 v33, v239
	v_cvt_f32_f16_e32 v236, v28
	v_cvt_f32_f16_e32 v237, v29
	s_waitcnt lgkmcnt(0)
	v_perm_b32 v29, v145, v144, s44
	v_perm_b32 v28, v77, v75, s44
	v_cvt_f32_f16_e32 v238, v32
	v_cvt_f32_f16_e32 v239, v33
	ds_read_u16 v75, v106 offset:8896
	ds_read_u16 v77, v107 offset:9168
	ds_read_u16 v144, v136 offset:544
	ds_read_u16 v145, v108 offset:8896
	v_mfma_f32_16x16x16f16 v[236:239], v[28:29], v[22:23], v[236:239]
	s_nop 7
	s_nop 2
	v_cvt_f16_f32_e32 v28, v236
	v_cvt_f16_f32_e32 v29, v237
	v_cvt_f16_f32_e32 v32, v238
	v_cvt_f16_f32_e32 v33, v239
	v_cvt_f32_f16_e32 v236, v28
	v_cvt_f32_f16_e32 v237, v29
	s_waitcnt lgkmcnt(0)
	v_perm_b32 v29, v145, v144, s44
	v_perm_b32 v28, v77, v75, s44
	v_cvt_f32_f16_e32 v238, v32
	v_cvt_f32_f16_e32 v239, v33
	;; [unrolled: 18-line block ×3, first 2 shown]
	s_nop 1
	v_mfma_f32_16x16x16f16 v[236:239], v[28:29], v[18:19], v[236:239]
	s_nop 7
	s_nop 2
	v_cvt_f16_f32_e32 v28, v236
	v_cvt_f16_f32_e32 v29, v237
	;; [unrolled: 1-line block ×4, first 2 shown]
	v_cvt_f32_f16_e32 v238, v27
	v_pack_b32_f16 v237, v28, v29
	v_cvt_f32_f16_sdwa v239, v27 dst_sel:DWORD dst_unused:UNUSED_PAD src0_sel:WORD_1
	v_pack_b32_f16 v236, v32, v33
	ds_read_u16 v28, v106 offset:224
	ds_read_u16 v29, v107 offset:496
	;; [unrolled: 1-line block ×4, first 2 shown]
	s_waitcnt lgkmcnt(2)
	v_perm_b32 v26, v29, v28, s44
	s_waitcnt lgkmcnt(0)
	v_perm_b32 v27, v33, v32, s44
	ds_read_u16 v28, v106 offset:4576
	ds_read_u16 v32, v107 offset:4848
	;; [unrolled: 1-line block ×4, first 2 shown]
	v_mfma_f32_16x16x16f16 v[24:27], v[26:27], v[24:25], v[238:241]
	s_waitcnt lgkmcnt(0)
	v_perm_b32 v29, v33, v29, s44
	v_perm_b32 v28, v32, v28, s44
	s_nop 7
	v_cvt_f16_f32_e32 v24, v24
	v_cvt_f16_f32_e32 v25, v25
	;; [unrolled: 1-line block ×4, first 2 shown]
	v_cvt_f32_f16_e32 v24, v24
	v_cvt_f32_f16_e32 v25, v25
	;; [unrolled: 1-line block ×4, first 2 shown]
	s_nop 1
	v_mfma_f32_16x16x16f16 v[22:25], v[28:29], v[22:23], v[24:27]
	s_nop 6
	ds_read_u16 v26, v106 offset:8928
	ds_read_u16 v28, v107 offset:9200
	;; [unrolled: 1-line block ×4, first 2 shown]
	s_waitcnt lgkmcnt(2)
	v_perm_b32 v26, v28, v26, s44
	s_waitcnt lgkmcnt(0)
	v_perm_b32 v27, v29, v27, s44
	v_cvt_f16_f32_e32 v22, v22
	v_cvt_f16_f32_e32 v23, v23
	;; [unrolled: 1-line block ×4, first 2 shown]
	v_cvt_f32_f16_e32 v22, v22
	v_cvt_f32_f16_e32 v23, v23
	;; [unrolled: 1-line block ×4, first 2 shown]
	s_nop 1
	v_mfma_f32_16x16x16f16 v[22:25], v[26:27], v[20:21], v[22:25]
	s_nop 7
	s_nop 2
	v_cvt_f16_f32_e32 v21, v22
	v_cvt_f16_f32_e32 v22, v23
	;; [unrolled: 1-line block ×4, first 2 shown]
	ds_read_u16 v20, v106 offset:13280
	ds_read_u16 v25, v107 offset:13552
	;; [unrolled: 1-line block ×4, first 2 shown]
	v_cvt_f32_f16_e32 v238, v21
	v_cvt_f32_f16_e32 v239, v22
	s_waitcnt lgkmcnt(2)
	v_perm_b32 v20, v25, v20, s44
	v_cvt_f32_f16_e32 v240, v23
	s_waitcnt lgkmcnt(0)
	v_perm_b32 v21, v27, v26, s44
	v_cvt_f32_f16_e32 v241, v24
	s_barrier
	s_nop 0
	v_mfma_f32_16x16x16f16 v[18:21], v[20:21], v[18:19], v[238:241]
	s_nop 7
	s_nop 2
	v_cvt_f16_f32_e32 v18, v18
	v_cvt_f16_f32_e32 v19, v19
	;; [unrolled: 1-line block ×4, first 2 shown]
	v_pack_b32_f16 v238, v18, v19
	v_mov_b32_e32 v18, s67
	v_addc_co_u32_e32 v1, vcc, v1, v18, vcc
	v_add_co_u32_e32 v74, vcc, s66, v74
	v_addc_co_u32_e32 v35, vcc, v35, v18, vcc
	v_add_co_u32_e32 v76, vcc, s66, v76
	v_addc_co_u32_e32 v37, vcc, v37, v18, vcc
	v_add_co_u32_e32 v78, vcc, s66, v78
	v_addc_co_u32_e32 v57, vcc, v57, v18, vcc
	v_add_co_u32_e32 v80, vcc, s68, v80
	v_mov_b32_e32 v18, s69
	v_addc_co_u32_e32 v59, vcc, v59, v18, vcc
	v_add_co_u32_e32 v82, vcc, s68, v82
	v_addc_co_u32_e32 v61, vcc, v61, v18, vcc
	v_add_co_u32_e32 v84, vcc, s68, v84
	;; [unrolled: 2-line block ×3, first 2 shown]
	v_pack_b32_f16 v239, v20, v21
	v_addc_co_u32_e32 v73, vcc, v73, v18, vcc
	s_cbranch_scc0 .LBB25_452
; %bb.451:                              ;   in Loop: Header=BB25_386 Depth=2
	v_mov_b32_e32 v240, v31
	v_mov_b32_e32 v241, v30
	s_branch .LBB25_386
.LBB25_452:                             ;   in Loop: Header=BB25_15 Depth=1
	s_lshl_b32 s58, s92, 6
	s_lshl_b64 s[6:7], s[58:59], 1
	v_add_co_u32_e32 v1, vcc, s6, v206
	v_mov_b32_e32 v18, s7
	v_addc_co_u32_e32 v18, vcc, v205, v18, vcc
	v_lshlrev_b32_e32 v19, 1, v56
	v_add_co_u32_e32 v1, vcc, v1, v19
	v_addc_co_u32_e32 v20, vcc, 0, v18, vcc
	v_lshlrev_b64 v[18:19], 1, v[66:67]
	v_add_co_u32_e32 v18, vcc, v1, v18
	v_addc_co_u32_e32 v19, vcc, v20, v19, vcc
	global_load_dword v18, v[18:19], off
	v_add_u32_e32 v21, v175, v173
	s_mul_i32 s6, s39, s58
	s_mul_hi_u32 s7, s38, s58
	s_add_i32 s7, s7, s6
	s_mul_i32 s6, s38, s58
	s_lshl_b64 s[6:7], s[6:7], 2
	s_add_u32 s6, s87, s6
	s_addc_u32 s7, s40, s7
	s_waitcnt vmcnt(0)
	ds_write_b32 v21, v18 offset:17408
	v_lshlrev_b64 v[18:19], 1, v[68:69]
	v_add_co_u32_e32 v18, vcc, v1, v18
	v_addc_co_u32_e32 v19, vcc, v20, v19, vcc
	global_load_dword v1, v[18:19], off
	v_mov_b32_e32 v18, s7
	s_waitcnt vmcnt(0)
	ds_write_b32 v21, v1 offset:18560
	v_add_co_u32_e32 v1, vcc, s6, v48
	v_addc_co_u32_e32 v19, vcc, v18, v49, vcc
	v_add_co_u32_e32 v18, vcc, v1, v116
	v_addc_co_u32_e32 v19, vcc, 0, v19, vcc
	global_load_dwordx4 v[18:21], v[18:19], off
	v_add_co_u32_e32 v1, vcc, s6, v50
	s_waitcnt vmcnt(0)
	ds_write_b128 v103, v[18:21]
	v_mov_b32_e32 v18, s7
	v_addc_co_u32_e32 v19, vcc, v18, v51, vcc
	v_add_co_u32_e32 v18, vcc, v1, v116
	v_addc_co_u32_e32 v19, vcc, 0, v19, vcc
	global_load_dwordx4 v[18:21], v[18:19], off
	v_add_co_u32_e32 v1, vcc, s6, v52
	s_waitcnt vmcnt(0)
	ds_write_b128 v176, v[18:21]
	v_mov_b32_e32 v18, s7
	;; [unrolled: 8-line block ×3, first 2 shown]
	v_addc_co_u32_e32 v19, vcc, v18, v55, vcc
	v_add_co_u32_e32 v18, vcc, v1, v116
	v_addc_co_u32_e32 v19, vcc, 0, v19, vcc
	global_load_dwordx4 v[18:21], v[18:19], off
	v_add_u32_e32 v1, 0x1000, v101
	s_waitcnt vmcnt(0)
	ds_write_b128 v178, v[18:21]
	s_waitcnt lgkmcnt(0)
	s_barrier
	ds_read2_b64 v[18:21], v101 offset1:4
	s_waitcnt lgkmcnt(0)
	v_mfma_f32_16x16x16f16 v[22:25], v[18:19], v[14:15], 0
	v_mfma_f32_16x16x16f16 v[18:21], v[20:21], v[16:17], v[22:25]
	s_nop 7
	s_nop 1
	ds_read2_b64 v[22:25], v101 offset0:8 offset1:12
	s_waitcnt lgkmcnt(0)
	v_mfma_f32_16x16x16f16 v[18:21], v[22:23], v[10:11], v[18:21]
	v_mfma_f32_16x16x16f16 v[18:21], v[24:25], v[12:13], v[18:21]
	ds_read2_b64 v[22:25], v101 offset0:16 offset1:20
	s_waitcnt lgkmcnt(0)
	v_mfma_f32_16x16x16f16 v[18:21], v[22:23], v[6:7], v[18:21]
	v_mfma_f32_16x16x16f16 v[18:21], v[24:25], v[8:9], v[18:21]
	;; [unrolled: 4-line block ×3, first 2 shown]
	ds_read2_b64 v[22:25], v1 offset0:32 offset1:36
	s_waitcnt lgkmcnt(0)
	v_mfma_f32_16x16x16f16 v[26:29], v[22:23], v[14:15], 0
	s_nop 7
	v_cmp_nlt_f32_e64 s[6:7], |v18|, s43
	v_mfma_f32_16x16x16f16 v[22:25], v[24:25], v[16:17], v[26:29]
	s_nop 6
	ds_read2_b64 v[26:29], v1 offset0:40 offset1:44
	s_waitcnt lgkmcnt(0)
	v_mfma_f32_16x16x16f16 v[22:25], v[26:27], v[10:11], v[22:25]
	v_mfma_f32_16x16x16f16 v[22:25], v[28:29], v[12:13], v[22:25]
	ds_read2_b64 v[26:29], v1 offset0:48 offset1:52
	s_waitcnt lgkmcnt(0)
	v_mfma_f32_16x16x16f16 v[22:25], v[26:27], v[6:7], v[22:25]
	v_mfma_f32_16x16x16f16 v[22:25], v[28:29], v[8:9], v[22:25]
	ds_read2_b64 v[26:29], v1 offset0:56 offset1:60
	v_add_u32_e32 v1, 0x2000, v101
	s_waitcnt lgkmcnt(0)
	v_mfma_f32_16x16x16f16 v[22:25], v[26:27], v[2:3], v[22:25]
	v_mfma_f32_16x16x16f16 v[22:25], v[28:29], v[4:5], v[22:25]
	ds_read2_b64 v[26:29], v1 offset0:64 offset1:68
	s_waitcnt lgkmcnt(0)
	v_mfma_f32_16x16x16f16 v[64:67], v[26:27], v[14:15], 0
	v_mfma_f32_16x16x16f16 v[26:29], v[28:29], v[16:17], v[64:67]
	s_nop 7
	s_nop 1
	ds_read2_b64 v[64:67], v1 offset0:72 offset1:76
	s_waitcnt lgkmcnt(0)
	v_mfma_f32_16x16x16f16 v[26:29], v[64:65], v[10:11], v[26:29]
	v_mfma_f32_16x16x16f16 v[26:29], v[66:67], v[12:13], v[26:29]
	ds_read2_b64 v[64:67], v1 offset0:80 offset1:84
	s_waitcnt lgkmcnt(0)
	v_mfma_f32_16x16x16f16 v[26:29], v[64:65], v[6:7], v[26:29]
	v_mfma_f32_16x16x16f16 v[26:29], v[66:67], v[8:9], v[26:29]
	ds_read2_b64 v[64:67], v1 offset0:88 offset1:92
	v_add_u32_e32 v1, 0x3000, v101
	s_waitcnt lgkmcnt(0)
	v_mfma_f32_16x16x16f16 v[26:29], v[64:65], v[2:3], v[26:29]
	v_mfma_f32_16x16x16f16 v[26:29], v[66:67], v[4:5], v[26:29]
	ds_read2_b64 v[64:67], v1 offset0:96 offset1:100
	s_waitcnt lgkmcnt(0)
	v_mfma_f32_16x16x16f16 v[68:71], v[64:65], v[14:15], 0
	v_mfma_f32_16x16x16f16 v[14:17], v[66:67], v[16:17], v[68:71]
	ds_read2_b64 v[64:67], v1 offset0:104 offset1:108
	s_waitcnt lgkmcnt(0)
	v_mfma_f32_16x16x16f16 v[14:17], v[64:65], v[10:11], v[14:17]
	v_mfma_f32_16x16x16f16 v[10:13], v[66:67], v[12:13], v[14:17]
	s_nop 7
	s_nop 1
	ds_read2_b64 v[14:17], v1 offset0:112 offset1:116
	s_waitcnt lgkmcnt(0)
	v_mfma_f32_16x16x16f16 v[10:13], v[14:15], v[6:7], v[10:13]
	v_mfma_f32_16x16x16f16 v[6:9], v[16:17], v[8:9], v[10:13]
	s_nop 7
	s_nop 1
	ds_read2_b64 v[10:13], v1 offset0:120 offset1:124
	s_waitcnt lgkmcnt(0)
	v_mfma_f32_16x16x16f16 v[6:9], v[10:11], v[2:3], v[6:9]
	s_barrier
	s_waitcnt lgkmcnt(0)
                                        ; implicit-def: $vgpr1
	v_mfma_f32_16x16x16f16 v[2:5], v[12:13], v[4:5], v[6:9]
	s_and_saveexec_b64 s[40:41], s[6:7]
	s_xor_b64 s[6:7], exec, s[40:41]
	v_readlane_b32 s56, v254, 28
	s_cbranch_execz .LBB25_454
; %bb.453:                              ;   in Loop: Header=BB25_15 Depth=1
	v_add_f32_e64 v1, |v18|, |v18|
	s_nop 2
	v_mul_f32_e32 v6, 0x3fb8aa3b, v1
	v_rndne_f32_e32 v7, v6
	v_sub_f32_e32 v8, v6, v7
	v_fma_f32 v6, v1, s50, -v6
	v_fmac_f32_e32 v6, 0x32a5705f, v1
	v_add_f32_e32 v6, v8, v6
	v_cvt_i32_f32_e32 v7, v7
	v_exp_f32_e32 v6, v6
	v_cmp_ngt_f32_e32 vcc, s51, v1
	v_ldexp_f32 v6, v6, v7
	v_cndmask_b32_e32 v6, 0, v6, vcc
	v_cmp_nlt_f32_e32 vcc, s30, v1
	v_cndmask_b32_e32 v1, v203, v6, vcc
	v_add_f32_e32 v1, 1.0, v1
	v_rcp_f32_e32 v1, v1
	v_fma_f32 v1, v1, -2.0, 1.0
.LBB25_454:                             ;   in Loop: Header=BB25_15 Depth=1
	s_or_saveexec_b64 s[6:7], s[6:7]
	v_mov_b32_e32 v205, v79
	v_mov_b32_e32 v206, v83
	s_xor_b64 exec, exec, s[6:7]
; %bb.455:                              ;   in Loop: Header=BB25_15 Depth=1
	v_mul_f32_e32 v1, v18, v18
	v_mov_b32_e32 v6, 0x3ca908c9
	v_fmac_f32_e32 v6, 0xbbbac73d, v1
	v_fma_f32 v6, v1, v6, v200
	v_fma_f32 v6, v1, v6, v201
	v_fma_f32 v6, v1, v6, v202
	v_mul_f32_e64 v6, |v18|, v6
	v_fma_f32 v1, v1, v6, |v18|
; %bb.456:                              ;   in Loop: Header=BB25_15 Depth=1
	s_or_b64 exec, exec, s[6:7]
	v_cmp_nlt_f32_e64 s[6:7], |v19|, s43
                                        ; implicit-def: $vgpr6
	s_and_saveexec_b64 s[40:41], s[6:7]
	s_xor_b64 s[6:7], exec, s[40:41]
	s_cbranch_execz .LBB25_458
; %bb.457:                              ;   in Loop: Header=BB25_15 Depth=1
	v_add_f32_e64 v6, |v19|, |v19|
	v_mul_f32_e32 v7, 0x3fb8aa3b, v6
	v_rndne_f32_e32 v8, v7
	v_sub_f32_e32 v9, v7, v8
	v_fma_f32 v7, v6, s50, -v7
	v_fmac_f32_e32 v7, 0x32a5705f, v6
	v_add_f32_e32 v7, v9, v7
	v_cvt_i32_f32_e32 v8, v8
	v_exp_f32_e32 v7, v7
	v_cmp_ngt_f32_e32 vcc, s51, v6
	v_ldexp_f32 v7, v7, v8
	v_cndmask_b32_e32 v7, 0, v7, vcc
	v_cmp_nlt_f32_e32 vcc, s30, v6
	v_cndmask_b32_e32 v6, v203, v7, vcc
	v_add_f32_e32 v6, 1.0, v6
	v_rcp_f32_e32 v6, v6
	v_fma_f32 v6, v6, -2.0, 1.0
.LBB25_458:                             ;   in Loop: Header=BB25_15 Depth=1
	s_andn2_saveexec_b64 s[6:7], s[6:7]
; %bb.459:                              ;   in Loop: Header=BB25_15 Depth=1
	v_mul_f32_e32 v6, v19, v19
	v_mov_b32_e32 v7, 0x3ca908c9
	v_fmac_f32_e32 v7, 0xbbbac73d, v6
	v_fma_f32 v7, v6, v7, v200
	v_fma_f32 v7, v6, v7, v201
	;; [unrolled: 1-line block ×3, first 2 shown]
	v_mul_f32_e64 v7, |v19|, v7
	v_fma_f32 v6, v6, v7, |v19|
; %bb.460:                              ;   in Loop: Header=BB25_15 Depth=1
	s_or_b64 exec, exec, s[6:7]
	v_cmp_nlt_f32_e64 s[6:7], |v20|, s43
                                        ; implicit-def: $vgpr7
	s_and_saveexec_b64 s[40:41], s[6:7]
	s_xor_b64 s[6:7], exec, s[40:41]
	s_cbranch_execz .LBB25_462
; %bb.461:                              ;   in Loop: Header=BB25_15 Depth=1
	v_add_f32_e64 v7, |v20|, |v20|
	v_mul_f32_e32 v8, 0x3fb8aa3b, v7
	v_rndne_f32_e32 v9, v8
	v_sub_f32_e32 v10, v8, v9
	v_fma_f32 v8, v7, s50, -v8
	v_fmac_f32_e32 v8, 0x32a5705f, v7
	v_add_f32_e32 v8, v10, v8
	v_cvt_i32_f32_e32 v9, v9
	v_exp_f32_e32 v8, v8
	v_cmp_ngt_f32_e32 vcc, s51, v7
	v_ldexp_f32 v8, v8, v9
	v_cndmask_b32_e32 v8, 0, v8, vcc
	v_cmp_nlt_f32_e32 vcc, s30, v7
	v_cndmask_b32_e32 v7, v203, v8, vcc
	v_add_f32_e32 v7, 1.0, v7
	v_rcp_f32_e32 v7, v7
	v_fma_f32 v7, v7, -2.0, 1.0
.LBB25_462:                             ;   in Loop: Header=BB25_15 Depth=1
	s_andn2_saveexec_b64 s[6:7], s[6:7]
; %bb.463:                              ;   in Loop: Header=BB25_15 Depth=1
	v_mul_f32_e32 v7, v20, v20
	v_mov_b32_e32 v8, 0x3ca908c9
	v_fmac_f32_e32 v8, 0xbbbac73d, v7
	v_fma_f32 v8, v7, v8, v200
	v_fma_f32 v8, v7, v8, v201
	;; [unrolled: 1-line block ×3, first 2 shown]
	v_mul_f32_e64 v8, |v20|, v8
	v_fma_f32 v7, v7, v8, |v20|
; %bb.464:                              ;   in Loop: Header=BB25_15 Depth=1
	s_or_b64 exec, exec, s[6:7]
	v_cmp_nlt_f32_e64 s[6:7], |v21|, s43
                                        ; implicit-def: $vgpr8
	s_and_saveexec_b64 s[40:41], s[6:7]
	s_xor_b64 s[6:7], exec, s[40:41]
	s_cbranch_execz .LBB25_466
; %bb.465:                              ;   in Loop: Header=BB25_15 Depth=1
	v_add_f32_e64 v8, |v21|, |v21|
	v_mul_f32_e32 v9, 0x3fb8aa3b, v8
	v_rndne_f32_e32 v10, v9
	v_sub_f32_e32 v11, v9, v10
	v_fma_f32 v9, v8, s50, -v9
	v_fmac_f32_e32 v9, 0x32a5705f, v8
	v_add_f32_e32 v9, v11, v9
	v_cvt_i32_f32_e32 v10, v10
	v_exp_f32_e32 v9, v9
	v_cmp_ngt_f32_e32 vcc, s51, v8
	v_ldexp_f32 v9, v9, v10
	v_cndmask_b32_e32 v9, 0, v9, vcc
	v_cmp_nlt_f32_e32 vcc, s30, v8
	v_cndmask_b32_e32 v8, v203, v9, vcc
	v_add_f32_e32 v8, 1.0, v8
	v_rcp_f32_e32 v8, v8
	v_fma_f32 v8, v8, -2.0, 1.0
.LBB25_466:                             ;   in Loop: Header=BB25_15 Depth=1
	s_andn2_saveexec_b64 s[6:7], s[6:7]
; %bb.467:                              ;   in Loop: Header=BB25_15 Depth=1
	v_mul_f32_e32 v8, v21, v21
	v_mov_b32_e32 v9, 0x3ca908c9
	v_fmac_f32_e32 v9, 0xbbbac73d, v8
	v_fma_f32 v9, v8, v9, v200
	v_fma_f32 v9, v8, v9, v201
	;; [unrolled: 1-line block ×3, first 2 shown]
	v_mul_f32_e64 v9, |v21|, v9
	v_fma_f32 v8, v8, v9, |v21|
; %bb.468:                              ;   in Loop: Header=BB25_15 Depth=1
	s_or_b64 exec, exec, s[6:7]
	v_cmp_nlt_f32_e64 s[6:7], |v22|, s43
                                        ; implicit-def: $vgpr9
	s_and_saveexec_b64 s[40:41], s[6:7]
	s_xor_b64 s[6:7], exec, s[40:41]
	s_cbranch_execz .LBB25_470
; %bb.469:                              ;   in Loop: Header=BB25_15 Depth=1
	v_add_f32_e64 v9, |v22|, |v22|
	v_mul_f32_e32 v10, 0x3fb8aa3b, v9
	v_rndne_f32_e32 v11, v10
	v_sub_f32_e32 v12, v10, v11
	v_fma_f32 v10, v9, s50, -v10
	v_fmac_f32_e32 v10, 0x32a5705f, v9
	v_add_f32_e32 v10, v12, v10
	v_cvt_i32_f32_e32 v11, v11
	v_exp_f32_e32 v10, v10
	v_cmp_ngt_f32_e32 vcc, s51, v9
	v_ldexp_f32 v10, v10, v11
	v_cndmask_b32_e32 v10, 0, v10, vcc
	v_cmp_nlt_f32_e32 vcc, s30, v9
	v_cndmask_b32_e32 v9, v203, v10, vcc
	v_add_f32_e32 v9, 1.0, v9
	v_rcp_f32_e32 v9, v9
	v_fma_f32 v9, v9, -2.0, 1.0
.LBB25_470:                             ;   in Loop: Header=BB25_15 Depth=1
	s_andn2_saveexec_b64 s[6:7], s[6:7]
; %bb.471:                              ;   in Loop: Header=BB25_15 Depth=1
	v_mul_f32_e32 v9, v22, v22
	v_mov_b32_e32 v10, 0x3ca908c9
	v_fmac_f32_e32 v10, 0xbbbac73d, v9
	v_fma_f32 v10, v9, v10, v200
	v_fma_f32 v10, v9, v10, v201
	;; [unrolled: 1-line block ×3, first 2 shown]
	v_mul_f32_e64 v10, |v22|, v10
	v_fma_f32 v9, v9, v10, |v22|
; %bb.472:                              ;   in Loop: Header=BB25_15 Depth=1
	s_or_b64 exec, exec, s[6:7]
	v_cmp_nlt_f32_e64 s[6:7], |v23|, s43
                                        ; implicit-def: $vgpr10
	s_and_saveexec_b64 s[40:41], s[6:7]
	s_xor_b64 s[6:7], exec, s[40:41]
	s_cbranch_execz .LBB25_474
; %bb.473:                              ;   in Loop: Header=BB25_15 Depth=1
	v_add_f32_e64 v10, |v23|, |v23|
	v_mul_f32_e32 v11, 0x3fb8aa3b, v10
	v_rndne_f32_e32 v12, v11
	v_sub_f32_e32 v13, v11, v12
	v_fma_f32 v11, v10, s50, -v11
	v_fmac_f32_e32 v11, 0x32a5705f, v10
	v_add_f32_e32 v11, v13, v11
	v_cvt_i32_f32_e32 v12, v12
	v_exp_f32_e32 v11, v11
	v_cmp_ngt_f32_e32 vcc, s51, v10
	v_ldexp_f32 v11, v11, v12
	v_cndmask_b32_e32 v11, 0, v11, vcc
	v_cmp_nlt_f32_e32 vcc, s30, v10
	v_cndmask_b32_e32 v10, v203, v11, vcc
	v_add_f32_e32 v10, 1.0, v10
	v_rcp_f32_e32 v10, v10
	v_fma_f32 v10, v10, -2.0, 1.0
.LBB25_474:                             ;   in Loop: Header=BB25_15 Depth=1
	s_andn2_saveexec_b64 s[6:7], s[6:7]
; %bb.475:                              ;   in Loop: Header=BB25_15 Depth=1
	v_mul_f32_e32 v10, v23, v23
	v_mov_b32_e32 v11, 0x3ca908c9
	v_fmac_f32_e32 v11, 0xbbbac73d, v10
	v_fma_f32 v11, v10, v11, v200
	v_fma_f32 v11, v10, v11, v201
	;; [unrolled: 1-line block ×3, first 2 shown]
	v_mul_f32_e64 v11, |v23|, v11
	v_fma_f32 v10, v10, v11, |v23|
; %bb.476:                              ;   in Loop: Header=BB25_15 Depth=1
	s_or_b64 exec, exec, s[6:7]
	v_cmp_nlt_f32_e64 s[6:7], |v24|, s43
                                        ; implicit-def: $vgpr11
	s_and_saveexec_b64 s[40:41], s[6:7]
	s_xor_b64 s[6:7], exec, s[40:41]
	s_cbranch_execz .LBB25_478
; %bb.477:                              ;   in Loop: Header=BB25_15 Depth=1
	v_add_f32_e64 v11, |v24|, |v24|
	v_mul_f32_e32 v12, 0x3fb8aa3b, v11
	v_rndne_f32_e32 v13, v12
	v_sub_f32_e32 v14, v12, v13
	v_fma_f32 v12, v11, s50, -v12
	v_fmac_f32_e32 v12, 0x32a5705f, v11
	v_add_f32_e32 v12, v14, v12
	v_cvt_i32_f32_e32 v13, v13
	v_exp_f32_e32 v12, v12
	v_cmp_ngt_f32_e32 vcc, s51, v11
	v_ldexp_f32 v12, v12, v13
	v_cndmask_b32_e32 v12, 0, v12, vcc
	v_cmp_nlt_f32_e32 vcc, s30, v11
	v_cndmask_b32_e32 v11, v203, v12, vcc
	v_add_f32_e32 v11, 1.0, v11
	v_rcp_f32_e32 v11, v11
	v_fma_f32 v11, v11, -2.0, 1.0
.LBB25_478:                             ;   in Loop: Header=BB25_15 Depth=1
	s_andn2_saveexec_b64 s[6:7], s[6:7]
; %bb.479:                              ;   in Loop: Header=BB25_15 Depth=1
	v_mul_f32_e32 v11, v24, v24
	v_mov_b32_e32 v12, 0x3ca908c9
	v_fmac_f32_e32 v12, 0xbbbac73d, v11
	v_fma_f32 v12, v11, v12, v200
	v_fma_f32 v12, v11, v12, v201
	;; [unrolled: 1-line block ×3, first 2 shown]
	v_mul_f32_e64 v12, |v24|, v12
	v_fma_f32 v11, v11, v12, |v24|
; %bb.480:                              ;   in Loop: Header=BB25_15 Depth=1
	s_or_b64 exec, exec, s[6:7]
	v_cmp_nlt_f32_e64 s[6:7], |v25|, s43
                                        ; implicit-def: $vgpr12
	s_and_saveexec_b64 s[40:41], s[6:7]
	s_xor_b64 s[6:7], exec, s[40:41]
	s_cbranch_execz .LBB25_482
; %bb.481:                              ;   in Loop: Header=BB25_15 Depth=1
	v_add_f32_e64 v12, |v25|, |v25|
	v_mul_f32_e32 v13, 0x3fb8aa3b, v12
	v_rndne_f32_e32 v14, v13
	v_sub_f32_e32 v15, v13, v14
	v_fma_f32 v13, v12, s50, -v13
	v_fmac_f32_e32 v13, 0x32a5705f, v12
	v_add_f32_e32 v13, v15, v13
	v_cvt_i32_f32_e32 v14, v14
	v_exp_f32_e32 v13, v13
	v_cmp_ngt_f32_e32 vcc, s51, v12
	v_ldexp_f32 v13, v13, v14
	v_cndmask_b32_e32 v13, 0, v13, vcc
	v_cmp_nlt_f32_e32 vcc, s30, v12
	v_cndmask_b32_e32 v12, v203, v13, vcc
	v_add_f32_e32 v12, 1.0, v12
	v_rcp_f32_e32 v12, v12
	v_fma_f32 v12, v12, -2.0, 1.0
.LBB25_482:                             ;   in Loop: Header=BB25_15 Depth=1
	s_andn2_saveexec_b64 s[6:7], s[6:7]
; %bb.483:                              ;   in Loop: Header=BB25_15 Depth=1
	v_mul_f32_e32 v12, v25, v25
	v_mov_b32_e32 v13, 0x3ca908c9
	v_fmac_f32_e32 v13, 0xbbbac73d, v12
	v_fma_f32 v13, v12, v13, v200
	v_fma_f32 v13, v12, v13, v201
	;; [unrolled: 1-line block ×3, first 2 shown]
	v_mul_f32_e64 v13, |v25|, v13
	v_fma_f32 v12, v12, v13, |v25|
; %bb.484:                              ;   in Loop: Header=BB25_15 Depth=1
	s_or_b64 exec, exec, s[6:7]
	v_cmp_nlt_f32_e64 s[6:7], |v26|, s43
                                        ; implicit-def: $vgpr13
	s_and_saveexec_b64 s[40:41], s[6:7]
	s_xor_b64 s[6:7], exec, s[40:41]
	s_cbranch_execz .LBB25_486
; %bb.485:                              ;   in Loop: Header=BB25_15 Depth=1
	v_add_f32_e64 v13, |v26|, |v26|
	v_mul_f32_e32 v14, 0x3fb8aa3b, v13
	v_rndne_f32_e32 v15, v14
	v_sub_f32_e32 v16, v14, v15
	v_fma_f32 v14, v13, s50, -v14
	v_fmac_f32_e32 v14, 0x32a5705f, v13
	v_add_f32_e32 v14, v16, v14
	v_cvt_i32_f32_e32 v15, v15
	v_exp_f32_e32 v14, v14
	v_cmp_ngt_f32_e32 vcc, s51, v13
	v_ldexp_f32 v14, v14, v15
	v_cndmask_b32_e32 v14, 0, v14, vcc
	v_cmp_nlt_f32_e32 vcc, s30, v13
	v_cndmask_b32_e32 v13, v203, v14, vcc
	v_add_f32_e32 v13, 1.0, v13
	v_rcp_f32_e32 v13, v13
	v_fma_f32 v13, v13, -2.0, 1.0
.LBB25_486:                             ;   in Loop: Header=BB25_15 Depth=1
	s_andn2_saveexec_b64 s[6:7], s[6:7]
; %bb.487:                              ;   in Loop: Header=BB25_15 Depth=1
	v_mul_f32_e32 v13, v26, v26
	v_mov_b32_e32 v14, 0x3ca908c9
	v_fmac_f32_e32 v14, 0xbbbac73d, v13
	v_fma_f32 v14, v13, v14, v200
	v_fma_f32 v14, v13, v14, v201
	;; [unrolled: 1-line block ×3, first 2 shown]
	v_mul_f32_e64 v14, |v26|, v14
	v_fma_f32 v13, v13, v14, |v26|
; %bb.488:                              ;   in Loop: Header=BB25_15 Depth=1
	s_or_b64 exec, exec, s[6:7]
	v_cmp_nlt_f32_e64 s[6:7], |v27|, s43
                                        ; implicit-def: $vgpr14
	s_and_saveexec_b64 s[40:41], s[6:7]
	s_xor_b64 s[6:7], exec, s[40:41]
	s_cbranch_execz .LBB25_490
; %bb.489:                              ;   in Loop: Header=BB25_15 Depth=1
	v_add_f32_e64 v14, |v27|, |v27|
	v_mul_f32_e32 v15, 0x3fb8aa3b, v14
	v_rndne_f32_e32 v16, v15
	v_sub_f32_e32 v17, v15, v16
	v_fma_f32 v15, v14, s50, -v15
	v_fmac_f32_e32 v15, 0x32a5705f, v14
	v_add_f32_e32 v15, v17, v15
	v_cvt_i32_f32_e32 v16, v16
	v_exp_f32_e32 v15, v15
	v_cmp_ngt_f32_e32 vcc, s51, v14
	v_ldexp_f32 v15, v15, v16
	v_cndmask_b32_e32 v15, 0, v15, vcc
	v_cmp_nlt_f32_e32 vcc, s30, v14
	v_cndmask_b32_e32 v14, v203, v15, vcc
	v_add_f32_e32 v14, 1.0, v14
	v_rcp_f32_e32 v14, v14
	v_fma_f32 v14, v14, -2.0, 1.0
.LBB25_490:                             ;   in Loop: Header=BB25_15 Depth=1
	s_andn2_saveexec_b64 s[6:7], s[6:7]
; %bb.491:                              ;   in Loop: Header=BB25_15 Depth=1
	v_mul_f32_e32 v14, v27, v27
	v_mov_b32_e32 v15, 0x3ca908c9
	v_fmac_f32_e32 v15, 0xbbbac73d, v14
	v_fma_f32 v15, v14, v15, v200
	v_fma_f32 v15, v14, v15, v201
	;; [unrolled: 1-line block ×3, first 2 shown]
	v_mul_f32_e64 v15, |v27|, v15
	v_fma_f32 v14, v14, v15, |v27|
; %bb.492:                              ;   in Loop: Header=BB25_15 Depth=1
	s_or_b64 exec, exec, s[6:7]
	v_cmp_nlt_f32_e64 s[6:7], |v28|, s43
                                        ; implicit-def: $vgpr15
	s_and_saveexec_b64 s[40:41], s[6:7]
	s_xor_b64 s[6:7], exec, s[40:41]
	s_cbranch_execz .LBB25_494
; %bb.493:                              ;   in Loop: Header=BB25_15 Depth=1
	v_add_f32_e64 v15, |v28|, |v28|
	v_mul_f32_e32 v16, 0x3fb8aa3b, v15
	v_rndne_f32_e32 v17, v16
	v_sub_f32_e32 v32, v16, v17
	v_fma_f32 v16, v15, s50, -v16
	v_fmac_f32_e32 v16, 0x32a5705f, v15
	v_add_f32_e32 v16, v32, v16
	v_cvt_i32_f32_e32 v17, v17
	v_exp_f32_e32 v16, v16
	v_cmp_ngt_f32_e32 vcc, s51, v15
	v_ldexp_f32 v16, v16, v17
	v_cndmask_b32_e32 v16, 0, v16, vcc
	v_cmp_nlt_f32_e32 vcc, s30, v15
	v_cndmask_b32_e32 v15, v203, v16, vcc
	v_add_f32_e32 v15, 1.0, v15
	v_rcp_f32_e32 v15, v15
	v_fma_f32 v15, v15, -2.0, 1.0
.LBB25_494:                             ;   in Loop: Header=BB25_15 Depth=1
	s_andn2_saveexec_b64 s[6:7], s[6:7]
; %bb.495:                              ;   in Loop: Header=BB25_15 Depth=1
	v_mul_f32_e32 v15, v28, v28
	v_mov_b32_e32 v16, 0x3ca908c9
	v_fmac_f32_e32 v16, 0xbbbac73d, v15
	v_fma_f32 v16, v15, v16, v200
	v_fma_f32 v16, v15, v16, v201
	;; [unrolled: 1-line block ×3, first 2 shown]
	v_mul_f32_e64 v16, |v28|, v16
	v_fma_f32 v15, v15, v16, |v28|
; %bb.496:                              ;   in Loop: Header=BB25_15 Depth=1
	s_or_b64 exec, exec, s[6:7]
	v_cmp_nlt_f32_e64 s[6:7], |v29|, s43
                                        ; implicit-def: $vgpr16
	s_and_saveexec_b64 s[40:41], s[6:7]
	s_xor_b64 s[6:7], exec, s[40:41]
	s_cbranch_execz .LBB25_498
; %bb.497:                              ;   in Loop: Header=BB25_15 Depth=1
	v_add_f32_e64 v16, |v29|, |v29|
	v_mul_f32_e32 v17, 0x3fb8aa3b, v16
	v_rndne_f32_e32 v32, v17
	v_sub_f32_e32 v33, v17, v32
	v_fma_f32 v17, v16, s50, -v17
	v_fmac_f32_e32 v17, 0x32a5705f, v16
	v_add_f32_e32 v17, v33, v17
	v_cvt_i32_f32_e32 v32, v32
	v_exp_f32_e32 v17, v17
	v_cmp_ngt_f32_e32 vcc, s51, v16
	v_ldexp_f32 v17, v17, v32
	v_cndmask_b32_e32 v17, 0, v17, vcc
	v_cmp_nlt_f32_e32 vcc, s30, v16
	v_cndmask_b32_e32 v16, v203, v17, vcc
	v_add_f32_e32 v16, 1.0, v16
	v_rcp_f32_e32 v16, v16
	v_fma_f32 v16, v16, -2.0, 1.0
.LBB25_498:                             ;   in Loop: Header=BB25_15 Depth=1
	s_andn2_saveexec_b64 s[6:7], s[6:7]
; %bb.499:                              ;   in Loop: Header=BB25_15 Depth=1
	v_mul_f32_e32 v16, v29, v29
	v_mov_b32_e32 v17, 0x3ca908c9
	v_fmac_f32_e32 v17, 0xbbbac73d, v16
	v_fma_f32 v17, v16, v17, v200
	v_fma_f32 v17, v16, v17, v201
	;; [unrolled: 1-line block ×3, first 2 shown]
	v_mul_f32_e64 v17, |v29|, v17
	v_fma_f32 v16, v16, v17, |v29|
; %bb.500:                              ;   in Loop: Header=BB25_15 Depth=1
	s_or_b64 exec, exec, s[6:7]
	v_cmp_nlt_f32_e64 s[6:7], |v2|, s43
                                        ; implicit-def: $vgpr17
	s_and_saveexec_b64 s[40:41], s[6:7]
	s_xor_b64 s[6:7], exec, s[40:41]
	s_cbranch_execz .LBB25_502
; %bb.501:                              ;   in Loop: Header=BB25_15 Depth=1
	v_add_f32_e64 v17, |v2|, |v2|
	v_mul_f32_e32 v32, 0x3fb8aa3b, v17
	v_rndne_f32_e32 v33, v32
	v_sub_f32_e32 v35, v32, v33
	v_fma_f32 v32, v17, s50, -v32
	v_fmac_f32_e32 v32, 0x32a5705f, v17
	v_add_f32_e32 v32, v35, v32
	v_cvt_i32_f32_e32 v33, v33
	v_exp_f32_e32 v32, v32
	v_cmp_ngt_f32_e32 vcc, s51, v17
	v_ldexp_f32 v32, v32, v33
	v_cndmask_b32_e32 v32, 0, v32, vcc
	v_cmp_nlt_f32_e32 vcc, s30, v17
	v_cndmask_b32_e32 v17, v203, v32, vcc
	v_add_f32_e32 v17, 1.0, v17
	v_rcp_f32_e32 v17, v17
	v_fma_f32 v17, v17, -2.0, 1.0
.LBB25_502:                             ;   in Loop: Header=BB25_15 Depth=1
	s_andn2_saveexec_b64 s[6:7], s[6:7]
; %bb.503:                              ;   in Loop: Header=BB25_15 Depth=1
	v_mul_f32_e32 v17, v2, v2
	v_mov_b32_e32 v32, 0x3ca908c9
	v_fmac_f32_e32 v32, 0xbbbac73d, v17
	v_fma_f32 v32, v17, v32, v200
	v_fma_f32 v32, v17, v32, v201
	;; [unrolled: 1-line block ×3, first 2 shown]
	v_mul_f32_e64 v32, |v2|, v32
	v_fma_f32 v17, v17, v32, |v2|
; %bb.504:                              ;   in Loop: Header=BB25_15 Depth=1
	s_or_b64 exec, exec, s[6:7]
	v_cmp_nlt_f32_e64 s[6:7], |v3|, s43
                                        ; implicit-def: $vgpr32
	s_and_saveexec_b64 s[40:41], s[6:7]
	s_xor_b64 s[6:7], exec, s[40:41]
	s_cbranch_execz .LBB25_506
; %bb.505:                              ;   in Loop: Header=BB25_15 Depth=1
	v_add_f32_e64 v32, |v3|, |v3|
	v_mul_f32_e32 v33, 0x3fb8aa3b, v32
	v_rndne_f32_e32 v35, v33
	v_sub_f32_e32 v37, v33, v35
	v_fma_f32 v33, v32, s50, -v33
	v_fmac_f32_e32 v33, 0x32a5705f, v32
	v_add_f32_e32 v33, v37, v33
	v_cvt_i32_f32_e32 v35, v35
	v_exp_f32_e32 v33, v33
	v_cmp_ngt_f32_e32 vcc, s51, v32
	v_ldexp_f32 v33, v33, v35
	v_cndmask_b32_e32 v33, 0, v33, vcc
	v_cmp_nlt_f32_e32 vcc, s30, v32
	v_cndmask_b32_e32 v32, v203, v33, vcc
	v_add_f32_e32 v32, 1.0, v32
	v_rcp_f32_e32 v32, v32
	v_fma_f32 v32, v32, -2.0, 1.0
.LBB25_506:                             ;   in Loop: Header=BB25_15 Depth=1
	s_andn2_saveexec_b64 s[6:7], s[6:7]
; %bb.507:                              ;   in Loop: Header=BB25_15 Depth=1
	v_mul_f32_e32 v32, v3, v3
	v_mov_b32_e32 v33, 0x3ca908c9
	v_fmac_f32_e32 v33, 0xbbbac73d, v32
	v_fma_f32 v33, v32, v33, v200
	v_fma_f32 v33, v32, v33, v201
	;; [unrolled: 1-line block ×3, first 2 shown]
	v_mul_f32_e64 v33, |v3|, v33
	v_fma_f32 v32, v32, v33, |v3|
; %bb.508:                              ;   in Loop: Header=BB25_15 Depth=1
	s_or_b64 exec, exec, s[6:7]
	v_cmp_nlt_f32_e64 s[6:7], |v4|, s43
                                        ; implicit-def: $vgpr33
	s_and_saveexec_b64 s[40:41], s[6:7]
	s_xor_b64 s[6:7], exec, s[40:41]
	s_cbranch_execz .LBB25_510
; %bb.509:                              ;   in Loop: Header=BB25_15 Depth=1
	v_add_f32_e64 v33, |v4|, |v4|
	v_mul_f32_e32 v35, 0x3fb8aa3b, v33
	v_rndne_f32_e32 v37, v35
	v_sub_f32_e32 v57, v35, v37
	v_fma_f32 v35, v33, s50, -v35
	v_fmac_f32_e32 v35, 0x32a5705f, v33
	v_add_f32_e32 v35, v57, v35
	v_cvt_i32_f32_e32 v37, v37
	v_exp_f32_e32 v35, v35
	v_cmp_ngt_f32_e32 vcc, s51, v33
	v_ldexp_f32 v35, v35, v37
	v_cndmask_b32_e32 v35, 0, v35, vcc
	v_cmp_nlt_f32_e32 vcc, s30, v33
	v_cndmask_b32_e32 v33, v203, v35, vcc
	v_add_f32_e32 v33, 1.0, v33
	v_rcp_f32_e32 v33, v33
	v_fma_f32 v33, v33, -2.0, 1.0
.LBB25_510:                             ;   in Loop: Header=BB25_15 Depth=1
	s_andn2_saveexec_b64 s[6:7], s[6:7]
; %bb.511:                              ;   in Loop: Header=BB25_15 Depth=1
	v_mul_f32_e32 v33, v4, v4
	v_mov_b32_e32 v35, 0x3ca908c9
	v_fmac_f32_e32 v35, 0xbbbac73d, v33
	v_fma_f32 v35, v33, v35, v200
	v_fma_f32 v35, v33, v35, v201
	;; [unrolled: 1-line block ×3, first 2 shown]
	v_mul_f32_e64 v35, |v4|, v35
	v_fma_f32 v33, v33, v35, |v4|
; %bb.512:                              ;   in Loop: Header=BB25_15 Depth=1
	s_or_b64 exec, exec, s[6:7]
	v_cmp_nlt_f32_e64 s[6:7], |v5|, s43
                                        ; implicit-def: $vgpr35
	s_and_saveexec_b64 s[40:41], s[6:7]
	s_xor_b64 s[6:7], exec, s[40:41]
	s_cbranch_execz .LBB25_514
; %bb.513:                              ;   in Loop: Header=BB25_15 Depth=1
	v_add_f32_e64 v35, |v5|, |v5|
	v_mul_f32_e32 v37, 0x3fb8aa3b, v35
	v_rndne_f32_e32 v57, v37
	v_sub_f32_e32 v59, v37, v57
	v_fma_f32 v37, v35, s50, -v37
	v_fmac_f32_e32 v37, 0x32a5705f, v35
	v_add_f32_e32 v37, v59, v37
	v_cvt_i32_f32_e32 v57, v57
	v_exp_f32_e32 v37, v37
	v_cmp_ngt_f32_e32 vcc, s51, v35
	v_ldexp_f32 v37, v37, v57
	v_cndmask_b32_e32 v37, 0, v37, vcc
	v_cmp_nlt_f32_e32 vcc, s30, v35
	v_cndmask_b32_e32 v35, v203, v37, vcc
	v_add_f32_e32 v35, 1.0, v35
	v_rcp_f32_e32 v35, v35
	v_fma_f32 v35, v35, -2.0, 1.0
.LBB25_514:                             ;   in Loop: Header=BB25_15 Depth=1
	s_andn2_saveexec_b64 s[6:7], s[6:7]
; %bb.515:                              ;   in Loop: Header=BB25_15 Depth=1
	v_mul_f32_e32 v35, v5, v5
	v_mov_b32_e32 v37, 0x3ca908c9
	v_fmac_f32_e32 v37, 0xbbbac73d, v35
	v_fma_f32 v37, v35, v37, v200
	v_fma_f32 v37, v35, v37, v201
	;; [unrolled: 1-line block ×3, first 2 shown]
	v_mul_f32_e64 v37, |v5|, v37
	v_fma_f32 v35, v35, v37, |v5|
; %bb.516:                              ;   in Loop: Header=BB25_15 Depth=1
	s_or_b64 exec, exec, s[6:7]
	v_bfi_b32 v18, s0, v1, v18
	v_add_u32_e32 v1, 0x4400, v179
	v_bfi_b32 v64, s0, v17, v2
	v_bfi_b32 v17, s0, v16, v29
	;; [unrolled: 1-line block ×7, first 2 shown]
	ds_read_b32 v2, v104 offset:17408
	ds_read_b32 v26, v105 offset:17408
	ds_read2_b32 v[24:25], v1 offset1:1
	v_add_u32_e32 v1, 0x4400, v180
	v_bfi_b32 v23, s0, v10, v23
	ds_read2_b32 v[10:11], v1 offset1:1
	v_add_u32_e32 v1, 0x4400, v181
	v_bfi_b32 v20, s0, v7, v20
	v_bfi_b32 v19, s0, v6, v19
	ds_read2_b32 v[6:7], v1 offset1:1
	v_and_b32_e32 v1, 64, v170
	v_bfi_b32 v65, s0, v32, v3
	v_add_u32_e32 v1, 64, v1
	v_xor_b32_e32 v3, 32, v170
	v_bfi_b32 v21, s0, v8, v21
	v_cmp_lt_i32_e32 vcc, v3, v1
	v_xor_b32_e32 v8, 16, v170
	v_cndmask_b32_e32 v3, v170, v3, vcc
	v_cmp_lt_i32_e32 vcc, v8, v1
	v_bfi_b32 v22, s0, v9, v22
	v_cndmask_b32_e32 v1, v170, v8, vcc
	s_waitcnt lgkmcnt(0)
	v_cvt_f32_f16_e32 v8, v7
	v_cvt_f32_f16_sdwa v9, v7 dst_sel:DWORD dst_unused:UNUSED_PAD src0_sel:WORD_1
	v_bfi_b32 v5, s0, v35, v5
	v_bfi_b32 v4, s0, v33, v4
	v_lshlrev_b32_e32 v3, 2, v3
	v_pk_fma_f32 v[4:5], v[4:5], s[36:37], v[8:9]
	v_cvt_f32_f16_e32 v8, v6
	v_cvt_f32_f16_sdwa v9, v6 dst_sel:DWORD dst_unused:UNUSED_PAD src0_sel:WORD_1
	v_add_f32_e32 v27, 0x40051340, v4
	v_add_f32_e32 v28, 0x40051340, v5
	v_lshlrev_b32_e32 v1, 2, v1
	v_pk_fma_f32 v[6:7], v[64:65], s[36:37], v[8:9]
	v_cvt_f32_f16_e32 v8, v11
	v_cvt_f32_f16_sdwa v9, v11 dst_sel:DWORD dst_unused:UNUSED_PAD src0_sel:WORD_1
	v_add_f32_e32 v29, 0x40051340, v6
	v_add_f32_e32 v32, 0x40051340, v7
	s_mul_i32 s6, s58, s27
	v_pk_fma_f32 v[8:9], v[16:17], s[36:37], v[8:9]
	v_cvt_f32_f16_e32 v16, v10
	v_cvt_f32_f16_sdwa v17, v10 dst_sel:DWORD dst_unused:UNUSED_PAD src0_sel:WORD_1
	v_add_f32_e32 v33, 0x40051340, v8
	v_add_f32_e32 v35, 0x40051340, v9
	s_mul_hi_u32 s7, s58, s26
	v_pk_fma_f32 v[10:11], v[14:15], s[36:37], v[16:17]
	v_cvt_f32_f16_e32 v14, v25
	v_cvt_f32_f16_sdwa v15, v25 dst_sel:DWORD dst_unused:UNUSED_PAD src0_sel:WORD_1
	v_add_f32_e32 v37, 0x40051340, v10
	v_add_f32_e32 v57, 0x40051340, v11
	s_add_i32 s7, s7, s6
	v_pk_fma_f32 v[12:13], v[12:13], s[36:37], v[14:15]
	v_cvt_f32_f16_e32 v14, v24
	v_cvt_f32_f16_sdwa v15, v24 dst_sel:DWORD dst_unused:UNUSED_PAD src0_sel:WORD_1
	v_add_f32_e32 v25, 0x40051340, v12
	v_add_f32_e32 v59, 0x40051340, v13
	s_mul_i32 s6, s58, s26
	v_pk_fma_f32 v[16:17], v[22:23], s[36:37], v[14:15]
	v_cvt_f32_f16_sdwa v15, v26 dst_sel:DWORD dst_unused:UNUSED_PAD src0_sel:WORD_1
	v_cvt_f32_f16_e32 v14, v26
	v_add_f32_e32 v22, 0x40051340, v16
	v_add_f32_e32 v23, 0x40051340, v17
	s_lshl_b64 s[6:7], s[6:7], 2
	v_pk_fma_f32 v[20:21], v[20:21], s[36:37], v[14:15]
	v_cvt_f32_f16_sdwa v15, v2 dst_sel:DWORD dst_unused:UNUSED_PAD src0_sel:WORD_1
	v_cvt_f32_f16_e32 v14, v2
	v_add_f32_e32 v24, 0x40051340, v20
	v_add_f32_e32 v26, 0x40051340, v21
	s_add_u32 s6, s48, s6
	v_pk_fma_f32 v[14:15], v[18:19], s[36:37], v[14:15]
	v_add_f32_e32 v2, 0x40051340, v14
	v_add_f32_e32 v18, 0x40051340, v15
	v_max3_f32 v2, v30, v2, v18
	v_max3_f32 v2, v2, v24, v26
	;; [unrolled: 1-line block ×8, first 2 shown]
	ds_bpermute_b32 v18, v3, v2
	s_addc_u32 s7, s86, s7
	s_cmp_lg_u64 s[70:71], 0
	s_waitcnt lgkmcnt(0)
	v_max_f32_e32 v18, v18, v18
	v_max_f32_e32 v2, v2, v18
	ds_bpermute_b32 v18, v1, v2
	s_waitcnt lgkmcnt(0)
	v_max_f32_e32 v18, v18, v18
	v_max_f32_e32 v2, v2, v18
	v_pk_add_f32 v[18:19], v[14:15], v[2:3] op_sel_hi:[1,0] neg_lo:[0,1] neg_hi:[0,1]
	v_mul_f32_e32 v14, 0x3fb8aa3b, v19
	v_fma_f32 v15, v19, s50, -v14
	v_rndne_f32_e32 v22, v14
	v_fmac_f32_e32 v15, 0x32a5705f, v19
	v_sub_f32_e32 v14, v14, v22
	v_add_f32_e32 v14, v14, v15
	v_exp_f32_e32 v14, v14
	v_cvt_i32_f32_e32 v15, v22
	v_cmp_ngt_f32_e32 vcc, s51, v19
	v_pk_add_f32 v[16:17], v[16:17], v[2:3] op_sel_hi:[1,0] neg_lo:[0,1] neg_hi:[0,1]
	v_pk_add_f32 v[12:13], v[12:13], v[2:3] op_sel_hi:[1,0] neg_lo:[0,1] neg_hi:[0,1]
	v_ldexp_f32 v14, v14, v15
	v_mul_f32_e32 v15, 0x3fb8aa3b, v18
	v_cndmask_b32_e32 v14, 0, v14, vcc
	v_cmp_nlt_f32_e32 vcc, s30, v19
	v_fma_f32 v19, v18, s50, -v15
	v_rndne_f32_e32 v22, v15
	v_fmac_f32_e32 v19, 0x32a5705f, v18
	v_sub_f32_e32 v15, v15, v22
	v_add_f32_e32 v15, v15, v19
	v_exp_f32_e32 v15, v15
	v_cvt_i32_f32_e32 v19, v22
	v_cndmask_b32_e32 v14, v203, v14, vcc
	v_cmp_ngt_f32_e32 vcc, s51, v18
	v_pk_add_f32 v[10:11], v[10:11], v[2:3] op_sel_hi:[1,0] neg_lo:[0,1] neg_hi:[0,1]
	v_ldexp_f32 v15, v15, v19
	v_cndmask_b32_e32 v15, 0, v15, vcc
	v_cmp_nlt_f32_e32 vcc, s30, v18
	v_pk_add_f32 v[18:19], v[20:21], v[2:3] op_sel_hi:[1,0] neg_lo:[0,1] neg_hi:[0,1]
	v_mul_f32_e32 v20, 0x3fb8aa3b, v19
	v_fma_f32 v21, v19, s50, -v20
	v_rndne_f32_e32 v22, v20
	v_fmac_f32_e32 v21, 0x32a5705f, v19
	v_sub_f32_e32 v20, v20, v22
	v_add_f32_e32 v20, v20, v21
	v_exp_f32_e32 v20, v20
	v_cvt_i32_f32_e32 v21, v22
	v_cndmask_b32_e32 v15, v203, v15, vcc
	v_cmp_ngt_f32_e32 vcc, s51, v19
	v_pk_add_f32 v[8:9], v[8:9], v[2:3] op_sel_hi:[1,0] neg_lo:[0,1] neg_hi:[0,1]
	v_ldexp_f32 v20, v20, v21
	v_cndmask_b32_e32 v20, 0, v20, vcc
	v_cmp_nlt_f32_e32 vcc, s30, v19
	v_cndmask_b32_e32 v19, v203, v20, vcc
	v_mul_f32_e32 v20, 0x3fb8aa3b, v18
	v_fma_f32 v21, v18, s50, -v20
	v_rndne_f32_e32 v22, v20
	v_fmac_f32_e32 v21, 0x32a5705f, v18
	v_sub_f32_e32 v20, v20, v22
	v_add_f32_e32 v20, v20, v21
	v_exp_f32_e32 v20, v20
	v_cvt_i32_f32_e32 v21, v22
	v_cmp_ngt_f32_e32 vcc, s51, v18
	v_pk_add_f32 v[6:7], v[6:7], v[2:3] op_sel_hi:[1,0] neg_lo:[0,1] neg_hi:[0,1]
	v_pk_add_f32 v[4:5], v[4:5], v[2:3] op_sel_hi:[1,0] neg_lo:[0,1] neg_hi:[0,1]
	v_ldexp_f32 v20, v20, v21
	v_cndmask_b32_e32 v20, 0, v20, vcc
	v_cmp_nlt_f32_e32 vcc, s30, v18
	v_mul_f32_e32 v18, 0x3fb8aa3b, v17
	v_cndmask_b32_e32 v29, v203, v20, vcc
	v_fma_f32 v20, v17, s50, -v18
	v_rndne_f32_e32 v21, v18
	v_fmac_f32_e32 v20, 0x32a5705f, v17
	v_sub_f32_e32 v18, v18, v21
	v_add_f32_e32 v18, v18, v20
	v_exp_f32_e32 v18, v18
	v_cvt_i32_f32_e32 v20, v21
	v_cmp_ngt_f32_e32 vcc, s51, v17
	v_ldexp_f32 v18, v18, v20
	v_cndmask_b32_e32 v18, 0, v18, vcc
	v_cmp_nlt_f32_e32 vcc, s30, v17
	v_cndmask_b32_e32 v17, v203, v18, vcc
	v_mul_f32_e32 v18, 0x3fb8aa3b, v16
	v_fma_f32 v20, v16, s50, -v18
	v_rndne_f32_e32 v21, v18
	v_fmac_f32_e32 v20, 0x32a5705f, v16
	v_sub_f32_e32 v18, v18, v21
	v_add_f32_e32 v18, v18, v20
	v_exp_f32_e32 v18, v18
	v_cvt_i32_f32_e32 v20, v21
	v_cmp_ngt_f32_e32 vcc, s51, v16
	v_ldexp_f32 v18, v18, v20
	v_cndmask_b32_e32 v18, 0, v18, vcc
	v_cmp_nlt_f32_e32 vcc, s30, v16
	v_cndmask_b32_e32 v16, v203, v18, vcc
	v_mul_f32_e32 v18, 0x3fb8aa3b, v13
	v_fma_f32 v20, v13, s50, -v18
	v_rndne_f32_e32 v21, v18
	v_fmac_f32_e32 v20, 0x32a5705f, v13
	v_sub_f32_e32 v18, v18, v21
	v_add_f32_e32 v18, v18, v20
	v_exp_f32_e32 v18, v18
	v_cvt_i32_f32_e32 v20, v21
	v_cmp_ngt_f32_e32 vcc, s51, v13
	v_ldexp_f32 v18, v18, v20
	v_cndmask_b32_e32 v18, 0, v18, vcc
	v_cmp_nlt_f32_e32 vcc, s30, v13
	v_mul_f32_e32 v13, 0x3fb8aa3b, v12
	v_cndmask_b32_e32 v32, v203, v18, vcc
	v_fma_f32 v18, v12, s50, -v13
	v_rndne_f32_e32 v20, v13
	v_fmac_f32_e32 v18, 0x32a5705f, v12
	v_sub_f32_e32 v13, v13, v20
	v_add_f32_e32 v13, v13, v18
	v_exp_f32_e32 v13, v13
	v_cvt_i32_f32_e32 v18, v20
	v_cmp_ngt_f32_e32 vcc, s51, v12
	v_ldexp_f32 v13, v13, v18
	v_cndmask_b32_e32 v13, 0, v13, vcc
	v_cmp_nlt_f32_e32 vcc, s30, v12
	v_mul_f32_e32 v12, 0x3fb8aa3b, v11
	v_cndmask_b32_e32 v33, v203, v13, vcc
	;; [unrolled: 13-line block ×8, first 2 shown]
	v_fma_f32 v7, v5, s50, -v6
	v_rndne_f32_e32 v8, v6
	v_fmac_f32_e32 v7, 0x32a5705f, v5
	v_sub_f32_e32 v6, v6, v8
	v_add_f32_e32 v6, v6, v7
	v_exp_f32_e32 v6, v6
	v_cvt_i32_f32_e32 v7, v8
	v_cmp_ngt_f32_e32 vcc, s51, v5
	v_ldexp_f32 v6, v6, v7
	v_cndmask_b32_e32 v6, 0, v6, vcc
	v_cmp_nlt_f32_e32 vcc, s30, v5
	v_cndmask_b32_e32 v5, v203, v6, vcc
	v_mul_f32_e32 v6, 0x3fb8aa3b, v4
	v_fma_f32 v7, v4, s50, -v6
	v_rndne_f32_e32 v8, v6
	v_fmac_f32_e32 v7, 0x32a5705f, v4
	v_sub_f32_e32 v6, v6, v8
	v_add_f32_e32 v6, v6, v7
	v_exp_f32_e32 v6, v6
	v_cvt_i32_f32_e32 v7, v8
	v_cmp_ngt_f32_e32 vcc, s51, v4
	v_ldexp_f32 v6, v6, v7
	v_cndmask_b32_e32 v6, 0, v6, vcc
	v_cmp_nlt_f32_e32 vcc, s30, v4
	v_add_f32_e32 v4, v15, v14
	v_add_f32_e32 v4, v29, v4
	;; [unrolled: 1-line block ×12, first 2 shown]
	v_cndmask_b32_e32 v64, v203, v6, vcc
	v_add_f32_e32 v4, v61, v4
	v_add_f32_e32 v4, v64, v4
	;; [unrolled: 1-line block ×3, first 2 shown]
	v_sub_f32_e32 v4, v30, v2
	v_mul_f32_e32 v6, 0x3fb8aa3b, v4
	v_fma_f32 v7, v4, s50, -v6
	v_rndne_f32_e32 v8, v6
	v_fmac_f32_e32 v7, 0x32a5705f, v4
	v_sub_f32_e32 v6, v6, v8
	v_add_f32_e32 v6, v6, v7
	v_exp_f32_e32 v6, v6
	v_cvt_i32_f32_e32 v7, v8
	v_cmp_ngt_f32_e32 vcc, s51, v4
	v_cvt_f16_f32_e32 v5, v5
	v_mov_b32_e32 v30, s7
	v_ldexp_f32 v6, v6, v7
	v_cndmask_b32_e32 v6, 0, v6, vcc
	v_cmp_nlt_f32_e32 vcc, s30, v4
	v_cndmask_b32_e32 v6, v203, v6, vcc
	v_cmp_le_f32_e32 vcc, s1, v4
	v_cndmask_b32_e32 v4, 0, v6, vcc
	v_fmac_f32_e32 v26, v31, v4
	v_cvt_f16_f32_e32 v4, v4
	ds_bpermute_b32 v3, v3, v26
	v_pk_mul_f16 v7, v4, v223 op_sel_hi:[0,1]
	v_pk_mul_f16 v6, v4, v222 op_sel_hi:[0,1]
	;; [unrolled: 1-line block ×16, first 2 shown]
	v_cvt_f16_f32_e32 v4, v14
	v_cvt_f16_f32_e32 v14, v15
	;; [unrolled: 1-line block ×3, first 2 shown]
	s_waitcnt lgkmcnt(0)
	v_add_f32_e32 v3, v26, v3
	ds_bpermute_b32 v1, v1, v3
	v_pack_b32_f16 v18, v14, v4
	v_cvt_f16_f32_e32 v4, v19
	v_cvt_f16_f32_e32 v14, v29
	;; [unrolled: 1-line block ×3, first 2 shown]
	s_waitcnt lgkmcnt(0)
	v_add_f32_e32 v3, v3, v1
	v_pack_b32_f16 v19, v14, v4
	v_cvt_f16_f32_e32 v4, v17
	v_cvt_f16_f32_e32 v14, v16
	v_pack_b32_f16 v16, v14, v4
	v_cvt_f16_f32_e32 v4, v32
	v_cvt_f16_f32_e32 v14, v33
	v_mov_b32_e32 v32, s7
	v_pack_b32_f16 v17, v14, v4
	v_cvt_f16_f32_e32 v4, v35
	v_cvt_f16_f32_e32 v14, v37
	v_pack_b32_f16 v14, v14, v4
	v_cvt_f16_f32_e32 v4, v57
	v_pack_b32_f16 v15, v15, v4
	;; [unrolled: 2-line block ×4, first 2 shown]
	v_add_co_u32_e32 v29, vcc, s6, v40
	v_addc_co_u32_e32 v31, vcc, v30, v41, vcc
	v_add_co_u32_e32 v30, vcc, v29, v116
	v_addc_co_u32_e32 v31, vcc, 0, v31, vcc
	;; [unrolled: 2-line block ×4, first 2 shown]
	v_add_co_u32_e32 v29, vcc, s6, v44
	v_mov_b32_e32 v32, s7
	v_addc_co_u32_e32 v32, vcc, v32, v45, vcc
	v_add_co_u32_e32 v66, vcc, v29, v116
	v_addc_co_u32_e32 v67, vcc, 0, v32, vcc
	v_add_co_u32_e32 v29, vcc, s6, v46
	v_mov_b32_e32 v32, s7
	v_addc_co_u32_e32 v32, vcc, v32, v47, vcc
	v_add_co_u32_e32 v68, vcc, v29, v116
	v_addc_co_u32_e32 v69, vcc, 0, v32, vcc
	global_load_dwordx4 v[30:33], v[30:31], off
	s_waitcnt vmcnt(0)
	ds_write_b128 v103, v[30:33]
	global_load_dwordx4 v[30:33], v[64:65], off
	s_waitcnt vmcnt(0)
	ds_write_b128 v176, v[30:33]
	;; [unrolled: 3-line block ×4, first 2 shown]
	s_waitcnt lgkmcnt(0)
	s_barrier
	ds_read_u16 v29, v107 offset:544
	v_cvt_f32_f16_e32 v32, v6
	v_cvt_f32_f16_sdwa v33, v6 dst_sel:DWORD dst_unused:UNUSED_PAD src0_sel:WORD_1
	ds_read_u16 v6, v108
	ds_read_u16 v35, v108 offset:32
	v_cvt_f32_f16_e32 v30, v7
	v_cvt_f32_f16_sdwa v31, v7 dst_sel:DWORD dst_unused:UNUSED_PAD src0_sel:WORD_1
	s_waitcnt lgkmcnt(1)
	v_perm_b32 v7, v6, v29, s44
	ds_read_u16 v6, v106
	ds_read_u16 v29, v106 offset:32
	ds_read_u16 v37, v107 offset:272
	;; [unrolled: 1-line block ×3, first 2 shown]
	s_waitcnt lgkmcnt(1)
	v_perm_b32 v6, v37, v6, s44
	s_nop 1
	v_mfma_f32_16x16x16f16 v[30:33], v[6:7], v[18:19], v[30:33]
	ds_read_u16 v37, v106 offset:4352
	ds_read_u16 v59, v107 offset:4624
	;; [unrolled: 1-line block ×4, first 2 shown]
	s_nop 6
	v_cvt_f16_f32_e32 v6, v30
	v_cvt_f16_f32_e32 v7, v31
	v_cvt_f16_f32_e32 v32, v32
	v_cvt_f16_f32_e32 v33, v33
	v_cvt_f32_f16_e32 v30, v6
	v_cvt_f32_f16_e32 v31, v7
	s_waitcnt lgkmcnt(0)
	v_perm_b32 v7, v63, v61, s44
	v_perm_b32 v6, v59, v37, s44
	v_cvt_f32_f16_e32 v32, v32
	v_cvt_f32_f16_e32 v33, v33
	ds_read_u16 v37, v106 offset:8704
	ds_read_u16 v59, v107 offset:8976
	;; [unrolled: 1-line block ×4, first 2 shown]
	v_mfma_f32_16x16x16f16 v[30:33], v[6:7], v[16:17], v[30:33]
	s_nop 7
	s_nop 2
	v_cvt_f16_f32_e32 v6, v30
	v_cvt_f16_f32_e32 v7, v31
	;; [unrolled: 1-line block ×4, first 2 shown]
	v_cvt_f32_f16_e32 v30, v6
	v_cvt_f32_f16_e32 v31, v7
	s_waitcnt lgkmcnt(0)
	v_perm_b32 v7, v63, v61, s44
	v_perm_b32 v6, v59, v37, s44
	v_cvt_f32_f16_e32 v32, v32
	v_cvt_f32_f16_e32 v33, v33
	ds_read_u16 v37, v106 offset:13056
	ds_read_u16 v59, v107 offset:13328
	;; [unrolled: 1-line block ×4, first 2 shown]
	v_mfma_f32_16x16x16f16 v[30:33], v[6:7], v[14:15], v[30:33]
	s_nop 7
	s_nop 2
	v_cvt_f16_f32_e32 v6, v30
	v_cvt_f16_f32_e32 v7, v31
	;; [unrolled: 1-line block ×4, first 2 shown]
	v_cvt_f32_f16_e32 v30, v6
	v_cvt_f32_f16_e32 v31, v7
	s_waitcnt lgkmcnt(0)
	v_perm_b32 v7, v63, v61, s44
	v_perm_b32 v6, v59, v37, s44
	v_cvt_f32_f16_e32 v32, v32
	v_cvt_f32_f16_e32 v33, v33
	ds_read_u16 v37, v112 offset:544
	s_nop 0
	v_mfma_f32_16x16x16f16 v[30:33], v[6:7], v[4:5], v[30:33]
	s_nop 7
	s_nop 2
	v_cvt_f16_f32_e32 v6, v30
	v_cvt_f16_f32_e32 v7, v31
	;; [unrolled: 1-line block ×4, first 2 shown]
	v_cvt_f32_f16_e32 v32, v8
	v_pack_b32_f16 v6, v6, v7
	v_cvt_f32_f16_sdwa v33, v8 dst_sel:DWORD dst_unused:UNUSED_PAD src0_sel:WORD_1
	v_pack_b32_f16 v7, v30, v31
	v_cvt_f32_f16_e32 v30, v9
	v_cvt_f32_f16_sdwa v31, v9 dst_sel:DWORD dst_unused:UNUSED_PAD src0_sel:WORD_1
	s_waitcnt lgkmcnt(0)
	v_perm_b32 v9, v35, v37, s44
	v_perm_b32 v8, v57, v29, s44
	ds_read_u16 v35, v106 offset:4384
	ds_read_u16 v37, v107 offset:4656
	ds_read_u16 v57, v113 offset:544
	ds_read_u16 v59, v108 offset:4384
	v_mfma_f32_16x16x16f16 v[30:33], v[8:9], v[18:19], v[30:33]
	s_nop 7
	s_nop 2
	v_cvt_f16_f32_e32 v8, v30
	v_cvt_f16_f32_e32 v9, v31
	v_cvt_f16_f32_e32 v29, v32
	v_cvt_f16_f32_e32 v33, v33
	v_cvt_f32_f16_e32 v30, v8
	v_cvt_f32_f16_e32 v31, v9
	s_waitcnt lgkmcnt(0)
	v_perm_b32 v9, v59, v57, s44
	v_perm_b32 v8, v37, v35, s44
	v_cvt_f32_f16_e32 v32, v29
	v_cvt_f32_f16_e32 v33, v33
	ds_read_u16 v35, v106 offset:8736
	ds_read_u16 v37, v107 offset:9008
	ds_read_u16 v57, v115 offset:544
	ds_read_u16 v59, v108 offset:8736
	v_mfma_f32_16x16x16f16 v[30:33], v[8:9], v[16:17], v[30:33]
	s_nop 7
	s_nop 2
	v_cvt_f16_f32_e32 v8, v30
	v_cvt_f16_f32_e32 v9, v31
	v_cvt_f16_f32_e32 v29, v32
	v_cvt_f16_f32_e32 v33, v33
	v_cvt_f32_f16_e32 v30, v8
	v_cvt_f32_f16_e32 v31, v9
	s_waitcnt lgkmcnt(0)
	v_perm_b32 v9, v59, v57, s44
	v_perm_b32 v8, v37, v35, s44
	v_cvt_f32_f16_e32 v32, v29
	v_cvt_f32_f16_e32 v33, v33
	;; [unrolled: 18-line block ×3, first 2 shown]
	s_nop 1
	v_mfma_f32_16x16x16f16 v[30:33], v[8:9], v[4:5], v[30:33]
	s_nop 7
	s_nop 2
	v_cvt_f16_f32_e32 v8, v30
	v_cvt_f16_f32_e32 v9, v31
	;; [unrolled: 1-line block ×4, first 2 shown]
	v_cvt_f32_f16_sdwa v31, v11 dst_sel:DWORD dst_unused:UNUSED_PAD src0_sel:WORD_1
	v_pack_b32_f16 v8, v8, v9
	v_cvt_f32_f16_e32 v32, v10
	v_pack_b32_f16 v9, v29, v30
	ds_read_u16 v29, v106 offset:64
	ds_read_u16 v35, v107 offset:336
	ds_read_u16 v37, v118 offset:544
	ds_read_u16 v57, v108 offset:64
	v_cvt_f32_f16_e32 v30, v11
	v_cvt_f32_f16_sdwa v33, v10 dst_sel:DWORD dst_unused:UNUSED_PAD src0_sel:WORD_1
	s_waitcnt lgkmcnt(2)
	v_perm_b32 v10, v35, v29, s44
	s_waitcnt lgkmcnt(0)
	v_perm_b32 v11, v57, v37, s44
	ds_read_u16 v35, v106 offset:4416
	ds_read_u16 v37, v107 offset:4688
	ds_read_u16 v57, v119 offset:544
	ds_read_u16 v59, v108 offset:4416
	v_mfma_f32_16x16x16f16 v[30:33], v[10:11], v[18:19], v[30:33]
	s_nop 7
	s_nop 2
	v_cvt_f16_f32_e32 v10, v30
	v_cvt_f16_f32_e32 v11, v31
	v_cvt_f16_f32_e32 v29, v32
	v_cvt_f16_f32_e32 v33, v33
	v_cvt_f32_f16_e32 v30, v10
	v_cvt_f32_f16_e32 v31, v11
	s_waitcnt lgkmcnt(0)
	v_perm_b32 v11, v59, v57, s44
	v_perm_b32 v10, v37, v35, s44
	v_cvt_f32_f16_e32 v32, v29
	v_cvt_f32_f16_e32 v33, v33
	ds_read_u16 v35, v106 offset:8768
	ds_read_u16 v37, v107 offset:9040
	ds_read_u16 v57, v120 offset:544
	ds_read_u16 v59, v108 offset:8768
	v_mfma_f32_16x16x16f16 v[30:33], v[10:11], v[16:17], v[30:33]
	s_nop 7
	s_nop 2
	v_cvt_f16_f32_e32 v10, v30
	v_cvt_f16_f32_e32 v11, v31
	v_cvt_f16_f32_e32 v29, v32
	v_cvt_f16_f32_e32 v33, v33
	v_cvt_f32_f16_e32 v30, v10
	v_cvt_f32_f16_e32 v31, v11
	s_waitcnt lgkmcnt(0)
	v_perm_b32 v11, v59, v57, s44
	v_perm_b32 v10, v37, v35, s44
	v_cvt_f32_f16_e32 v32, v29
	v_cvt_f32_f16_e32 v33, v33
	;; [unrolled: 18-line block ×3, first 2 shown]
	s_nop 1
	v_mfma_f32_16x16x16f16 v[30:33], v[10:11], v[4:5], v[30:33]
	s_nop 7
	s_nop 2
	v_cvt_f16_f32_e32 v10, v30
	v_cvt_f16_f32_e32 v11, v31
	;; [unrolled: 1-line block ×4, first 2 shown]
	v_cvt_f32_f16_sdwa v31, v13 dst_sel:DWORD dst_unused:UNUSED_PAD src0_sel:WORD_1
	v_pack_b32_f16 v10, v10, v11
	v_cvt_f32_f16_e32 v32, v12
	v_pack_b32_f16 v11, v29, v30
	ds_read_u16 v29, v106 offset:96
	ds_read_u16 v35, v107 offset:368
	;; [unrolled: 1-line block ×4, first 2 shown]
	v_cvt_f32_f16_e32 v30, v13
	v_cvt_f32_f16_sdwa v33, v12 dst_sel:DWORD dst_unused:UNUSED_PAD src0_sel:WORD_1
	s_waitcnt lgkmcnt(2)
	v_perm_b32 v12, v35, v29, s44
	s_waitcnt lgkmcnt(0)
	v_perm_b32 v13, v57, v37, s44
	ds_read_u16 v35, v106 offset:4448
	ds_read_u16 v37, v107 offset:4720
	ds_read_u16 v57, v123 offset:544
	ds_read_u16 v59, v108 offset:4448
	v_mfma_f32_16x16x16f16 v[30:33], v[12:13], v[18:19], v[30:33]
	s_nop 7
	s_nop 2
	v_cvt_f16_f32_e32 v12, v30
	v_cvt_f16_f32_e32 v13, v31
	v_cvt_f16_f32_e32 v29, v32
	v_cvt_f16_f32_e32 v33, v33
	v_cvt_f32_f16_e32 v30, v12
	v_cvt_f32_f16_e32 v31, v13
	s_waitcnt lgkmcnt(0)
	v_perm_b32 v13, v59, v57, s44
	v_perm_b32 v12, v37, v35, s44
	v_cvt_f32_f16_e32 v32, v29
	v_cvt_f32_f16_e32 v33, v33
	ds_read_u16 v35, v106 offset:8800
	ds_read_u16 v37, v107 offset:9072
	ds_read_u16 v57, v124 offset:544
	ds_read_u16 v59, v108 offset:8800
	v_mfma_f32_16x16x16f16 v[30:33], v[12:13], v[16:17], v[30:33]
	s_nop 7
	s_nop 2
	v_cvt_f16_f32_e32 v12, v30
	v_cvt_f16_f32_e32 v13, v31
	v_cvt_f16_f32_e32 v29, v32
	v_cvt_f16_f32_e32 v33, v33
	v_cvt_f32_f16_e32 v30, v12
	v_cvt_f32_f16_e32 v31, v13
	s_waitcnt lgkmcnt(0)
	v_perm_b32 v13, v59, v57, s44
	v_perm_b32 v12, v37, v35, s44
	v_cvt_f32_f16_e32 v32, v29
	v_cvt_f32_f16_e32 v33, v33
	ds_read_u16 v35, v106 offset:13152
	ds_read_u16 v37, v107 offset:13424
	ds_read_u16 v57, v125 offset:544
	ds_read_u16 v59, v108 offset:13152
	v_mfma_f32_16x16x16f16 v[30:33], v[12:13], v[14:15], v[30:33]
	s_nop 7
	s_nop 2
	v_cvt_f16_f32_e32 v12, v30
	v_cvt_f16_f32_e32 v13, v31
	v_cvt_f16_f32_e32 v29, v32
	v_cvt_f16_f32_e32 v33, v33
	v_cvt_f32_f16_e32 v30, v12
	v_cvt_f32_f16_e32 v31, v13
	s_waitcnt lgkmcnt(0)
	v_perm_b32 v13, v59, v57, s44
	v_perm_b32 v12, v37, v35, s44
	v_cvt_f32_f16_e32 v32, v29
	v_cvt_f32_f16_e32 v33, v33
	s_nop 1
	v_mfma_f32_16x16x16f16 v[30:33], v[12:13], v[4:5], v[30:33]
	s_nop 7
	s_nop 2
	v_cvt_f16_f32_e32 v12, v30
	v_cvt_f16_f32_e32 v13, v31
	;; [unrolled: 1-line block ×4, first 2 shown]
	v_cvt_f32_f16_sdwa v31, v21 dst_sel:DWORD dst_unused:UNUSED_PAD src0_sel:WORD_1
	v_pack_b32_f16 v12, v12, v13
	v_cvt_f32_f16_e32 v32, v20
	v_pack_b32_f16 v13, v29, v30
	ds_read_u16 v29, v106 offset:128
	ds_read_u16 v35, v107 offset:400
	;; [unrolled: 1-line block ×4, first 2 shown]
	v_cvt_f32_f16_e32 v30, v21
	v_cvt_f32_f16_sdwa v33, v20 dst_sel:DWORD dst_unused:UNUSED_PAD src0_sel:WORD_1
	s_waitcnt lgkmcnt(2)
	v_perm_b32 v20, v35, v29, s44
	s_waitcnt lgkmcnt(0)
	v_perm_b32 v21, v57, v37, s44
	ds_read_u16 v35, v106 offset:4480
	ds_read_u16 v37, v107 offset:4752
	ds_read_u16 v57, v127 offset:544
	ds_read_u16 v59, v108 offset:4480
	v_mfma_f32_16x16x16f16 v[30:33], v[20:21], v[18:19], v[30:33]
	s_nop 7
	s_nop 2
	v_cvt_f16_f32_e32 v20, v30
	v_cvt_f16_f32_e32 v21, v31
	v_cvt_f16_f32_e32 v29, v32
	v_cvt_f16_f32_e32 v33, v33
	v_cvt_f32_f16_e32 v30, v20
	v_cvt_f32_f16_e32 v31, v21
	s_waitcnt lgkmcnt(0)
	v_perm_b32 v21, v59, v57, s44
	v_perm_b32 v20, v37, v35, s44
	v_cvt_f32_f16_e32 v32, v29
	v_cvt_f32_f16_e32 v33, v33
	ds_read_u16 v35, v106 offset:8832
	ds_read_u16 v37, v107 offset:9104
	ds_read_u16 v57, v128 offset:544
	ds_read_u16 v59, v108 offset:8832
	v_mfma_f32_16x16x16f16 v[30:33], v[20:21], v[16:17], v[30:33]
	s_nop 7
	s_nop 2
	v_cvt_f16_f32_e32 v20, v30
	v_cvt_f16_f32_e32 v21, v31
	v_cvt_f16_f32_e32 v29, v32
	v_cvt_f16_f32_e32 v33, v33
	v_cvt_f32_f16_e32 v30, v20
	v_cvt_f32_f16_e32 v31, v21
	s_waitcnt lgkmcnt(0)
	v_perm_b32 v21, v59, v57, s44
	v_perm_b32 v20, v37, v35, s44
	v_cvt_f32_f16_e32 v32, v29
	v_cvt_f32_f16_e32 v33, v33
	;; [unrolled: 18-line block ×3, first 2 shown]
	s_nop 1
	v_mfma_f32_16x16x16f16 v[30:33], v[20:21], v[4:5], v[30:33]
	s_nop 7
	s_nop 2
	v_cvt_f16_f32_e32 v20, v30
	v_cvt_f16_f32_e32 v21, v31
	;; [unrolled: 1-line block ×4, first 2 shown]
	v_cvt_f32_f16_sdwa v31, v23 dst_sel:DWORD dst_unused:UNUSED_PAD src0_sel:WORD_1
	v_pack_b32_f16 v20, v20, v21
	v_cvt_f32_f16_e32 v32, v22
	v_pack_b32_f16 v21, v29, v30
	ds_read_u16 v29, v106 offset:160
	ds_read_u16 v35, v107 offset:432
	;; [unrolled: 1-line block ×4, first 2 shown]
	v_cvt_f32_f16_e32 v30, v23
	v_cvt_f32_f16_sdwa v33, v22 dst_sel:DWORD dst_unused:UNUSED_PAD src0_sel:WORD_1
	s_waitcnt lgkmcnt(2)
	v_perm_b32 v22, v35, v29, s44
	s_waitcnt lgkmcnt(0)
	v_perm_b32 v23, v57, v37, s44
	ds_read_u16 v35, v106 offset:4512
	ds_read_u16 v37, v107 offset:4784
	ds_read_u16 v57, v131 offset:544
	ds_read_u16 v59, v108 offset:4512
	v_mfma_f32_16x16x16f16 v[30:33], v[22:23], v[18:19], v[30:33]
	s_nop 7
	s_nop 2
	v_cvt_f16_f32_e32 v22, v30
	v_cvt_f16_f32_e32 v23, v31
	v_cvt_f16_f32_e32 v29, v32
	v_cvt_f16_f32_e32 v33, v33
	v_cvt_f32_f16_e32 v30, v22
	v_cvt_f32_f16_e32 v31, v23
	s_waitcnt lgkmcnt(0)
	v_perm_b32 v23, v59, v57, s44
	v_perm_b32 v22, v37, v35, s44
	v_cvt_f32_f16_e32 v32, v29
	v_cvt_f32_f16_e32 v33, v33
	ds_read_u16 v35, v106 offset:8864
	ds_read_u16 v37, v107 offset:9136
	ds_read_u16 v57, v132 offset:544
	ds_read_u16 v59, v108 offset:8864
	v_mfma_f32_16x16x16f16 v[30:33], v[22:23], v[16:17], v[30:33]
	s_nop 7
	s_nop 2
	v_cvt_f16_f32_e32 v22, v30
	v_cvt_f16_f32_e32 v23, v31
	v_cvt_f16_f32_e32 v29, v32
	v_cvt_f16_f32_e32 v33, v33
	v_cvt_f32_f16_e32 v30, v22
	v_cvt_f32_f16_e32 v31, v23
	s_waitcnt lgkmcnt(0)
	v_perm_b32 v23, v59, v57, s44
	v_perm_b32 v22, v37, v35, s44
	v_cvt_f32_f16_e32 v32, v29
	v_cvt_f32_f16_e32 v33, v33
	;; [unrolled: 18-line block ×3, first 2 shown]
	s_nop 1
	v_mfma_f32_16x16x16f16 v[30:33], v[22:23], v[4:5], v[30:33]
	s_nop 7
	s_nop 2
	v_cvt_f16_f32_e32 v22, v30
	v_cvt_f16_f32_e32 v23, v31
	;; [unrolled: 1-line block ×4, first 2 shown]
	v_cvt_f32_f16_sdwa v31, v25 dst_sel:DWORD dst_unused:UNUSED_PAD src0_sel:WORD_1
	v_pack_b32_f16 v22, v22, v23
	v_cvt_f32_f16_e32 v32, v24
	v_pack_b32_f16 v23, v29, v30
	ds_read_u16 v29, v106 offset:192
	ds_read_u16 v35, v107 offset:464
	;; [unrolled: 1-line block ×4, first 2 shown]
	v_cvt_f32_f16_e32 v30, v25
	v_cvt_f32_f16_sdwa v33, v24 dst_sel:DWORD dst_unused:UNUSED_PAD src0_sel:WORD_1
	s_waitcnt lgkmcnt(2)
	v_perm_b32 v24, v35, v29, s44
	s_waitcnt lgkmcnt(0)
	v_perm_b32 v25, v57, v37, s44
	ds_read_u16 v35, v106 offset:4544
	ds_read_u16 v37, v107 offset:4816
	ds_read_u16 v57, v135 offset:544
	ds_read_u16 v59, v108 offset:4544
	v_mfma_f32_16x16x16f16 v[30:33], v[24:25], v[18:19], v[30:33]
	s_nop 7
	s_nop 2
	v_cvt_f16_f32_e32 v24, v30
	v_cvt_f16_f32_e32 v25, v31
	v_cvt_f16_f32_e32 v29, v32
	v_cvt_f16_f32_e32 v33, v33
	v_cvt_f32_f16_e32 v30, v24
	v_cvt_f32_f16_e32 v31, v25
	s_waitcnt lgkmcnt(0)
	v_perm_b32 v25, v59, v57, s44
	v_perm_b32 v24, v37, v35, s44
	v_cvt_f32_f16_e32 v32, v29
	v_cvt_f32_f16_e32 v33, v33
	ds_read_u16 v35, v106 offset:8896
	ds_read_u16 v37, v107 offset:9168
	ds_read_u16 v57, v136 offset:544
	ds_read_u16 v59, v108 offset:8896
	v_mfma_f32_16x16x16f16 v[30:33], v[24:25], v[16:17], v[30:33]
	s_nop 7
	s_nop 2
	v_cvt_f16_f32_e32 v24, v30
	v_cvt_f16_f32_e32 v25, v31
	v_cvt_f16_f32_e32 v29, v32
	v_cvt_f16_f32_e32 v33, v33
	v_cvt_f32_f16_e32 v30, v24
	v_cvt_f32_f16_e32 v31, v25
	s_waitcnt lgkmcnt(0)
	v_perm_b32 v25, v59, v57, s44
	v_perm_b32 v24, v37, v35, s44
	v_cvt_f32_f16_e32 v32, v29
	v_cvt_f32_f16_e32 v33, v33
	;; [unrolled: 18-line block ×3, first 2 shown]
	s_nop 1
	v_mfma_f32_16x16x16f16 v[30:33], v[24:25], v[4:5], v[30:33]
	s_nop 7
	s_nop 2
	v_cvt_f16_f32_e32 v24, v30
	v_cvt_f16_f32_e32 v25, v31
	;; [unrolled: 1-line block ×4, first 2 shown]
	v_cvt_f32_f16_sdwa v31, v28 dst_sel:DWORD dst_unused:UNUSED_PAD src0_sel:WORD_1
	v_pack_b32_f16 v24, v24, v25
	v_cvt_f32_f16_e32 v32, v27
	v_pack_b32_f16 v25, v29, v30
	ds_read_u16 v35, v106 offset:224
	ds_read_u16 v37, v107 offset:496
	;; [unrolled: 1-line block ×4, first 2 shown]
	v_cvt_f32_f16_e32 v30, v28
	v_cvt_f32_f16_sdwa v33, v27 dst_sel:DWORD dst_unused:UNUSED_PAD src0_sel:WORD_1
	s_waitcnt lgkmcnt(2)
	v_perm_b32 v28, v37, v35, s44
	s_waitcnt lgkmcnt(0)
	v_perm_b32 v29, v57, v29, s44
	s_nop 1
	v_mfma_f32_16x16x16f16 v[28:31], v[28:29], v[18:19], v[30:33]
	s_nop 6
	ds_read_u16 v32, v106 offset:4576
	ds_read_u16 v33, v107 offset:4848
	;; [unrolled: 1-line block ×4, first 2 shown]
	v_cvt_f16_f32_e32 v18, v28
	v_cvt_f16_f32_e32 v19, v29
	v_cvt_f16_f32_e32 v27, v30
	v_cvt_f16_f32_e32 v31, v31
	v_cvt_f32_f16_e32 v28, v18
	v_cvt_f32_f16_e32 v29, v19
	s_waitcnt lgkmcnt(0)
	v_perm_b32 v19, v37, v35, s44
	v_perm_b32 v18, v33, v32, s44
	v_cvt_f32_f16_e32 v30, v27
	v_cvt_f32_f16_e32 v31, v31
	s_nop 1
	v_mfma_f32_16x16x16f16 v[16:19], v[18:19], v[16:17], v[28:31]
	ds_read_u16 v27, v106 offset:8928
	s_nop 5
	ds_read_u16 v28, v107 offset:9200
	ds_read_u16 v29, v140 offset:544
	;; [unrolled: 1-line block ×3, first 2 shown]
	s_waitcnt lgkmcnt(2)
	v_perm_b32 v28, v28, v27, s44
	s_waitcnt lgkmcnt(0)
	v_perm_b32 v29, v30, v29, s44
	v_cvt_f16_f32_e32 v16, v16
	v_cvt_f16_f32_e32 v17, v17
	v_cvt_f16_f32_e32 v18, v18
	v_cvt_f16_f32_e32 v19, v19
	v_cvt_f32_f16_e32 v16, v16
	v_cvt_f32_f16_e32 v17, v17
	;; [unrolled: 1-line block ×4, first 2 shown]
	s_nop 1
	v_mfma_f32_16x16x16f16 v[16:19], v[28:29], v[14:15], v[16:19]
	s_nop 7
	s_nop 2
	v_cvt_f16_f32_e32 v15, v16
	v_cvt_f16_f32_e32 v16, v17
	;; [unrolled: 1-line block ×4, first 2 shown]
	ds_read_u16 v14, v106 offset:13280
	ds_read_u16 v19, v107 offset:13552
	;; [unrolled: 1-line block ×4, first 2 shown]
	v_cvt_f32_f16_e32 v30, v15
	v_cvt_f32_f16_e32 v31, v16
	s_waitcnt lgkmcnt(2)
	v_perm_b32 v14, v19, v14, s44
	v_cvt_f32_f16_e32 v32, v17
	s_waitcnt lgkmcnt(0)
	v_perm_b32 v15, v28, v27, s44
	v_cvt_f32_f16_e32 v33, v18
	s_barrier
	s_nop 0
	v_mfma_f32_16x16x16f16 v[14:17], v[14:15], v[4:5], v[30:33]
	s_nop 7
	s_nop 2
	v_cvt_f16_f32_e32 v4, v14
	v_cvt_f16_f32_e32 v5, v15
	;; [unrolled: 1-line block ×4, first 2 shown]
	v_pack_b32_f16 v4, v4, v5
	v_pack_b32_f16 v5, v14, v15
	s_cbranch_scc0 .LBB25_616
; %bb.517:                              ;   in Loop: Header=BB25_15 Depth=1
	v_lshlrev_b32_e32 v1, 2, v60
	global_load_dword v1, v1, s[70:71]
	v_max_f32_e32 v14, v2, v2
	s_waitcnt vmcnt(0)
	v_max_f32_e32 v15, v1, v1
	v_max_f32_e32 v14, v14, v15
	v_sub_f32_e32 v15, v2, v14
	v_sub_f32_e32 v1, v1, v14
	v_mul_f32_e32 v16, 0x3fb8aa3b, v15
	v_mul_f32_e32 v17, 0x3fb8aa3b, v1
	v_fma_f32 v18, v15, s50, -v16
	v_rndne_f32_e32 v19, v16
	v_fma_f32 v26, v1, s50, -v17
	v_rndne_f32_e32 v27, v17
	v_fmac_f32_e32 v18, 0x32a5705f, v15
	v_sub_f32_e32 v16, v16, v19
	v_fmac_f32_e32 v26, 0x32a5705f, v1
	v_sub_f32_e32 v17, v17, v27
	v_add_f32_e32 v16, v16, v18
	v_cvt_i32_f32_e32 v19, v19
	v_add_f32_e32 v17, v17, v26
	v_exp_f32_e32 v16, v16
	v_cvt_i32_f32_e32 v27, v27
	v_exp_f32_e32 v17, v17
	v_cmp_ngt_f32_e32 vcc, s51, v15
	v_ldexp_f32 v16, v16, v19
	v_cndmask_b32_e32 v16, 0, v16, vcc
	v_ldexp_f32 v17, v17, v27
	v_cmp_ngt_f32_e32 vcc, s51, v1
	v_cndmask_b32_e32 v17, 0, v17, vcc
	v_cmp_nlt_f32_e32 vcc, s30, v15
	v_cndmask_b32_e32 v16, v203, v16, vcc
	v_cmp_le_f32_e32 vcc, s1, v15
	v_cndmask_b32_e32 v16, 0, v16, vcc
	v_cvt_f16_f32_e32 v35, v16
	v_cmp_nlt_f32_e32 vcc, s30, v1
	v_cndmask_b32_e32 v15, v203, v17, vcc
	v_fmac_f32_e32 v15, v3, v16
	v_pk_mul_f16 v16, v35, v6 op_sel_hi:[0,1]
	v_pk_mul_f16 v17, v35, v7 op_sel_hi:[0,1]
	;; [unrolled: 1-line block ×16, first 2 shown]
	s_cbranch_execnz .LBB25_519
.LBB25_518:                             ;   in Loop: Header=BB25_15 Depth=1
	v_pk_mov_b32 v[66:67], v[4:5], v[4:5] op_sel:[0,1]
	v_pk_mov_b32 v[64:65], v[24:25], v[24:25] op_sel:[0,1]
	;; [unrolled: 1-line block ×9, first 2 shown]
.LBB25_519:                             ;   in Loop: Header=BB25_15 Depth=1
	s_mov_b64 s[6:7], exec
	v_readlane_b32 s40, v254, 29
	v_readlane_b32 s41, v254, 30
	s_and_b64 s[40:41], s[6:7], s[40:41]
	s_mov_b64 exec, s[40:41]
	s_cbranch_execz .LBB25_521
; %bb.520:                              ;   in Loop: Header=BB25_15 Depth=1
	ds_write2_b32 v169, v14, v15 offset0:64 offset1:65
.LBB25_521:                             ;   in Loop: Header=BB25_15 Depth=1
	s_or_b64 exec, exec, s[6:7]
	v_mov_b32_e32 v1, 50
	s_waitcnt lgkmcnt(0)
	s_barrier
	ds_write2_b32 v171, v16, v17 offset1:1
	ds_write2_b32 v171, v18, v19 offset0:8 offset1:9
	ds_write2_b32 v171, v26, v27 offset0:16 offset1:17
	;; [unrolled: 1-line block ×7, first 2 shown]
	s_waitcnt lgkmcnt(0)
	s_barrier
	s_and_saveexec_b64 s[70:71], s[64:65]
	s_cbranch_execz .LBB25_523
; %bb.522:                              ;   in Loop: Header=BB25_15 Depth=1
	ds_read_b32 v1, v147 offset:260
	ds_read_b32 v4, v143
	v_mad_u64_u32 v[2:3], s[6:7], v221, s25, v[34:35]
	v_lshl_add_u32 v2, v2, 6, v36
	v_ashrrev_i32_e32 v3, 31, v2
	v_lshlrev_b64 v[2:3], 3, v[2:3]
	v_add_co_u32_e32 v2, vcc, s46, v2
	v_mov_b32_e32 v5, s47
	v_addc_co_u32_e32 v3, vcc, v5, v3, vcc
	s_waitcnt lgkmcnt(0)
	v_cvt_f32_f16_sdwa v5, v4 dst_sel:DWORD dst_unused:UNUSED_PAD src0_sel:WORD_1
	v_cvt_f32_f16_e32 v4, v4
	v_pk_add_f32 v[4:5], v[4:5], 0 op_sel_hi:[1,0]
	v_div_scale_f32 v6, s[6:7], v1, v1, v5
	v_rcp_f32_e32 v7, v6
	v_fma_f32 v8, -v6, v7, 1.0
	v_fmac_f32_e32 v7, v8, v7
	v_div_scale_f32 v8, vcc, v5, v1, v5
	v_mul_f32_e32 v9, v8, v7
	v_fma_f32 v10, -v6, v9, v8
	v_fmac_f32_e32 v9, v10, v7
	v_fma_f32 v6, -v6, v9, v8
	v_div_fmas_f32 v6, v6, v7, v9
	v_div_fixup_f32 v5, v6, v1, v5
	v_div_scale_f32 v6, s[6:7], v1, v1, v4
	v_rcp_f32_e32 v7, v6
	v_fma_f32 v8, -v6, v7, 1.0
	v_fmac_f32_e32 v7, v8, v7
	v_div_scale_f32 v8, vcc, v4, v1, v4
	v_mul_f32_e32 v9, v8, v7
	v_fma_f32 v10, -v6, v9, v8
	v_fmac_f32_e32 v9, v10, v7
	v_fma_f32 v6, -v6, v9, v8
	v_div_fmas_f32 v6, v6, v7, v9
	v_div_fixup_f32 v4, v6, v1, v4
	v_mov_b32_e32 v1, 0
	global_store_dwordx2 v[2:3], v[4:5], off
.LBB25_523:                             ;   in Loop: Header=BB25_15 Depth=1
	s_or_b64 exec, exec, s[70:71]
	v_cmp_gt_i32_e32 vcc, 50, v1
	s_mov_b64 s[6:7], -1
	s_and_saveexec_b64 s[64:65], vcc
; %bb.524:                              ;   in Loop: Header=BB25_15 Depth=1
	v_cmp_eq_u32_e32 vcc, 0, v1
	s_orn2_b64 s[6:7], vcc, exec
; %bb.525:                              ;   in Loop: Header=BB25_15 Depth=1
	s_or_b64 exec, exec, s[64:65]
                                        ; implicit-def: $vgpr2_vgpr3
	s_and_saveexec_b64 s[64:65], s[6:7]
	s_cbranch_execz .LBB25_613
; %bb.526:                              ;   in Loop: Header=BB25_15 Depth=1
	v_mov_b32_e32 v1, 50
	s_and_saveexec_b64 s[70:71], s[34:35]
	s_cbranch_execz .LBB25_528
; %bb.527:                              ;   in Loop: Header=BB25_15 Depth=1
	ds_read_b32 v1, v147 offset:1348
	ds_read_b32 v4, v183
	v_mad_u64_u32 v[2:3], s[6:7], v220, s25, v[34:35]
	v_lshl_add_u32 v2, v2, 6, v36
	v_ashrrev_i32_e32 v3, 31, v2
	v_lshlrev_b64 v[2:3], 3, v[2:3]
	v_add_co_u32_e32 v2, vcc, s46, v2
	v_mov_b32_e32 v5, s47
	v_addc_co_u32_e32 v3, vcc, v5, v3, vcc
	s_waitcnt lgkmcnt(0)
	v_cvt_f32_f16_sdwa v5, v4 dst_sel:DWORD dst_unused:UNUSED_PAD src0_sel:WORD_1
	v_cvt_f32_f16_e32 v4, v4
	v_pk_add_f32 v[4:5], v[4:5], 0 op_sel_hi:[1,0]
	v_div_scale_f32 v6, s[6:7], v1, v1, v5
	v_rcp_f32_e32 v7, v6
	v_fma_f32 v8, -v6, v7, 1.0
	v_fmac_f32_e32 v7, v8, v7
	v_div_scale_f32 v8, vcc, v5, v1, v5
	v_mul_f32_e32 v9, v8, v7
	v_fma_f32 v10, -v6, v9, v8
	v_fmac_f32_e32 v9, v10, v7
	v_fma_f32 v6, -v6, v9, v8
	v_div_fmas_f32 v6, v6, v7, v9
	v_div_fixup_f32 v5, v6, v1, v5
	v_div_scale_f32 v6, s[6:7], v1, v1, v4
	v_rcp_f32_e32 v7, v6
	v_fma_f32 v8, -v6, v7, 1.0
	v_fmac_f32_e32 v7, v8, v7
	v_div_scale_f32 v8, vcc, v4, v1, v4
	v_mul_f32_e32 v9, v8, v7
	v_fma_f32 v10, -v6, v9, v8
	v_fmac_f32_e32 v9, v10, v7
	v_fma_f32 v6, -v6, v9, v8
	v_div_fmas_f32 v6, v6, v7, v9
	v_div_fixup_f32 v4, v6, v1, v4
	v_mov_b32_e32 v1, 0
	global_store_dwordx2 v[2:3], v[4:5], off
.LBB25_528:                             ;   in Loop: Header=BB25_15 Depth=1
	s_or_b64 exec, exec, s[70:71]
	v_cmp_gt_i32_e32 vcc, 50, v1
	s_mov_b64 s[70:71], -1
	s_and_saveexec_b64 s[6:7], vcc
; %bb.529:                              ;   in Loop: Header=BB25_15 Depth=1
	v_cmp_eq_u32_e32 vcc, 0, v1
	s_orn2_b64 s[70:71], vcc, exec
; %bb.530:                              ;   in Loop: Header=BB25_15 Depth=1
	s_or_b64 exec, exec, s[6:7]
	s_mov_b64 s[6:7], s[4:5]
                                        ; implicit-def: $vgpr2_vgpr3
	s_and_saveexec_b64 s[34:35], s[70:71]
	s_cbranch_execz .LBB25_612
; %bb.531:                              ;   in Loop: Header=BB25_15 Depth=1
	v_mov_b32_e32 v1, 50
	s_and_saveexec_b64 s[70:71], s[54:55]
	s_cbranch_execz .LBB25_533
; %bb.532:                              ;   in Loop: Header=BB25_15 Depth=1
	ds_read_b32 v1, v147 offset:2436
	ds_read_b32 v4, v185
	v_mad_u64_u32 v[2:3], s[6:7], v219, s25, v[34:35]
	v_lshl_add_u32 v2, v2, 6, v36
	v_ashrrev_i32_e32 v3, 31, v2
	v_lshlrev_b64 v[2:3], 3, v[2:3]
	v_add_co_u32_e32 v2, vcc, s46, v2
	v_mov_b32_e32 v5, s47
	v_addc_co_u32_e32 v3, vcc, v5, v3, vcc
	s_waitcnt lgkmcnt(0)
	v_cvt_f32_f16_sdwa v5, v4 dst_sel:DWORD dst_unused:UNUSED_PAD src0_sel:WORD_1
	v_cvt_f32_f16_e32 v4, v4
	v_pk_add_f32 v[4:5], v[4:5], 0 op_sel_hi:[1,0]
	v_div_scale_f32 v6, s[6:7], v1, v1, v5
	v_rcp_f32_e32 v7, v6
	v_fma_f32 v8, -v6, v7, 1.0
	v_fmac_f32_e32 v7, v8, v7
	v_div_scale_f32 v8, vcc, v5, v1, v5
	v_mul_f32_e32 v9, v8, v7
	v_fma_f32 v10, -v6, v9, v8
	v_fmac_f32_e32 v9, v10, v7
	v_fma_f32 v6, -v6, v9, v8
	v_div_fmas_f32 v6, v6, v7, v9
	v_div_fixup_f32 v5, v6, v1, v5
	v_div_scale_f32 v6, s[6:7], v1, v1, v4
	v_rcp_f32_e32 v7, v6
	v_fma_f32 v8, -v6, v7, 1.0
	v_fmac_f32_e32 v7, v8, v7
	v_div_scale_f32 v8, vcc, v4, v1, v4
	v_mul_f32_e32 v9, v8, v7
	v_fma_f32 v10, -v6, v9, v8
	v_fmac_f32_e32 v9, v10, v7
	v_fma_f32 v6, -v6, v9, v8
	v_div_fmas_f32 v6, v6, v7, v9
	v_div_fixup_f32 v4, v6, v1, v4
	v_mov_b32_e32 v1, 0
	global_store_dwordx2 v[2:3], v[4:5], off
.LBB25_533:                             ;   in Loop: Header=BB25_15 Depth=1
	s_or_b64 exec, exec, s[70:71]
	v_cmp_gt_i32_e32 vcc, 50, v1
	s_mov_b64 s[70:71], -1
	s_and_saveexec_b64 s[6:7], vcc
; %bb.534:                              ;   in Loop: Header=BB25_15 Depth=1
	v_cmp_eq_u32_e32 vcc, 0, v1
	s_orn2_b64 s[70:71], vcc, exec
; %bb.535:                              ;   in Loop: Header=BB25_15 Depth=1
	s_or_b64 exec, exec, s[6:7]
	s_mov_b64 s[6:7], s[4:5]
	;; [unrolled: 56-line block ×3, first 2 shown]
                                        ; implicit-def: $vgpr2_vgpr3
	s_and_saveexec_b64 s[70:71], s[94:95]
	s_cbranch_execz .LBB25_610
; %bb.541:                              ;   in Loop: Header=BB25_15 Depth=1
	v_mov_b32_e32 v1, 50
	s_and_saveexec_b64 s[94:95], s[78:79]
	s_cbranch_execz .LBB25_543
; %bb.542:                              ;   in Loop: Header=BB25_15 Depth=1
	v_mad_u64_u32 v[2:3], s[6:7], v217, s25, v[34:35]
	buffer_load_dword v1, off, s[96:99], 0 offset:12 ; 4-byte Folded Reload
	buffer_load_dword v3, off, s[96:99], 0 offset:8 ; 4-byte Folded Reload
	v_lshl_add_u32 v2, v2, 6, v36
	v_mov_b32_e32 v5, s47
	s_waitcnt vmcnt(1)
	ds_read_b32 v1, v1 offset:260
	s_waitcnt vmcnt(0)
	ds_read_b32 v4, v3
	v_ashrrev_i32_e32 v3, 31, v2
	v_lshlrev_b64 v[2:3], 3, v[2:3]
	v_add_co_u32_e32 v2, vcc, s46, v2
	v_addc_co_u32_e32 v3, vcc, v5, v3, vcc
	s_waitcnt lgkmcnt(0)
	v_cvt_f32_f16_sdwa v5, v4 dst_sel:DWORD dst_unused:UNUSED_PAD src0_sel:WORD_1
	v_cvt_f32_f16_e32 v4, v4
	v_pk_add_f32 v[4:5], v[4:5], 0 op_sel_hi:[1,0]
	v_div_scale_f32 v6, s[6:7], v1, v1, v5
	v_rcp_f32_e32 v7, v6
	v_fma_f32 v8, -v6, v7, 1.0
	v_fmac_f32_e32 v7, v8, v7
	v_div_scale_f32 v8, vcc, v5, v1, v5
	v_mul_f32_e32 v9, v8, v7
	v_fma_f32 v10, -v6, v9, v8
	v_fmac_f32_e32 v9, v10, v7
	v_fma_f32 v6, -v6, v9, v8
	v_div_fmas_f32 v6, v6, v7, v9
	v_div_fixup_f32 v5, v6, v1, v5
	v_div_scale_f32 v6, s[6:7], v1, v1, v4
	v_rcp_f32_e32 v7, v6
	v_fma_f32 v8, -v6, v7, 1.0
	v_fmac_f32_e32 v7, v8, v7
	v_div_scale_f32 v8, vcc, v4, v1, v4
	v_mul_f32_e32 v9, v8, v7
	v_fma_f32 v10, -v6, v9, v8
	v_fmac_f32_e32 v9, v10, v7
	v_fma_f32 v6, -v6, v9, v8
	v_div_fmas_f32 v6, v6, v7, v9
	v_div_fixup_f32 v4, v6, v1, v4
	v_mov_b32_e32 v1, 0
	global_store_dwordx2 v[2:3], v[4:5], off
.LBB25_543:                             ;   in Loop: Header=BB25_15 Depth=1
	s_or_b64 exec, exec, s[94:95]
	v_cmp_gt_i32_e32 vcc, 50, v1
	s_mov_b64 s[94:95], -1
	s_and_saveexec_b64 s[6:7], vcc
; %bb.544:                              ;   in Loop: Header=BB25_15 Depth=1
	v_cmp_eq_u32_e32 vcc, 0, v1
	s_orn2_b64 s[94:95], vcc, exec
; %bb.545:                              ;   in Loop: Header=BB25_15 Depth=1
	s_or_b64 exec, exec, s[6:7]
	s_mov_b64 s[6:7], s[4:5]
                                        ; implicit-def: $vgpr2_vgpr3
	s_and_saveexec_b64 s[92:93], s[94:95]
	s_cbranch_execz .LBB25_609
; %bb.546:                              ;   in Loop: Header=BB25_15 Depth=1
	v_mov_b32_e32 v1, 50
	s_and_saveexec_b64 s[94:95], s[76:77]
	s_cbranch_execz .LBB25_548
; %bb.547:                              ;   in Loop: Header=BB25_15 Depth=1
	ds_read_b32 v1, v147 offset:5700
	ds_read_b32 v4, v187 offset:2176
	v_mad_u64_u32 v[2:3], s[6:7], v216, s25, v[34:35]
	v_lshl_add_u32 v2, v2, 6, v36
	v_ashrrev_i32_e32 v3, 31, v2
	v_lshlrev_b64 v[2:3], 3, v[2:3]
	v_add_co_u32_e32 v2, vcc, s46, v2
	v_mov_b32_e32 v5, s47
	v_addc_co_u32_e32 v3, vcc, v5, v3, vcc
	s_waitcnt lgkmcnt(0)
	v_cvt_f32_f16_sdwa v5, v4 dst_sel:DWORD dst_unused:UNUSED_PAD src0_sel:WORD_1
	v_cvt_f32_f16_e32 v4, v4
	v_pk_add_f32 v[4:5], v[4:5], 0 op_sel_hi:[1,0]
	v_div_scale_f32 v6, s[6:7], v1, v1, v5
	v_rcp_f32_e32 v7, v6
	v_fma_f32 v8, -v6, v7, 1.0
	v_fmac_f32_e32 v7, v8, v7
	v_div_scale_f32 v8, vcc, v5, v1, v5
	v_mul_f32_e32 v9, v8, v7
	v_fma_f32 v10, -v6, v9, v8
	v_fmac_f32_e32 v9, v10, v7
	v_fma_f32 v6, -v6, v9, v8
	v_div_fmas_f32 v6, v6, v7, v9
	v_div_fixup_f32 v5, v6, v1, v5
	v_div_scale_f32 v6, s[6:7], v1, v1, v4
	v_rcp_f32_e32 v7, v6
	v_fma_f32 v8, -v6, v7, 1.0
	v_fmac_f32_e32 v7, v8, v7
	v_div_scale_f32 v8, vcc, v4, v1, v4
	v_mul_f32_e32 v9, v8, v7
	v_fma_f32 v10, -v6, v9, v8
	v_fmac_f32_e32 v9, v10, v7
	v_fma_f32 v6, -v6, v9, v8
	v_div_fmas_f32 v6, v6, v7, v9
	v_div_fixup_f32 v4, v6, v1, v4
	v_mov_b32_e32 v1, 0
	global_store_dwordx2 v[2:3], v[4:5], off
.LBB25_548:                             ;   in Loop: Header=BB25_15 Depth=1
	s_or_b64 exec, exec, s[94:95]
	v_cmp_gt_i32_e32 vcc, 50, v1
	s_mov_b64 s[94:95], -1
	s_and_saveexec_b64 s[6:7], vcc
; %bb.549:                              ;   in Loop: Header=BB25_15 Depth=1
	v_cmp_eq_u32_e32 vcc, 0, v1
	s_orn2_b64 s[94:95], vcc, exec
; %bb.550:                              ;   in Loop: Header=BB25_15 Depth=1
	s_or_b64 exec, exec, s[6:7]
	s_mov_b64 s[6:7], s[4:5]
                                        ; implicit-def: $vgpr2_vgpr3
	s_and_saveexec_b64 s[90:91], s[94:95]
	s_cbranch_execz .LBB25_608
; %bb.551:                              ;   in Loop: Header=BB25_15 Depth=1
	v_mov_b32_e32 v1, 50
	s_and_saveexec_b64 s[94:95], s[74:75]
	s_cbranch_execz .LBB25_553
; %bb.552:                              ;   in Loop: Header=BB25_15 Depth=1
	ds_read_b32 v1, v147 offset:6788
	ds_read_b32 v4, v187 offset:3264
	v_mad_u64_u32 v[2:3], s[6:7], v215, s25, v[34:35]
	v_lshl_add_u32 v2, v2, 6, v36
	v_ashrrev_i32_e32 v3, 31, v2
	v_lshlrev_b64 v[2:3], 3, v[2:3]
	v_add_co_u32_e32 v2, vcc, s46, v2
	v_mov_b32_e32 v5, s47
	v_addc_co_u32_e32 v3, vcc, v5, v3, vcc
	s_waitcnt lgkmcnt(0)
	v_cvt_f32_f16_sdwa v5, v4 dst_sel:DWORD dst_unused:UNUSED_PAD src0_sel:WORD_1
	v_cvt_f32_f16_e32 v4, v4
	v_pk_add_f32 v[4:5], v[4:5], 0 op_sel_hi:[1,0]
	v_div_scale_f32 v6, s[6:7], v1, v1, v5
	v_rcp_f32_e32 v7, v6
	v_fma_f32 v8, -v6, v7, 1.0
	v_fmac_f32_e32 v7, v8, v7
	v_div_scale_f32 v8, vcc, v5, v1, v5
	v_mul_f32_e32 v9, v8, v7
	v_fma_f32 v10, -v6, v9, v8
	v_fmac_f32_e32 v9, v10, v7
	v_fma_f32 v6, -v6, v9, v8
	v_div_fmas_f32 v6, v6, v7, v9
	v_div_fixup_f32 v5, v6, v1, v5
	v_div_scale_f32 v6, s[6:7], v1, v1, v4
	v_rcp_f32_e32 v7, v6
	v_fma_f32 v8, -v6, v7, 1.0
	v_fmac_f32_e32 v7, v8, v7
	v_div_scale_f32 v8, vcc, v4, v1, v4
	v_mul_f32_e32 v9, v8, v7
	v_fma_f32 v10, -v6, v9, v8
	v_fmac_f32_e32 v9, v10, v7
	v_fma_f32 v6, -v6, v9, v8
	v_div_fmas_f32 v6, v6, v7, v9
	v_div_fixup_f32 v4, v6, v1, v4
	v_mov_b32_e32 v1, 0
	global_store_dwordx2 v[2:3], v[4:5], off
.LBB25_553:                             ;   in Loop: Header=BB25_15 Depth=1
	;; [unrolled: 56-line block ×3, first 2 shown]
	s_or_b64 exec, exec, s[94:95]
	v_cmp_gt_i32_e32 vcc, 50, v1
	s_mov_b64 s[94:95], -1
	s_and_saveexec_b64 s[6:7], vcc
; %bb.559:                              ;   in Loop: Header=BB25_15 Depth=1
	v_cmp_eq_u32_e32 vcc, 0, v1
	s_orn2_b64 s[94:95], vcc, exec
; %bb.560:                              ;   in Loop: Header=BB25_15 Depth=1
	s_or_b64 exec, exec, s[6:7]
	s_mov_b64 s[6:7], s[4:5]
                                        ; implicit-def: $vgpr2_vgpr3
	s_and_saveexec_b64 s[86:87], s[94:95]
	s_cbranch_execz .LBB25_606
; %bb.561:                              ;   in Loop: Header=BB25_15 Depth=1
	v_mov_b32_e32 v1, 50
	s_and_saveexec_b64 s[94:95], s[84:85]
	s_cbranch_execz .LBB25_563
; %bb.562:                              ;   in Loop: Header=BB25_15 Depth=1
	v_mad_u64_u32 v[2:3], s[6:7], v213, s25, v[34:35]
	buffer_load_dword v1, off, s[96:99], 0 offset:20 ; 4-byte Folded Reload
	buffer_load_dword v3, off, s[96:99], 0 offset:16 ; 4-byte Folded Reload
	v_lshl_add_u32 v2, v2, 6, v36
	v_mov_b32_e32 v5, s47
	s_waitcnt vmcnt(1)
	ds_read_b32 v1, v1 offset:260
	s_waitcnt vmcnt(0)
	ds_read_b32 v4, v3
	v_ashrrev_i32_e32 v3, 31, v2
	v_lshlrev_b64 v[2:3], 3, v[2:3]
	v_add_co_u32_e32 v2, vcc, s46, v2
	v_addc_co_u32_e32 v3, vcc, v5, v3, vcc
	s_waitcnt lgkmcnt(0)
	v_cvt_f32_f16_sdwa v5, v4 dst_sel:DWORD dst_unused:UNUSED_PAD src0_sel:WORD_1
	v_cvt_f32_f16_e32 v4, v4
	v_pk_add_f32 v[4:5], v[4:5], 0 op_sel_hi:[1,0]
	v_div_scale_f32 v6, s[6:7], v1, v1, v5
	v_rcp_f32_e32 v7, v6
	v_fma_f32 v8, -v6, v7, 1.0
	v_fmac_f32_e32 v7, v8, v7
	v_div_scale_f32 v8, vcc, v5, v1, v5
	v_mul_f32_e32 v9, v8, v7
	v_fma_f32 v10, -v6, v9, v8
	v_fmac_f32_e32 v9, v10, v7
	v_fma_f32 v6, -v6, v9, v8
	v_div_fmas_f32 v6, v6, v7, v9
	v_div_fixup_f32 v5, v6, v1, v5
	v_div_scale_f32 v6, s[6:7], v1, v1, v4
	v_rcp_f32_e32 v7, v6
	v_fma_f32 v8, -v6, v7, 1.0
	v_fmac_f32_e32 v7, v8, v7
	v_div_scale_f32 v8, vcc, v4, v1, v4
	v_mul_f32_e32 v9, v8, v7
	v_fma_f32 v10, -v6, v9, v8
	v_fmac_f32_e32 v9, v10, v7
	v_fma_f32 v6, -v6, v9, v8
	v_div_fmas_f32 v6, v6, v7, v9
	v_div_fixup_f32 v4, v6, v1, v4
	v_mov_b32_e32 v1, 0
	global_store_dwordx2 v[2:3], v[4:5], off
.LBB25_563:                             ;   in Loop: Header=BB25_15 Depth=1
	s_or_b64 exec, exec, s[94:95]
	v_cmp_gt_i32_e32 vcc, 50, v1
	s_mov_b64 s[94:95], -1
	s_and_saveexec_b64 s[6:7], vcc
; %bb.564:                              ;   in Loop: Header=BB25_15 Depth=1
	v_cmp_eq_u32_e32 vcc, 0, v1
	s_orn2_b64 s[94:95], vcc, exec
; %bb.565:                              ;   in Loop: Header=BB25_15 Depth=1
	s_or_b64 exec, exec, s[6:7]
	s_mov_b64 s[6:7], s[4:5]
                                        ; implicit-def: $vgpr2_vgpr3
	s_and_saveexec_b64 s[84:85], s[94:95]
	s_cbranch_execz .LBB25_605
; %bb.566:                              ;   in Loop: Header=BB25_15 Depth=1
	v_mov_b32_e32 v1, 50
	s_mov_b64 s[94:95], exec
	v_readlane_b32 s6, v254, 43
	v_readlane_b32 s7, v254, 44
	s_and_b64 s[6:7], s[94:95], s[6:7]
	s_mov_b64 exec, s[6:7]
	s_cbranch_execz .LBB25_568
; %bb.567:                              ;   in Loop: Header=BB25_15 Depth=1
	ds_read_b32 v1, v147 offset:10052
	ds_read_b32 v4, v187 offset:6528
	v_mad_u64_u32 v[2:3], s[6:7], v212, s25, v[34:35]
	v_lshl_add_u32 v2, v2, 6, v36
	v_ashrrev_i32_e32 v3, 31, v2
	v_lshlrev_b64 v[2:3], 3, v[2:3]
	v_add_co_u32_e32 v2, vcc, s46, v2
	v_mov_b32_e32 v5, s47
	v_addc_co_u32_e32 v3, vcc, v5, v3, vcc
	s_waitcnt lgkmcnt(0)
	v_cvt_f32_f16_sdwa v5, v4 dst_sel:DWORD dst_unused:UNUSED_PAD src0_sel:WORD_1
	v_cvt_f32_f16_e32 v4, v4
	v_pk_add_f32 v[4:5], v[4:5], 0 op_sel_hi:[1,0]
	v_div_scale_f32 v6, s[6:7], v1, v1, v5
	v_rcp_f32_e32 v7, v6
	v_fma_f32 v8, -v6, v7, 1.0
	v_fmac_f32_e32 v7, v8, v7
	v_div_scale_f32 v8, vcc, v5, v1, v5
	v_mul_f32_e32 v9, v8, v7
	v_fma_f32 v10, -v6, v9, v8
	v_fmac_f32_e32 v9, v10, v7
	v_fma_f32 v6, -v6, v9, v8
	v_div_fmas_f32 v6, v6, v7, v9
	v_div_fixup_f32 v5, v6, v1, v5
	v_div_scale_f32 v6, s[6:7], v1, v1, v4
	v_rcp_f32_e32 v7, v6
	v_fma_f32 v8, -v6, v7, 1.0
	v_fmac_f32_e32 v7, v8, v7
	v_div_scale_f32 v8, vcc, v4, v1, v4
	v_mul_f32_e32 v9, v8, v7
	v_fma_f32 v10, -v6, v9, v8
	v_fmac_f32_e32 v9, v10, v7
	v_fma_f32 v6, -v6, v9, v8
	v_div_fmas_f32 v6, v6, v7, v9
	v_div_fixup_f32 v4, v6, v1, v4
	v_mov_b32_e32 v1, 0
	global_store_dwordx2 v[2:3], v[4:5], off
.LBB25_568:                             ;   in Loop: Header=BB25_15 Depth=1
	s_or_b64 exec, exec, s[94:95]
	v_cmp_gt_i32_e32 vcc, 50, v1
	s_mov_b64 s[94:95], -1
	s_and_saveexec_b64 s[6:7], vcc
; %bb.569:                              ;   in Loop: Header=BB25_15 Depth=1
	v_cmp_eq_u32_e32 vcc, 0, v1
	s_orn2_b64 s[94:95], vcc, exec
; %bb.570:                              ;   in Loop: Header=BB25_15 Depth=1
	s_or_b64 exec, exec, s[6:7]
	s_mov_b64 s[6:7], s[4:5]
                                        ; implicit-def: $vgpr2_vgpr3
	s_and_saveexec_b64 s[82:83], s[94:95]
	s_cbranch_execz .LBB25_604
; %bb.571:                              ;   in Loop: Header=BB25_15 Depth=1
	v_mov_b32_e32 v1, 50
	s_mov_b64 s[94:95], exec
	v_readlane_b32 s6, v254, 45
	v_readlane_b32 s7, v254, 46
	s_and_b64 s[6:7], s[94:95], s[6:7]
	s_mov_b64 exec, s[6:7]
	s_cbranch_execz .LBB25_573
; %bb.572:                              ;   in Loop: Header=BB25_15 Depth=1
	ds_read_b32 v1, v147 offset:11140
	ds_read_b32 v4, v187 offset:7616
	v_mad_u64_u32 v[2:3], s[6:7], v211, s25, v[34:35]
	v_lshl_add_u32 v2, v2, 6, v36
	v_ashrrev_i32_e32 v3, 31, v2
	v_lshlrev_b64 v[2:3], 3, v[2:3]
	v_add_co_u32_e32 v2, vcc, s46, v2
	v_mov_b32_e32 v5, s47
	v_addc_co_u32_e32 v3, vcc, v5, v3, vcc
	s_waitcnt lgkmcnt(0)
	v_cvt_f32_f16_sdwa v5, v4 dst_sel:DWORD dst_unused:UNUSED_PAD src0_sel:WORD_1
	v_cvt_f32_f16_e32 v4, v4
	v_pk_add_f32 v[4:5], v[4:5], 0 op_sel_hi:[1,0]
	v_div_scale_f32 v6, s[6:7], v1, v1, v5
	v_rcp_f32_e32 v7, v6
	v_fma_f32 v8, -v6, v7, 1.0
	v_fmac_f32_e32 v7, v8, v7
	v_div_scale_f32 v8, vcc, v5, v1, v5
	v_mul_f32_e32 v9, v8, v7
	v_fma_f32 v10, -v6, v9, v8
	v_fmac_f32_e32 v9, v10, v7
	v_fma_f32 v6, -v6, v9, v8
	v_div_fmas_f32 v6, v6, v7, v9
	v_div_fixup_f32 v5, v6, v1, v5
	v_div_scale_f32 v6, s[6:7], v1, v1, v4
	v_rcp_f32_e32 v7, v6
	v_fma_f32 v8, -v6, v7, 1.0
	v_fmac_f32_e32 v7, v8, v7
	v_div_scale_f32 v8, vcc, v4, v1, v4
	v_mul_f32_e32 v9, v8, v7
	v_fma_f32 v10, -v6, v9, v8
	v_fmac_f32_e32 v9, v10, v7
	v_fma_f32 v6, -v6, v9, v8
	v_div_fmas_f32 v6, v6, v7, v9
	v_div_fixup_f32 v4, v6, v1, v4
	v_mov_b32_e32 v1, 0
	global_store_dwordx2 v[2:3], v[4:5], off
.LBB25_573:                             ;   in Loop: Header=BB25_15 Depth=1
	;; [unrolled: 60-line block ×3, first 2 shown]
	s_or_b64 exec, exec, s[94:95]
	v_cmp_gt_i32_e32 vcc, 50, v1
	s_mov_b64 s[94:95], -1
	s_and_saveexec_b64 s[6:7], vcc
; %bb.579:                              ;   in Loop: Header=BB25_15 Depth=1
	v_cmp_eq_u32_e32 vcc, 0, v1
	s_orn2_b64 s[94:95], vcc, exec
; %bb.580:                              ;   in Loop: Header=BB25_15 Depth=1
	s_or_b64 exec, exec, s[6:7]
	s_mov_b64 s[6:7], s[4:5]
                                        ; implicit-def: $vgpr2_vgpr3
	s_and_saveexec_b64 s[78:79], s[94:95]
	s_cbranch_execz .LBB25_602
; %bb.581:                              ;   in Loop: Header=BB25_15 Depth=1
	v_mov_b32_e32 v1, 50
	s_mov_b64 s[94:95], exec
	v_readlane_b32 s6, v254, 49
	v_readlane_b32 s7, v254, 50
	s_and_b64 s[6:7], s[94:95], s[6:7]
	s_mov_b64 exec, s[6:7]
	s_cbranch_execz .LBB25_583
; %bb.582:                              ;   in Loop: Header=BB25_15 Depth=1
	v_mad_u64_u32 v[2:3], s[6:7], v209, s25, v[34:35]
	buffer_load_dword v1, off, s[96:99], 0 offset:28 ; 4-byte Folded Reload
	buffer_load_dword v3, off, s[96:99], 0 offset:24 ; 4-byte Folded Reload
	v_lshl_add_u32 v2, v2, 6, v36
	v_mov_b32_e32 v5, s47
	s_waitcnt vmcnt(1)
	ds_read_b32 v1, v1 offset:260
	s_waitcnt vmcnt(0)
	ds_read_b32 v4, v3
	v_ashrrev_i32_e32 v3, 31, v2
	v_lshlrev_b64 v[2:3], 3, v[2:3]
	v_add_co_u32_e32 v2, vcc, s46, v2
	v_addc_co_u32_e32 v3, vcc, v5, v3, vcc
	s_waitcnt lgkmcnt(0)
	v_cvt_f32_f16_sdwa v5, v4 dst_sel:DWORD dst_unused:UNUSED_PAD src0_sel:WORD_1
	v_cvt_f32_f16_e32 v4, v4
	v_pk_add_f32 v[4:5], v[4:5], 0 op_sel_hi:[1,0]
	v_div_scale_f32 v6, s[6:7], v1, v1, v5
	v_rcp_f32_e32 v7, v6
	v_fma_f32 v8, -v6, v7, 1.0
	v_fmac_f32_e32 v7, v8, v7
	v_div_scale_f32 v8, vcc, v5, v1, v5
	v_mul_f32_e32 v9, v8, v7
	v_fma_f32 v10, -v6, v9, v8
	v_fmac_f32_e32 v9, v10, v7
	v_fma_f32 v6, -v6, v9, v8
	v_div_fmas_f32 v6, v6, v7, v9
	v_div_fixup_f32 v5, v6, v1, v5
	v_div_scale_f32 v6, s[6:7], v1, v1, v4
	v_rcp_f32_e32 v7, v6
	v_fma_f32 v8, -v6, v7, 1.0
	v_fmac_f32_e32 v7, v8, v7
	v_div_scale_f32 v8, vcc, v4, v1, v4
	v_mul_f32_e32 v9, v8, v7
	v_fma_f32 v10, -v6, v9, v8
	v_fmac_f32_e32 v9, v10, v7
	v_fma_f32 v6, -v6, v9, v8
	v_div_fmas_f32 v6, v6, v7, v9
	v_div_fixup_f32 v4, v6, v1, v4
	v_mov_b32_e32 v1, 0
	global_store_dwordx2 v[2:3], v[4:5], off
.LBB25_583:                             ;   in Loop: Header=BB25_15 Depth=1
	s_or_b64 exec, exec, s[94:95]
	v_cmp_gt_i32_e32 vcc, 50, v1
	s_mov_b64 s[94:95], -1
	s_and_saveexec_b64 s[6:7], vcc
; %bb.584:                              ;   in Loop: Header=BB25_15 Depth=1
	v_cmp_eq_u32_e32 vcc, 0, v1
	s_orn2_b64 s[94:95], vcc, exec
; %bb.585:                              ;   in Loop: Header=BB25_15 Depth=1
	s_or_b64 exec, exec, s[6:7]
	s_mov_b64 s[6:7], s[4:5]
                                        ; implicit-def: $vgpr2_vgpr3
	s_and_saveexec_b64 s[76:77], s[94:95]
	s_cbranch_execz .LBB25_601
; %bb.586:                              ;   in Loop: Header=BB25_15 Depth=1
	v_mov_b32_e32 v1, 50
	s_mov_b64 s[94:95], exec
	v_readlane_b32 s6, v254, 51
	v_readlane_b32 s7, v254, 52
	s_and_b64 s[6:7], s[94:95], s[6:7]
	s_mov_b64 exec, s[6:7]
	s_cbranch_execz .LBB25_588
; %bb.587:                              ;   in Loop: Header=BB25_15 Depth=1
	ds_read_b32 v1, v147 offset:14404
	ds_read_b32 v4, v187 offset:10880
	v_mad_u64_u32 v[2:3], s[6:7], v208, s25, v[34:35]
	v_lshl_add_u32 v2, v2, 6, v36
	v_ashrrev_i32_e32 v3, 31, v2
	v_lshlrev_b64 v[2:3], 3, v[2:3]
	v_add_co_u32_e32 v2, vcc, s46, v2
	v_mov_b32_e32 v5, s47
	v_addc_co_u32_e32 v3, vcc, v5, v3, vcc
	s_waitcnt lgkmcnt(0)
	v_cvt_f32_f16_sdwa v5, v4 dst_sel:DWORD dst_unused:UNUSED_PAD src0_sel:WORD_1
	v_cvt_f32_f16_e32 v4, v4
	v_pk_add_f32 v[4:5], v[4:5], 0 op_sel_hi:[1,0]
	v_div_scale_f32 v6, s[6:7], v1, v1, v5
	v_rcp_f32_e32 v7, v6
	v_fma_f32 v8, -v6, v7, 1.0
	v_fmac_f32_e32 v7, v8, v7
	v_div_scale_f32 v8, vcc, v5, v1, v5
	v_mul_f32_e32 v9, v8, v7
	v_fma_f32 v10, -v6, v9, v8
	v_fmac_f32_e32 v9, v10, v7
	v_fma_f32 v6, -v6, v9, v8
	v_div_fmas_f32 v6, v6, v7, v9
	v_div_fixup_f32 v5, v6, v1, v5
	v_div_scale_f32 v6, s[6:7], v1, v1, v4
	v_rcp_f32_e32 v7, v6
	v_fma_f32 v8, -v6, v7, 1.0
	v_fmac_f32_e32 v7, v8, v7
	v_div_scale_f32 v8, vcc, v4, v1, v4
	v_mul_f32_e32 v9, v8, v7
	v_fma_f32 v10, -v6, v9, v8
	v_fmac_f32_e32 v9, v10, v7
	v_fma_f32 v6, -v6, v9, v8
	v_div_fmas_f32 v6, v6, v7, v9
	v_div_fixup_f32 v4, v6, v1, v4
	v_mov_b32_e32 v1, 0
	global_store_dwordx2 v[2:3], v[4:5], off
.LBB25_588:                             ;   in Loop: Header=BB25_15 Depth=1
	s_or_b64 exec, exec, s[94:95]
	v_cmp_gt_i32_e32 vcc, 50, v1
	s_mov_b64 s[94:95], -1
	s_and_saveexec_b64 s[6:7], vcc
; %bb.589:                              ;   in Loop: Header=BB25_15 Depth=1
	v_cmp_eq_u32_e32 vcc, 0, v1
	s_orn2_b64 s[94:95], vcc, exec
; %bb.590:                              ;   in Loop: Header=BB25_15 Depth=1
	s_or_b64 exec, exec, s[6:7]
	s_mov_b64 s[6:7], s[4:5]
                                        ; implicit-def: $vgpr2_vgpr3
	s_and_saveexec_b64 s[74:75], s[94:95]
	s_cbranch_execz .LBB25_600
; %bb.591:                              ;   in Loop: Header=BB25_15 Depth=1
	v_mov_b32_e32 v1, 50
	s_mov_b64 s[94:95], exec
	v_readlane_b32 s6, v254, 53
	v_readlane_b32 s7, v254, 54
	s_and_b64 s[6:7], s[94:95], s[6:7]
	s_mov_b64 exec, s[6:7]
	s_cbranch_execz .LBB25_593
; %bb.592:                              ;   in Loop: Header=BB25_15 Depth=1
	ds_read_b32 v1, v147 offset:15492
	ds_read_b32 v4, v187 offset:11968
	v_mad_u64_u32 v[2:3], s[6:7], v207, s25, v[34:35]
	v_lshl_add_u32 v2, v2, 6, v36
	v_ashrrev_i32_e32 v3, 31, v2
	v_lshlrev_b64 v[2:3], 3, v[2:3]
	v_add_co_u32_e32 v2, vcc, s46, v2
	v_mov_b32_e32 v5, s47
	v_addc_co_u32_e32 v3, vcc, v5, v3, vcc
	s_waitcnt lgkmcnt(0)
	v_cvt_f32_f16_sdwa v5, v4 dst_sel:DWORD dst_unused:UNUSED_PAD src0_sel:WORD_1
	v_cvt_f32_f16_e32 v4, v4
	v_pk_add_f32 v[4:5], v[4:5], 0 op_sel_hi:[1,0]
	v_div_scale_f32 v6, s[6:7], v1, v1, v5
	v_rcp_f32_e32 v7, v6
	v_fma_f32 v8, -v6, v7, 1.0
	v_fmac_f32_e32 v7, v8, v7
	v_div_scale_f32 v8, vcc, v5, v1, v5
	v_mul_f32_e32 v9, v8, v7
	v_fma_f32 v10, -v6, v9, v8
	v_fmac_f32_e32 v9, v10, v7
	v_fma_f32 v6, -v6, v9, v8
	v_div_fmas_f32 v6, v6, v7, v9
	v_div_fixup_f32 v5, v6, v1, v5
	v_div_scale_f32 v6, s[6:7], v1, v1, v4
	v_rcp_f32_e32 v7, v6
	v_fma_f32 v8, -v6, v7, 1.0
	v_fmac_f32_e32 v7, v8, v7
	v_div_scale_f32 v8, vcc, v4, v1, v4
	v_mul_f32_e32 v9, v8, v7
	v_fma_f32 v10, -v6, v9, v8
	v_fmac_f32_e32 v9, v10, v7
	v_fma_f32 v6, -v6, v9, v8
	v_div_fmas_f32 v6, v6, v7, v9
	v_div_fixup_f32 v4, v6, v1, v4
	v_mov_b32_e32 v1, 0
	global_store_dwordx2 v[2:3], v[4:5], off
.LBB25_593:                             ;   in Loop: Header=BB25_15 Depth=1
	s_or_b64 exec, exec, s[94:95]
	v_cmp_gt_i32_e32 vcc, 50, v1
	s_mov_b64 s[94:95], -1
	s_and_saveexec_b64 s[6:7], vcc
; %bb.594:                              ;   in Loop: Header=BB25_15 Depth=1
	v_cmp_eq_u32_e32 vcc, 0, v1
	s_orn2_b64 s[94:95], vcc, exec
; %bb.595:                              ;   in Loop: Header=BB25_15 Depth=1
	s_or_b64 exec, exec, s[6:7]
	s_mov_b64 s[6:7], s[4:5]
                                        ; implicit-def: $vgpr2_vgpr3
	s_and_saveexec_b64 s[72:73], s[94:95]
	s_cbranch_execz .LBB25_599
; %bb.596:                              ;   in Loop: Header=BB25_15 Depth=1
	s_mov_b64 s[6:7], s[4:5]
                                        ; implicit-def: $vgpr2_vgpr3
	s_and_saveexec_b64 s[94:95], s[2:3]
	s_cbranch_execz .LBB25_598
; %bb.597:                              ;   in Loop: Header=BB25_15 Depth=1
	ds_read_b32 v1, v147 offset:16580
	ds_read_b32 v2, v187 offset:13056
	s_or_b64 s[6:7], s[4:5], exec
	s_waitcnt lgkmcnt(0)
	v_cvt_f32_f16_sdwa v3, v2 dst_sel:DWORD dst_unused:UNUSED_PAD src0_sel:WORD_1
	v_cvt_f32_f16_e32 v2, v2
	v_pk_add_f32 v[2:3], v[2:3], 0 op_sel_hi:[1,0]
	v_div_scale_f32 v4, s[2:3], v1, v1, v3
	v_rcp_f32_e32 v5, v4
	v_fma_f32 v6, -v4, v5, 1.0
	v_fmac_f32_e32 v5, v6, v5
	v_div_scale_f32 v6, vcc, v3, v1, v3
	v_mul_f32_e32 v7, v6, v5
	v_fma_f32 v8, -v4, v7, v6
	v_fmac_f32_e32 v7, v8, v5
	v_fma_f32 v4, -v4, v7, v6
	v_div_fmas_f32 v4, v4, v5, v7
	v_div_fixup_f32 v3, v4, v1, v3
	v_div_scale_f32 v4, s[2:3], v1, v1, v2
	v_rcp_f32_e32 v5, v4
	v_fma_f32 v6, -v4, v5, 1.0
	v_fmac_f32_e32 v5, v6, v5
	v_div_scale_f32 v6, vcc, v2, v1, v2
	v_mul_f32_e32 v7, v6, v5
	v_fma_f32 v8, -v4, v7, v6
	v_fmac_f32_e32 v7, v8, v5
	v_fma_f32 v4, -v4, v7, v6
	v_div_fmas_f32 v4, v4, v5, v7
	v_div_fixup_f32 v2, v4, v1, v2
.LBB25_598:                             ;   in Loop: Header=BB25_15 Depth=1
	s_or_b64 exec, exec, s[94:95]
	s_andn2_b64 s[2:3], s[4:5], exec
	s_and_b64 s[6:7], s[6:7], exec
	s_or_b64 s[6:7], s[2:3], s[6:7]
.LBB25_599:                             ;   in Loop: Header=BB25_15 Depth=1
	s_or_b64 exec, exec, s[72:73]
	s_andn2_b64 s[2:3], s[4:5], exec
	s_and_b64 s[6:7], s[6:7], exec
	s_or_b64 s[6:7], s[2:3], s[6:7]
.LBB25_600:                             ;   in Loop: Header=BB25_15 Depth=1
	s_or_b64 exec, exec, s[74:75]
	s_andn2_b64 s[2:3], s[4:5], exec
	s_and_b64 s[6:7], s[6:7], exec
	s_or_b64 s[6:7], s[2:3], s[6:7]
.LBB25_601:                             ;   in Loop: Header=BB25_15 Depth=1
	s_or_b64 exec, exec, s[76:77]
	s_andn2_b64 s[2:3], s[4:5], exec
	s_and_b64 s[6:7], s[6:7], exec
	s_or_b64 s[6:7], s[2:3], s[6:7]
.LBB25_602:                             ;   in Loop: Header=BB25_15 Depth=1
	s_or_b64 exec, exec, s[78:79]
	s_andn2_b64 s[2:3], s[4:5], exec
	s_and_b64 s[6:7], s[6:7], exec
	s_or_b64 s[6:7], s[2:3], s[6:7]
.LBB25_603:                             ;   in Loop: Header=BB25_15 Depth=1
	s_or_b64 exec, exec, s[80:81]
	s_andn2_b64 s[2:3], s[4:5], exec
	s_and_b64 s[6:7], s[6:7], exec
	s_or_b64 s[6:7], s[2:3], s[6:7]
.LBB25_604:                             ;   in Loop: Header=BB25_15 Depth=1
	s_or_b64 exec, exec, s[82:83]
	s_andn2_b64 s[2:3], s[4:5], exec
	s_and_b64 s[6:7], s[6:7], exec
	s_or_b64 s[6:7], s[2:3], s[6:7]
.LBB25_605:                             ;   in Loop: Header=BB25_15 Depth=1
	s_or_b64 exec, exec, s[84:85]
	s_andn2_b64 s[2:3], s[4:5], exec
	s_and_b64 s[6:7], s[6:7], exec
	s_or_b64 s[6:7], s[2:3], s[6:7]
.LBB25_606:                             ;   in Loop: Header=BB25_15 Depth=1
	s_or_b64 exec, exec, s[86:87]
	s_andn2_b64 s[2:3], s[4:5], exec
	s_and_b64 s[6:7], s[6:7], exec
	s_or_b64 s[6:7], s[2:3], s[6:7]
.LBB25_607:                             ;   in Loop: Header=BB25_15 Depth=1
	s_or_b64 exec, exec, s[88:89]
	s_andn2_b64 s[2:3], s[4:5], exec
	s_and_b64 s[6:7], s[6:7], exec
	s_or_b64 s[6:7], s[2:3], s[6:7]
.LBB25_608:                             ;   in Loop: Header=BB25_15 Depth=1
	s_or_b64 exec, exec, s[90:91]
	s_andn2_b64 s[2:3], s[4:5], exec
	s_and_b64 s[6:7], s[6:7], exec
	s_or_b64 s[6:7], s[2:3], s[6:7]
.LBB25_609:                             ;   in Loop: Header=BB25_15 Depth=1
	s_or_b64 exec, exec, s[92:93]
	s_andn2_b64 s[2:3], s[4:5], exec
	s_and_b64 s[6:7], s[6:7], exec
	s_or_b64 s[6:7], s[2:3], s[6:7]
.LBB25_610:                             ;   in Loop: Header=BB25_15 Depth=1
	s_or_b64 exec, exec, s[70:71]
	s_andn2_b64 s[2:3], s[4:5], exec
	s_and_b64 s[6:7], s[6:7], exec
	s_or_b64 s[6:7], s[2:3], s[6:7]
.LBB25_611:                             ;   in Loop: Header=BB25_15 Depth=1
	s_or_b64 exec, exec, s[54:55]
	s_andn2_b64 s[2:3], s[4:5], exec
	s_and_b64 s[6:7], s[6:7], exec
	s_or_b64 s[6:7], s[2:3], s[6:7]
.LBB25_612:                             ;   in Loop: Header=BB25_15 Depth=1
	s_or_b64 exec, exec, s[34:35]
	s_andn2_b64 s[2:3], s[4:5], exec
	s_and_b64 s[4:5], s[6:7], exec
	s_or_b64 s[4:5], s[2:3], s[4:5]
.LBB25_613:                             ;   in Loop: Header=BB25_15 Depth=1
	s_or_b64 exec, exec, s[64:65]
	s_and_saveexec_b64 s[2:3], s[4:5]
	s_cbranch_execz .LBB25_14
.LBB25_614:                             ;   in Loop: Header=BB25_15 Depth=1
	v_mad_u64_u32 v[4:5], s[4:5], v204, s25, v[34:35]
	v_lshl_add_u32 v4, v4, 6, v36
	v_ashrrev_i32_e32 v5, 31, v4
	v_lshlrev_b64 v[4:5], 3, v[4:5]
	v_mov_b32_e32 v1, s47
	v_add_co_u32_e32 v4, vcc, s46, v4
	v_addc_co_u32_e32 v5, vcc, v1, v5, vcc
	global_store_dwordx2 v[4:5], v[2:3], off
	s_branch .LBB25_14
.LBB25_615:                             ;   in Loop: Header=BB25_15 Depth=1
                                        ; implicit-def: $vgpr14_vgpr15
                                        ; implicit-def: $vgpr16_vgpr17
                                        ; implicit-def: $vgpr18_vgpr19
                                        ; implicit-def: $vgpr26_vgpr27
                                        ; implicit-def: $vgpr28_vgpr29
                                        ; implicit-def: $vgpr30_vgpr31
                                        ; implicit-def: $vgpr32_vgpr33
                                        ; implicit-def: $vgpr66_vgpr67
                                        ; implicit-def: $vgpr68_vgpr69
	s_branch .LBB25_221
.LBB25_616:                             ;   in Loop: Header=BB25_15 Depth=1
                                        ; implicit-def: $vgpr14_vgpr15
                                        ; implicit-def: $vgpr16_vgpr17
                                        ; implicit-def: $vgpr18_vgpr19
                                        ; implicit-def: $vgpr26_vgpr27
                                        ; implicit-def: $vgpr28_vgpr29
                                        ; implicit-def: $vgpr30_vgpr31
                                        ; implicit-def: $vgpr32_vgpr33
                                        ; implicit-def: $vgpr64_vgpr65
                                        ; implicit-def: $vgpr66_vgpr67
	s_branch .LBB25_518
.LBB25_617:
	v_readlane_b32 s46, v254, 26
	v_readlane_b32 s47, v254, 27
	s_andn2_b64 vcc, exec, s[2:3]
	s_cbranch_vccnz .LBB25_12
.LBB25_618:
	v_readlane_b32 s7, v254, 3
	s_abs_i32 s0, s7
	v_cvt_f32_u32_e32 v1, s0
	s_sub_i32 s3, 0, s0
	s_abs_i32 s2, s52
	s_xor_b32 s1, s52, s7
	v_rcp_iflag_f32_e32 v1, v1
	s_ashr_i32 s1, s1, 31
	v_readlane_b32 s17, v254, 2
	v_readlane_b32 s20, v254, 1
	v_mul_f32_e32 v1, 0x4f7ffffe, v1
	v_cvt_u32_f32_e32 v1, v1
	v_mov_b32_e32 v16, s41
	v_readfirstlane_b32 s4, v1
	s_mul_i32 s3, s3, s4
	s_mul_hi_u32 s3, s4, s3
	s_add_i32 s4, s4, s3
	s_mul_hi_u32 s3, s2, s4
	s_mul_i32 s4, s3, s0
	s_sub_i32 s2, s2, s4
	s_add_i32 s5, s3, 1
	s_sub_i32 s4, s2, s0
	s_cmp_ge_u32 s2, s0
	s_cselect_b32 s3, s5, s3
	s_cselect_b32 s2, s4, s2
	s_add_i32 s4, s3, 1
	s_cmp_ge_u32 s2, s0
	s_cselect_b32 s0, s4, s3
	s_abs_i32 s2, s17
	v_cvt_f32_u32_e32 v1, s2
	s_xor_b32 s0, s0, s1
	s_sub_i32 s5, s0, s1
	s_sub_i32 s3, 0, s2
	v_rcp_iflag_f32_e32 v1, v1
	s_mul_i32 s0, s5, s7
	s_sub_i32 s0, s52, s0
	s_abs_i32 s4, s0
	v_mul_f32_e32 v1, 0x4f7ffffe, v1
	v_cvt_u32_f32_e32 v1, v1
	s_xor_b32 s1, s0, s17
	s_ashr_i32 s1, s1, 31
	v_readfirstlane_b32 s7, v1
	s_mul_i32 s3, s3, s7
	s_mul_hi_u32 s3, s7, s3
	s_add_i32 s7, s7, s3
	s_mul_hi_u32 s3, s4, s7
	s_mul_i32 s7, s3, s2
	s_sub_i32 s4, s4, s7
	s_add_i32 s16, s3, 1
	s_sub_i32 s7, s4, s2
	s_cmp_ge_u32 s4, s2
	s_cselect_b32 s3, s16, s3
	s_cselect_b32 s4, s7, s4
	s_add_i32 s7, s3, 1
	s_cmp_ge_u32 s4, s2
	s_cselect_b32 s2, s7, s3
	s_abs_i32 s3, s20
	v_cvt_f32_u32_e32 v1, s3
	s_xor_b32 s2, s2, s1
	s_sub_i32 s4, 0, s3
	s_sub_i32 s7, s2, s1
	v_rcp_iflag_f32_e32 v1, v1
	s_mul_i32 s1, s7, s17
	s_sub_i32 s1, s0, s1
	s_abs_i32 s2, s1
	v_mul_f32_e32 v1, 0x4f7ffffe, v1
	v_cvt_u32_f32_e32 v1, v1
	s_xor_b32 s0, s1, s20
	s_ashr_i32 s0, s0, 31
	v_readfirstlane_b32 s16, v1
	s_mul_i32 s4, s4, s16
	s_mul_hi_u32 s4, s16, s4
	s_add_i32 s16, s16, s4
	s_mul_hi_u32 s4, s2, s16
	s_mul_i32 s16, s4, s3
	s_sub_i32 s2, s2, s16
	s_add_i32 s17, s4, 1
	s_sub_i32 s16, s2, s3
	s_cmp_ge_u32 s2, s3
	s_cselect_b32 s4, s17, s4
	s_cselect_b32 s2, s16, s2
	s_add_i32 s16, s4, 1
	s_cmp_ge_u32 s2, s3
	s_cselect_b32 s2, s16, s4
	s_xor_b32 s2, s2, s0
	s_sub_i32 s0, s2, s0
	s_mul_i32 s2, s0, s20
	s_sub_i32 s1, s1, s2
	s_ashr_i32 s2, s1, 31
	v_readlane_b32 s3, v254, 18
	s_abs_i32 s1, s1
	s_xor_b32 s2, s2, s3
	s_mul_hi_u32 s3, s1, s56
	s_mul_i32 s4, s3, s57
	s_sub_i32 s1, s1, s4
	s_add_i32 s4, s3, 1
	s_sub_i32 s16, s1, s57
	s_cmp_ge_u32 s1, s57
	s_cselect_b32 s3, s4, s3
	s_cselect_b32 s1, s16, s1
	s_add_i32 s4, s3, 1
	s_cmp_ge_u32 s1, s57
	v_readlane_b32 s16, v254, 20
	s_cselect_b32 s1, s4, s3
	s_abs_i32 s16, s16
	v_cvt_f32_u32_e32 v1, s16
	s_xor_b32 s1, s1, s2
	v_readlane_b32 s17, v254, 21
	s_sub_i32 s1, s1, s2
	v_rcp_iflag_f32_e32 v1, v1
	s_cmp_eq_u64 s[18:19], 0
	v_mul_f32_e32 v1, 0x4f7ffffe, v1
	v_cvt_u32_f32_e32 v1, v1
	v_readfirstlane_b32 s17, v1
	s_cbranch_scc1 .LBB25_620
; %bb.619:
	v_readlane_b32 s2, v254, 0
	s_mul_i32 s2, s5, s2
	s_add_i32 s2, s1, s2
	s_ashr_i32 s3, s2, 31
	s_lshl_b64 s[2:3], s[2:3], 2
	s_add_u32 s2, s18, s2
	s_addc_u32 s3, s19, s3
	v_mov_b32_e32 v1, 0
	global_load_dword v1, v1, s[2:3]
	s_waitcnt vmcnt(0)
	v_ashrrev_i32_e32 v2, 31, v1
	v_lshrrev_b32_e32 v2, 26, v2
	v_add_u32_e32 v1, v1, v2
	v_ashrrev_i32_e32 v1, 6, v1
	v_min_i32_e32 v16, s41, v1
.LBB25_620:
	v_readlane_b32 s18, v254, 6
	v_readlane_b32 s19, v254, 7
	s_mul_i32 s2, s7, s33
	s_lshl_b32 s0, s0, 2
	s_mul_i32 s3, s5, s19
	s_add_i32 s2, s0, s2
	s_ashr_i32 s4, s3, 31
	s_add_u32 s3, s8, s3
	s_mul_i32 s2, s2, s18
	s_addc_u32 s4, s9, s4
	s_ashr_i32 s9, s2, 31
	s_add_u32 s8, s3, s2
	s_addc_u32 s9, s4, s9
	s_lshl_b32 s4, s1, 4
	v_or_b32_e32 v1, s0, v34
	v_and_b32_e32 v64, 0x3ff, v0
	v_add_u32_e32 v0, s4, v100
	v_cmp_gt_i32_e64 s[0:1], s33, v1
	v_cmp_le_i32_e32 vcc, s24, v0
	s_xor_b64 s[0:1], s[0:1], -1
	s_or_b64 s[2:3], vcc, s[0:1]
	s_and_saveexec_b64 s[18:19], s[2:3]
	s_xor_b64 s[2:3], exec, s[18:19]
	s_cbranch_execz .LBB25_622
; %bb.621:
	s_movk_i32 s18, 0x44
	v_mad_u32_u24 v0, v97, s18, v64
	v_lshl_add_u32 v0, v0, 2, 0
	v_mov_b32_e32 v1, 0
	ds_write_b32 v0, v1
                                        ; implicit-def: $vgpr0
.LBB25_622:
	s_or_saveexec_b64 s[2:3], s[2:3]
	v_readlane_b32 s25, v254, 19
	s_xor_b64 exec, exec, s[2:3]
	s_cbranch_execz .LBB25_624
; %bb.623:
	v_mul_lo_u32 v0, v0, s53
	v_mul_lo_u32 v1, v34, s25
	v_add3_u32 v0, v1, v64, v0
	v_ashrrev_i32_e32 v1, 31, v0
	v_lshlrev_b64 v[0:1], 3, v[0:1]
	v_mov_b32_e32 v2, s9
	v_add_co_u32_e32 v0, vcc, s8, v0
	v_addc_co_u32_e32 v1, vcc, v2, v1, vcc
	global_load_dwordx2 v[0:1], v[0:1], off
	s_movk_i32 s18, 0x44
	v_mad_u32_u24 v2, v97, s18, v64
	s_waitcnt vmcnt(0)
	v_cvt_f16_f32_e32 v0, v0
	v_cvt_f16_f32_e32 v1, v1
	v_pack_b32_f16 v0, v0, v1
	v_pk_mul_f16 v0, v99, v0
	v_lshl_add_u32 v1, v2, 2, 0
	ds_write_b32 v1, v0
.LBB25_624:
	s_or_b64 exec, exec, s[2:3]
	v_lshrrev_b32_e32 v0, 2, v96
	v_add_u32_e32 v0, s4, v0
	v_cmp_le_i32_e32 vcc, s24, v0
	s_or_b64 s[2:3], vcc, s[0:1]
	s_and_saveexec_b64 s[18:19], s[2:3]
	s_xor_b64 s[2:3], exec, s[18:19]
	s_cbranch_execz .LBB25_626
; %bb.625:
	s_movk_i32 s18, 0x44
	v_mad_u32_u24 v0, v96, s18, v64
	v_lshl_add_u32 v0, v0, 2, 0
	v_mov_b32_e32 v1, 0
	ds_write_b32 v0, v1
                                        ; implicit-def: $vgpr0
.LBB25_626:
	s_andn2_saveexec_b64 s[2:3], s[2:3]
	s_cbranch_execz .LBB25_628
; %bb.627:
	v_mul_lo_u32 v0, v0, s53
	v_mul_lo_u32 v1, v34, s25
	v_add3_u32 v0, v1, v64, v0
	v_ashrrev_i32_e32 v1, 31, v0
	v_lshlrev_b64 v[0:1], 3, v[0:1]
	v_mov_b32_e32 v2, s9
	v_add_co_u32_e32 v0, vcc, s8, v0
	v_addc_co_u32_e32 v1, vcc, v2, v1, vcc
	global_load_dwordx2 v[0:1], v[0:1], off
	s_movk_i32 s18, 0x44
	v_mad_u32_u24 v2, v96, s18, v64
	s_waitcnt vmcnt(0)
	v_cvt_f16_f32_e32 v0, v0
	v_cvt_f16_f32_e32 v1, v1
	v_pack_b32_f16 v0, v0, v1
	v_pk_mul_f16 v0, v99, v0
	v_lshl_add_u32 v1, v2, 2, 0
	ds_write_b32 v1, v0
.LBB25_628:
	s_or_b64 exec, exec, s[2:3]
	v_lshrrev_b32_e32 v0, 2, v95
	v_add_u32_e32 v0, s4, v0
	v_cmp_le_i32_e32 vcc, s24, v0
	s_or_b64 s[2:3], vcc, s[0:1]
	s_and_saveexec_b64 s[18:19], s[2:3]
	s_xor_b64 s[2:3], exec, s[18:19]
	s_cbranch_execz .LBB25_630
; %bb.629:
	s_movk_i32 s18, 0x44
	v_mad_u32_u24 v0, v95, s18, v64
	v_lshl_add_u32 v0, v0, 2, 0
	v_mov_b32_e32 v1, 0
	ds_write_b32 v0, v1
                                        ; implicit-def: $vgpr0
.LBB25_630:
	s_andn2_saveexec_b64 s[2:3], s[2:3]
	;; [unrolled: 38-line block ×10, first 2 shown]
	s_cbranch_execz .LBB25_664
; %bb.663:
	v_mul_lo_u32 v0, v0, s53
	v_mul_lo_u32 v1, v34, s25
	v_add3_u32 v0, v1, v64, v0
	v_ashrrev_i32_e32 v1, 31, v0
	v_lshlrev_b64 v[0:1], 3, v[0:1]
	v_mov_b32_e32 v2, s9
	v_add_co_u32_e32 v0, vcc, s8, v0
	v_addc_co_u32_e32 v1, vcc, v2, v1, vcc
	global_load_dwordx2 v[0:1], v[0:1], off
	s_movk_i32 s18, 0x44
	v_mad_u32_u24 v2, v85, s18, v64
	s_waitcnt vmcnt(0)
	v_cvt_f16_f32_e32 v0, v0
	v_cvt_f16_f32_e32 v1, v1
	v_pack_b32_f16 v0, v0, v1
	v_pk_mul_f16 v0, v99, v0
	v_lshl_add_u32 v1, v2, 2, 0
	ds_write_b32 v1, v0
.LBB25_664:
	s_or_b64 exec, exec, s[2:3]
	v_add_u32_e32 v0, 44, v97
	v_lshrrev_b32_e32 v0, 2, v0
	v_add_u32_e32 v0, s4, v0
	v_cmp_le_i32_e32 vcc, s24, v0
	s_or_b64 s[2:3], vcc, s[0:1]
	s_and_saveexec_b64 s[18:19], s[2:3]
	s_xor_b64 s[2:3], exec, s[18:19]
	s_cbranch_execz .LBB25_666
; %bb.665:
	s_movk_i32 s18, 0x44
	v_add_u32_e32 v0, 44, v97
	v_mad_u32_u24 v0, v0, s18, v64
	v_lshl_add_u32 v0, v0, 2, 0
	v_mov_b32_e32 v1, 0
	ds_write_b32 v0, v1
                                        ; implicit-def: $vgpr0
.LBB25_666:
	s_andn2_saveexec_b64 s[2:3], s[2:3]
	s_cbranch_execz .LBB25_668
; %bb.667:
	v_mul_lo_u32 v0, v0, s53
	v_mul_lo_u32 v1, v34, s25
	v_add3_u32 v0, v1, v64, v0
	v_ashrrev_i32_e32 v1, 31, v0
	v_lshlrev_b64 v[0:1], 3, v[0:1]
	v_mov_b32_e32 v2, s9
	v_add_co_u32_e32 v0, vcc, s8, v0
	v_addc_co_u32_e32 v1, vcc, v2, v1, vcc
	global_load_dwordx2 v[0:1], v[0:1], off
	s_movk_i32 s18, 0x44
	v_add_u32_e32 v2, 44, v97
	v_mad_u32_u24 v2, v2, s18, v64
	s_waitcnt vmcnt(0)
	v_cvt_f16_f32_e32 v0, v0
	v_cvt_f16_f32_e32 v1, v1
	v_pack_b32_f16 v0, v0, v1
	v_pk_mul_f16 v0, v99, v0
	v_lshl_add_u32 v1, v2, 2, 0
	ds_write_b32 v1, v0
.LBB25_668:
	s_or_b64 exec, exec, s[2:3]
	v_lshrrev_b32_e32 v0, 2, v81
	v_add_u32_e32 v0, s4, v0
	v_cmp_le_i32_e32 vcc, s24, v0
	s_or_b64 s[2:3], vcc, s[0:1]
	s_and_saveexec_b64 s[18:19], s[2:3]
	s_xor_b64 s[2:3], exec, s[18:19]
	s_cbranch_execz .LBB25_670
; %bb.669:
	s_movk_i32 s18, 0x44
	v_mad_u32_u24 v0, v81, s18, v64
	v_lshl_add_u32 v0, v0, 2, 0
	v_mov_b32_e32 v1, 0
	ds_write_b32 v0, v1
                                        ; implicit-def: $vgpr0
.LBB25_670:
	s_andn2_saveexec_b64 s[2:3], s[2:3]
	s_cbranch_execz .LBB25_672
; %bb.671:
	v_mul_lo_u32 v0, v0, s53
	v_mul_lo_u32 v1, v34, s25
	v_add3_u32 v0, v1, v64, v0
	v_ashrrev_i32_e32 v1, 31, v0
	v_lshlrev_b64 v[0:1], 3, v[0:1]
	v_mov_b32_e32 v2, s9
	v_add_co_u32_e32 v0, vcc, s8, v0
	v_addc_co_u32_e32 v1, vcc, v2, v1, vcc
	global_load_dwordx2 v[0:1], v[0:1], off
	s_movk_i32 s18, 0x44
	v_mad_u32_u24 v2, v81, s18, v64
	s_waitcnt vmcnt(0)
	v_cvt_f16_f32_e32 v0, v0
	v_cvt_f16_f32_e32 v1, v1
	v_pack_b32_f16 v0, v0, v1
	v_pk_mul_f16 v0, v99, v0
	v_lshl_add_u32 v1, v2, 2, 0
	ds_write_b32 v1, v0
.LBB25_672:
	s_or_b64 exec, exec, s[2:3]
	v_add_u32_e32 v0, 52, v97
	v_lshrrev_b32_e32 v0, 2, v0
	v_add_u32_e32 v0, s4, v0
	v_cmp_le_i32_e32 vcc, s24, v0
	s_sub_i32 s18, 0, s16
	s_or_b64 s[2:3], vcc, s[0:1]
	s_and_saveexec_b64 s[20:21], s[2:3]
	s_xor_b64 s[2:3], exec, s[20:21]
	s_cbranch_execz .LBB25_674
; %bb.673:
	s_movk_i32 s19, 0x44
	v_add_u32_e32 v0, 52, v97
	v_mad_u32_u24 v0, v0, s19, v64
	v_lshl_add_u32 v0, v0, 2, 0
	v_mov_b32_e32 v1, 0
	ds_write_b32 v0, v1
                                        ; implicit-def: $vgpr0
.LBB25_674:
	s_or_saveexec_b64 s[2:3], s[2:3]
	s_mul_i32 s18, s18, s17
	s_xor_b64 exec, exec, s[2:3]
	s_cbranch_execz .LBB25_676
; %bb.675:
	v_mul_lo_u32 v0, v0, s53
	v_mul_lo_u32 v1, v34, s25
	v_add3_u32 v0, v1, v64, v0
	v_ashrrev_i32_e32 v1, 31, v0
	v_lshlrev_b64 v[0:1], 3, v[0:1]
	v_mov_b32_e32 v2, s9
	v_add_co_u32_e32 v0, vcc, s8, v0
	v_addc_co_u32_e32 v1, vcc, v2, v1, vcc
	global_load_dwordx2 v[0:1], v[0:1], off
	s_movk_i32 s19, 0x44
	v_add_u32_e32 v2, 52, v97
	v_mad_u32_u24 v2, v2, s19, v64
	s_waitcnt vmcnt(0)
	v_cvt_f16_f32_e32 v0, v0
	v_cvt_f16_f32_e32 v1, v1
	v_pack_b32_f16 v0, v0, v1
	v_pk_mul_f16 v0, v99, v0
	v_lshl_add_u32 v1, v2, 2, 0
	ds_write_b32 v1, v0
.LBB25_676:
	s_or_b64 exec, exec, s[2:3]
	v_lshrrev_b32_e32 v0, 2, v206
	v_add_u32_e32 v0, s4, v0
	v_cmp_le_i32_e32 vcc, s24, v0
	s_mul_hi_u32 s19, s17, s18
	s_or_b64 s[2:3], vcc, s[0:1]
	s_and_saveexec_b64 s[20:21], s[2:3]
	s_xor_b64 s[2:3], exec, s[20:21]
	s_cbranch_execz .LBB25_678
; %bb.677:
	s_movk_i32 s18, 0x44
	v_mad_u32_u24 v0, v206, s18, v64
	v_lshl_add_u32 v0, v0, 2, 0
	v_mov_b32_e32 v1, 0
	ds_write_b32 v0, v1
                                        ; implicit-def: $vgpr0
.LBB25_678:
	s_or_saveexec_b64 s[2:3], s[2:3]
	s_abs_i32 s18, s5
	s_add_i32 s17, s17, s19
	s_xor_b64 exec, exec, s[2:3]
	s_cbranch_execz .LBB25_680
; %bb.679:
	v_mul_lo_u32 v0, v0, s53
	v_mul_lo_u32 v1, v34, s25
	v_add3_u32 v0, v1, v64, v0
	v_ashrrev_i32_e32 v1, 31, v0
	v_lshlrev_b64 v[0:1], 3, v[0:1]
	v_mov_b32_e32 v2, s9
	v_add_co_u32_e32 v0, vcc, s8, v0
	v_addc_co_u32_e32 v1, vcc, v2, v1, vcc
	global_load_dwordx2 v[0:1], v[0:1], off
	s_movk_i32 s19, 0x44
	v_mad_u32_u24 v2, v206, s19, v64
	s_waitcnt vmcnt(0)
	v_cvt_f16_f32_e32 v0, v0
	v_cvt_f16_f32_e32 v1, v1
	v_pack_b32_f16 v0, v0, v1
	v_pk_mul_f16 v0, v99, v0
	v_lshl_add_u32 v1, v2, 2, 0
	ds_write_b32 v1, v0
.LBB25_680:
	s_or_b64 exec, exec, s[2:3]
	v_lshrrev_b32_e32 v0, 2, v205
	v_add_u32_e32 v0, s4, v0
	v_cmp_le_i32_e32 vcc, s24, v0
	s_mul_hi_u32 s2, s18, s17
	s_or_b64 s[0:1], vcc, s[0:1]
	s_and_saveexec_b64 s[20:21], s[0:1]
	s_xor_b64 s[0:1], exec, s[20:21]
	s_cbranch_execz .LBB25_682
; %bb.681:
	s_movk_i32 s3, 0x44
	v_mad_u32_u24 v0, v205, s3, v64
	v_lshl_add_u32 v0, v0, 2, 0
	v_mov_b32_e32 v1, 0
	ds_write_b32 v0, v1
                                        ; implicit-def: $vgpr0
                                        ; implicit-def: $vgpr34
                                        ; implicit-def: $vgpr99
.LBB25_682:
	s_or_saveexec_b64 s[0:1], s[0:1]
	s_ashr_i32 s3, s5, 31
	s_xor_b64 exec, exec, s[0:1]
	s_cbranch_execz .LBB25_684
; %bb.683:
	v_mul_lo_u32 v0, v0, s53
	v_mul_lo_u32 v1, v34, s25
	v_add3_u32 v0, v1, v64, v0
	v_ashrrev_i32_e32 v1, 31, v0
	v_lshlrev_b64 v[0:1], 3, v[0:1]
	v_mov_b32_e32 v2, s9
	v_add_co_u32_e32 v0, vcc, s8, v0
	v_addc_co_u32_e32 v1, vcc, v2, v1, vcc
	global_load_dwordx2 v[0:1], v[0:1], off
	s_movk_i32 s8, 0x44
	v_mad_u32_u24 v2, v205, s8, v64
	s_waitcnt vmcnt(0)
	v_cvt_f16_f32_e32 v0, v0
	v_cvt_f16_f32_e32 v1, v1
	v_pack_b32_f16 v0, v0, v1
	v_pk_mul_f16 v0, v99, v0
	v_lshl_add_u32 v1, v2, 2, 0
	ds_write_b32 v1, v0
.LBB25_684:
	s_or_b64 exec, exec, s[0:1]
	s_mul_i32 s0, s5, s29
	s_mul_hi_u32 s1, s5, s28
	s_add_i32 s0, s1, s0
	s_mul_i32 s1, s3, s28
	v_readlane_b32 s8, v254, 16
	s_add_i32 s0, s0, s1
	s_mul_i32 s1, s5, s28
	v_readlane_b32 s9, v254, 17
	s_add_u32 s1, s10, s1
	s_mul_i32 s8, s7, s9
	s_addc_u32 s0, s11, s0
	s_ashr_i32 s10, s8, 31
	s_add_u32 s9, s1, s8
	s_mul_i32 s2, s2, s16
	s_addc_u32 s10, s0, s10
	s_sub_i32 s0, s18, s2
	s_sub_i32 s1, s0, s16
	s_cmp_ge_u32 s0, s16
	s_cselect_b32 s0, s1, s0
	s_sub_i32 s1, s0, s16
	s_cmp_ge_u32 s0, s16
	s_cselect_b32 s0, s1, s0
	s_xor_b32 s0, s0, s3
	v_readlane_b32 s16, v254, 14
	s_sub_i32 s0, s0, s3
	v_readlane_b32 s17, v254, 15
	s_ashr_i32 s1, s0, 31
	s_mul_i32 s2, s0, s17
	s_mul_hi_u32 s8, s0, s16
	s_add_i32 s2, s8, s2
	s_mul_i32 s1, s1, s16
	s_mul_i32 s0, s0, s16
	v_readlane_b32 s16, v254, 12
	s_add_i32 s2, s2, s1
	v_readlane_b32 s17, v254, 13
	s_add_u32 s11, s14, s0
	s_mul_i32 s0, s5, s17
	s_mul_hi_u32 s1, s5, s16
	s_addc_u32 s14, s15, s2
	s_add_i32 s0, s1, s0
	s_mul_i32 s3, s3, s16
	s_add_i32 s0, s0, s3
	s_mul_i32 s5, s5, s16
	s_add_u32 s1, s12, s5
	s_mul_i32 s7, s7, s31
	s_addc_u32 s0, s13, s0
	s_ashr_i32 s2, s7, 31
	s_add_u32 s7, s1, s7
	v_lshrrev_b32_e32 v17, 3, v64
	s_addc_u32 s8, s0, s2
	s_movk_i32 s0, 0x1100
	v_and_b32_e32 v33, 15, v64
	v_and_b32_e32 v1, 0x7e, v17
	v_mad_u32_u24 v0, v97, s0, 0
	v_mul_u32_u24_e32 v107, 0x110, v33
	v_lshlrev_b32_e32 v108, 2, v1
	v_add3_u32 v65, v0, v107, v108
	s_waitcnt lgkmcnt(0)
	s_barrier
	ds_read2_b64 v[12:15], v65 offset1:4
	ds_read2_b64 v[8:11], v65 offset0:8 offset1:12
	ds_read2_b64 v[4:7], v65 offset0:16 offset1:20
	;; [unrolled: 1-line block ×3, first 2 shown]
	v_add_u32_e32 v116, -1, v16
	v_cmp_lt_i32_e32 vcc, s6, v116
	v_lshlrev_b32_e32 v16, 1, v64
	s_mov_b32 s5, 0
	s_movk_i32 s0, 0x110
	v_and_b32_e32 v16, 62, v16
	v_mov_b32_e32 v35, 0
	s_waitcnt lgkmcnt(0)
	s_barrier
	s_cbranch_vccnz .LBB25_686
; %bb.685:
	v_lshrrev_b32_e32 v18, 5, v64
	v_lshl_add_u32 v18, v97, 1, v18
	v_add_u32_e32 v19, s4, v18
	v_mul_hi_u32 v20, s46, v19
	v_add_u32_e32 v20, v19, v20
	v_lshrrev_b32_e32 v20, s47, v20
	v_mul_lo_u32 v20, v20, s24
	v_sub_u32_e32 v20, v19, v20
	v_add_u32_e32 v19, 8, v19
	v_mad_i64_i32 v[36:37], s[2:3], v20, s42, 0
	v_mul_hi_u32 v20, s46, v19
	v_add_u32_e32 v20, v19, v20
	v_lshrrev_b32_e32 v20, s47, v20
	v_mul_lo_u32 v20, v20, s24
	s_movk_i32 s1, 0x90
	v_sub_u32_e32 v19, v19, v20
	v_mov_b32_e32 v20, 0x480
	v_mul_u32_u24_e32 v110, 0x90, v18
	v_mad_u32_u24 v111, v18, s1, v20
	v_lshrrev_b32_e32 v18, 4, v64
	v_lshl_add_u32 v70, v97, 2, v18
	v_lshlrev_b32_e32 v18, 2, v64
	v_mul_lo_u32 v40, s38, v70
	s_lshl_b32 s1, s38, 4
	v_and_b32_e32 v34, 60, v18
	v_mov_b32_e32 v18, 0x1100
	v_add_u32_e32 v42, s1, v40
	v_mad_u32_u24 v113, v70, s0, v18
	v_mov_b32_e32 v18, 0x2200
	v_add_u32_e32 v44, s1, v42
	v_mad_i64_i32 v[38:39], s[2:3], v19, s42, 0
	v_mad_u32_u24 v114, v70, s0, v18
	v_mov_b32_e32 v18, 0x3300
	v_add_u32_e32 v46, s1, v44
	s_ashr_i32 s3, s38, 31
	v_mul_u32_u24_e32 v112, 0x110, v70
	v_ashrrev_i32_e32 v41, 31, v40
	v_add_u32_e32 v71, 16, v70
	v_ashrrev_i32_e32 v43, 31, v42
	v_add_u32_e32 v72, 32, v70
	;; [unrolled: 2-line block ×3, first 2 shown]
	v_mad_u32_u24 v115, v70, s0, v18
	v_ashrrev_i32_e32 v47, 31, v46
	s_mov_b64 s[0:1], 0
	s_mov_b32 s13, 0xfeffffff
	s_mov_b32 s12, 0
	s_branch .LBB25_687
.LBB25_686:
	s_mov_b64 s[0:1], -1
                                        ; implicit-def: $sgpr12
                                        ; implicit-def: $sgpr5
                                        ; implicit-def: $sgpr13
                                        ; implicit-def: $vgpr110
                                        ; implicit-def: $vgpr36_vgpr37
                                        ; implicit-def: $vgpr111
                                        ; implicit-def: $vgpr38_vgpr39
                                        ; implicit-def: $vgpr70
                                        ; implicit-def: $vgpr112
                                        ; implicit-def: $vgpr34
                                        ; implicit-def: $vgpr40_vgpr41
                                        ; implicit-def: $vgpr71
                                        ; implicit-def: $vgpr113
                                        ; implicit-def: $vgpr42_vgpr43
                                        ; implicit-def: $vgpr72
                                        ; implicit-def: $vgpr114
                                        ; implicit-def: $vgpr44_vgpr45
                                        ; implicit-def: $vgpr73
                                        ; implicit-def: $vgpr115
                                        ; implicit-def: $vgpr46_vgpr47
                                        ; implicit-def: $sgpr2_sgpr3
.LBB25_687:
	s_andn2_b64 vcc, exec, s[0:1]
	v_mov_b32_e32 v105, s12
	v_mov_b32_e32 v121, s5
	;; [unrolled: 1-line block ×3, first 2 shown]
	v_lshlrev_b32_e32 v117, 1, v16
	v_lshrrev_b32_e32 v69, 2, v64
	v_lshl_or_b32 v99, v17, 2, 4
	v_mbcnt_lo_u32_b32 v86, -1, 0
	v_lshlrev_b32_e32 v68, 1, v33
	v_mov_b32_e32 v106, s12
	v_mov_b32_e32 v100, s12
	;; [unrolled: 1-line block ×15, first 2 shown]
	s_cbranch_vccnz .LBB25_755
; %bb.688:
	v_mov_b32_e32 v16, s14
	v_add_co_u32_e32 v118, vcc, s11, v117
	v_addc_co_u32_e32 v119, vcc, 0, v16, vcc
	v_lshrrev_b32_e32 v16, 5, v64
	v_lshl_add_u32 v16, v97, 1, v16
	v_add_u32_e32 v17, s4, v16
	v_mul_hi_u32 v18, s46, v17
	v_add_u32_e32 v18, v17, v18
	v_lshrrev_b32_e32 v18, s47, v18
	v_mul_lo_u32 v18, v18, s24
	v_sub_u32_e32 v18, v17, v18
	v_add_u32_e32 v17, 8, v17
	v_mad_i64_i32 v[36:37], s[0:1], v18, s42, 0
	v_mul_hi_u32 v18, s46, v17
	v_add_u32_e32 v18, v17, v18
	v_lshrrev_b32_e32 v18, s47, v18
	v_mul_lo_u32 v18, v18, s24
	s_movk_i32 s2, 0x90
	v_sub_u32_e32 v17, v17, v18
	v_mov_b32_e32 v18, 0x480
	v_mul_u32_u24_e32 v110, 0x90, v16
	v_mad_u32_u24 v111, v16, s2, v18
	v_lshrrev_b32_e32 v16, 4, v64
	v_lshl_add_u32 v70, v97, 2, v16
	v_lshlrev_b32_e32 v16, 2, v64
	v_and_b32_e32 v34, 60, v16
	v_mad_i64_i32 v[38:39], s[0:1], v17, s42, 0
	v_mul_u32_u24_e32 v112, 0x110, v70
	v_lshlrev_b32_e32 v16, 2, v34
	s_movk_i32 s0, 0x110
	v_add3_u32 v120, 0, v112, v16
	v_mov_b32_e32 v16, 0x1100
	v_mad_u32_u24 v113, v70, s0, v16
	v_mov_b32_e32 v16, 0x2200
	v_mad_u32_u24 v114, v70, s0, v16
	v_mov_b32_e32 v16, 0x3300
	v_mad_u32_u24 v115, v70, s0, v16
	v_and_b32_e32 v16, 12, v64
	v_lshl_or_b32 v16, v97, 4, v16
	v_lshrrev_b32_e32 v16, 2, v16
	v_and_b32_e32 v25, 0xfc, v69
	v_mad_u32_u24 v16, v16, s2, 0
	v_lshl_add_u32 v126, v25, 1, v16
	v_add_u32_e32 v127, v16, v99
	v_mbcnt_hi_u32_b32 v16, -1, v86
	v_and_b32_e32 v17, 64, v16
	v_add_u32_e32 v17, 64, v17
	v_xor_b32_e32 v18, 32, v16
	v_cmp_lt_i32_e32 vcc, v18, v17
	v_cndmask_b32_e32 v18, v16, v18, vcc
	v_lshlrev_b32_e32 v128, 2, v18
	v_xor_b32_e32 v18, 16, v16
	v_cmp_lt_i32_e32 vcc, v18, v17
	v_cndmask_b32_e32 v16, v16, v18, vcc
	v_lshlrev_b32_e32 v129, 2, v16
	v_mul_lo_u32 v16, s26, v70
	s_lshl_b32 s0, s26, 4
	v_add_u32_e32 v18, s0, v16
	v_mul_u32_u24_e32 v29, 0x88, v25
	v_add_u32_e32 v20, s0, v18
	v_or_b32_e32 v29, v29, v33
	v_add_u32_e32 v22, s0, v20
	v_lshlrev_b32_e32 v29, 1, v29
	s_add_i32 s0, 0, 0x1100
	v_add_u32_e32 v133, s0, v29
	s_add_i32 s0, 0, 0x2200
	v_add_u32_e32 v134, s0, v29
	;; [unrolled: 2-line block ×24, first 2 shown]
	s_add_i32 s0, 0, 0x33c0
	v_mul_lo_u32 v40, s38, v70
	s_lshl_b32 s1, s38, 4
	v_add_u32_e32 v159, s0, v29
	s_add_i32 s0, 0, 0xe0
	v_add_u32_e32 v42, s1, v40
	v_add_u32_e32 v160, s0, v29
	s_add_i32 s0, 0, 0x11e0
	v_add_u32_e32 v44, s1, v42
	v_or_b32_e32 v30, 3, v69
	v_add_u32_e32 v161, s0, v29
	s_add_i32 s0, 0, 0x22e0
	v_add_u32_e32 v24, 0, v117
	v_mov_b32_e32 v35, 0
	v_add_u32_e32 v46, s1, v44
	v_add_u32_e32 v26, 32, v126
	;; [unrolled: 1-line block ×4, first 2 shown]
	v_ashrrev_i32_e32 v17, 31, v16
	v_ashrrev_i32_e32 v19, 31, v18
	;; [unrolled: 1-line block ×4, first 2 shown]
	v_mul_u32_u24_e32 v25, 0x110, v25
	v_mul_u32_u24_e32 v30, 0x110, v30
	v_add_u32_e32 v162, s0, v29
	s_add_i32 s0, 0, 0x33e0
	s_ashr_i32 s3, s38, 31
	v_ashrrev_i32_e32 v41, 31, v40
	v_add_u32_e32 v71, 16, v70
	v_add_u32_e32 v122, 0x1100, v120
	v_ashrrev_i32_e32 v43, 31, v42
	v_add_u32_e32 v72, 32, v70
	v_add_u32_e32 v123, 0x2200, v120
	;; [unrolled: 3-line block ×3, first 2 shown]
	v_ashrrev_i32_e32 v47, 31, v46
	v_add3_u32 v125, 0, v107, v108
	v_add_u32_e32 v130, 0, v29
	v_add3_u32 v131, 0, v25, v68
	v_add3_u32 v132, 0, v30, v68
	;; [unrolled: 1-line block ×4, first 2 shown]
	v_add_u32_e32 v163, s0, v29
	s_mov_b32 s37, s36
	s_lshl_b32 s4, s6, 6
	v_mov_b32_e32 v56, 0xfeffffff
	v_add_u32_e32 v164, v24, v110
	v_lshlrev_b32_e32 v165, 2, v34
	s_mov_b32 s2, 0x3f200000
	s_mov_b32 s12, 0x3fb8aa3b
	;; [unrolled: 1-line block ×4, first 2 shown]
	v_mov_b32_e32 v166, 0xbd5c1c4e
	v_mov_b32_e32 v167, 0x3e088382
	v_mov_b32_e32 v168, 0xbeaaaa99
	s_brev_b32 s16, -2
	v_add_u32_e32 v169, 0x4400, v26
	v_add_u32_e32 v170, 0x4400, v27
	;; [unrolled: 1-line block ×3, first 2 shown]
	s_mov_b32 s17, 0xc1a00000
	v_lshlrev_b64 v[48:49], 2, v[16:17]
	v_lshlrev_b64 v[50:51], 2, v[18:19]
	;; [unrolled: 1-line block ×4, first 2 shown]
	s_mov_b32 s18, 0x5040100
	v_mov_b32_e32 v172, 0x7f800000
	v_mov_b32_e32 v173, v35
	;; [unrolled: 1-line block ×18, first 2 shown]
.LBB25_689:                             ; =>This Inner Loop Header: Depth=1
	s_ashr_i32 s5, s4, 31
	s_lshl_b64 s[0:1], s[4:5], 1
	v_mov_b32_e32 v16, s1
	v_add_co_u32_e32 v20, vcc, s0, v118
	v_addc_co_u32_e32 v21, vcc, v119, v16, vcc
	v_lshlrev_b64 v[16:17], 1, v[36:37]
	v_add_co_u32_e32 v16, vcc, v20, v16
	s_mul_hi_i32 s1, s4, s38
	s_mul_i32 s0, s4, s38
	v_addc_co_u32_e32 v17, vcc, v21, v17, vcc
	v_lshlrev_b64 v[18:19], 1, v[38:39]
	s_lshl_b64 s[0:1], s[0:1], 2
	v_add_co_u32_e32 v18, vcc, v20, v18
	s_add_u32 s0, s9, s0
	v_addc_co_u32_e32 v19, vcc, v21, v19, vcc
	global_load_dword v32, v[16:17], off
	global_load_dword v57, v[18:19], off
	s_addc_u32 s1, s10, s1
	v_lshlrev_b64 v[16:17], 2, v[40:41]
	v_mov_b32_e32 v18, s1
	v_add_co_u32_e32 v16, vcc, s0, v16
	v_addc_co_u32_e32 v17, vcc, v18, v17, vcc
	v_add_co_u32_e32 v16, vcc, v16, v165
	v_addc_co_u32_e32 v17, vcc, 0, v17, vcc
	v_lshlrev_b64 v[18:19], 2, v[42:43]
	v_mov_b32_e32 v20, s1
	v_add_co_u32_e32 v18, vcc, s0, v18
	v_addc_co_u32_e32 v19, vcc, v20, v19, vcc
	v_add_co_u32_e32 v20, vcc, v18, v165
	v_addc_co_u32_e32 v21, vcc, 0, v19, vcc
	;; [unrolled: 6-line block ×4, first 2 shown]
	global_load_dwordx4 v[16:19], v[16:17], off
	s_nop 0
	global_load_dwordx4 v[20:23], v[20:21], off
	s_nop 0
	;; [unrolled: 2-line block ×3, first 2 shown]
	global_load_dwordx4 v[28:31], v[28:29], off
	s_waitcnt vmcnt(5)
	ds_write_b32 v164, v32 offset:17408
	s_waitcnt vmcnt(4)
	ds_write_b32 v164, v57 offset:18560
	s_waitcnt vmcnt(3)
	ds_write_b128 v120, v[16:19]
	s_waitcnt vmcnt(2)
	ds_write_b128 v122, v[20:23]
	;; [unrolled: 2-line block ×4, first 2 shown]
	v_add_u32_e32 v32, 0x1000, v125
	s_waitcnt lgkmcnt(0)
	s_barrier
	ds_read2_b64 v[16:19], v125 offset1:4
	ds_read2_b64 v[24:27], v32 offset0:32 offset1:36
	s_waitcnt lgkmcnt(1)
	v_mfma_f32_16x16x16f16 v[20:23], v[16:17], v[12:13], 0
	v_add_u32_e32 v57, 0x2000, v125
	ds_read2_b64 v[58:61], v57 offset0:64 offset1:68
	s_waitcnt lgkmcnt(1)
	v_mfma_f32_16x16x16f16 v[28:31], v[24:25], v[12:13], 0
	v_mfma_f32_16x16x16f16 v[16:19], v[18:19], v[14:15], v[20:23]
	;; [unrolled: 1-line block ×3, first 2 shown]
	s_nop 7
	s_nop 0
	ds_read2_b64 v[28:31], v125 offset0:8 offset1:12
	s_waitcnt lgkmcnt(0)
	v_mfma_f32_16x16x16f16 v[16:19], v[28:29], v[8:9], v[16:19]
	v_mfma_f32_16x16x16f16 v[16:19], v[30:31], v[10:11], v[16:19]
	ds_read2_b64 v[28:31], v125 offset0:16 offset1:20
	s_waitcnt lgkmcnt(0)
	v_mfma_f32_16x16x16f16 v[16:19], v[28:29], v[4:5], v[16:19]
	v_mfma_f32_16x16x16f16 v[174:177], v[58:59], v[12:13], 0
	;; [unrolled: 1-line block ×3, first 2 shown]
	ds_read2_b64 v[28:31], v125 offset0:24 offset1:28
	v_mfma_f32_16x16x16f16 v[24:27], v[60:61], v[14:15], v[174:177]
	ds_read2_b64 v[58:61], v32 offset0:40 offset1:44
	s_nop 6
	ds_read2_b64 v[174:177], v57 offset0:72 offset1:76
	s_waitcnt lgkmcnt(2)
	v_mfma_f32_16x16x16f16 v[16:19], v[28:29], v[0:1], v[16:19]
	s_waitcnt lgkmcnt(0)
	v_mfma_f32_16x16x16f16 v[24:27], v[174:175], v[8:9], v[24:27]
	v_mfma_f32_16x16x16f16 v[16:19], v[30:31], v[2:3], v[16:19]
	ds_read2_b64 v[28:31], v57 offset0:80 offset1:84
	v_mfma_f32_16x16x16f16 v[20:23], v[58:59], v[8:9], v[20:23]
	s_nop 7
	s_nop 0
	v_cmp_nlt_f32_e64 s[0:1], |v16|, s2
	v_mfma_f32_16x16x16f16 v[24:27], v[176:177], v[10:11], v[24:27]
	v_mfma_f32_16x16x16f16 v[20:23], v[60:61], v[10:11], v[20:23]
	ds_read2_b64 v[58:61], v32 offset0:48 offset1:52
	s_waitcnt lgkmcnt(1)
	v_mfma_f32_16x16x16f16 v[24:27], v[28:29], v[4:5], v[24:27]
	v_mfma_f32_16x16x16f16 v[24:27], v[30:31], v[6:7], v[24:27]
	ds_read2_b64 v[28:31], v57 offset0:88 offset1:92
	s_waitcnt lgkmcnt(1)
	v_mfma_f32_16x16x16f16 v[20:23], v[58:59], v[4:5], v[20:23]
	v_mfma_f32_16x16x16f16 v[20:23], v[60:61], v[6:7], v[20:23]
	ds_read2_b64 v[58:61], v32 offset0:56 offset1:60
	v_add_u32_e32 v32, 0x3000, v125
	s_waitcnt lgkmcnt(1)
	v_mfma_f32_16x16x16f16 v[24:27], v[28:29], v[0:1], v[24:27]
	v_mfma_f32_16x16x16f16 v[24:27], v[30:31], v[2:3], v[24:27]
	ds_read2_b64 v[28:31], v32 offset0:96 offset1:100
	s_waitcnt lgkmcnt(1)
	v_mfma_f32_16x16x16f16 v[20:23], v[58:59], v[0:1], v[20:23]
	v_mfma_f32_16x16x16f16 v[20:23], v[60:61], v[2:3], v[20:23]
	s_waitcnt lgkmcnt(0)
	v_mfma_f32_16x16x16f16 v[58:61], v[28:29], v[12:13], 0
	v_mfma_f32_16x16x16f16 v[28:31], v[30:31], v[14:15], v[58:61]
	s_nop 7
	s_nop 1
	ds_read2_b64 v[58:61], v32 offset0:104 offset1:108
	s_waitcnt lgkmcnt(0)
	v_mfma_f32_16x16x16f16 v[28:31], v[58:59], v[8:9], v[28:31]
	v_mfma_f32_16x16x16f16 v[28:31], v[60:61], v[10:11], v[28:31]
	ds_read2_b64 v[58:61], v32 offset0:112 offset1:116
	s_waitcnt lgkmcnt(0)
	v_mfma_f32_16x16x16f16 v[28:31], v[58:59], v[4:5], v[28:31]
	v_mfma_f32_16x16x16f16 v[28:31], v[60:61], v[6:7], v[28:31]
	ds_read2_b64 v[58:61], v32 offset0:120 offset1:124
	s_waitcnt lgkmcnt(0)
	s_barrier
	s_waitcnt lgkmcnt(0)
                                        ; implicit-def: $vgpr32
	v_mfma_f32_16x16x16f16 v[28:31], v[58:59], v[0:1], v[28:31]
	v_mfma_f32_16x16x16f16 v[28:31], v[60:61], v[2:3], v[28:31]
	s_and_saveexec_b64 s[20:21], s[0:1]
	s_xor_b64 s[0:1], exec, s[20:21]
	s_cbranch_execz .LBB25_691
; %bb.690:                              ;   in Loop: Header=BB25_689 Depth=1
	v_add_f32_e64 v32, |v16|, |v16|
	v_mul_f32_e32 v57, 0x3fb8aa3b, v32
	v_rndne_f32_e32 v58, v57
	v_sub_f32_e32 v59, v57, v58
	v_fma_f32 v57, v32, s12, -v57
	v_fmac_f32_e32 v57, 0x32a5705f, v32
	v_add_f32_e32 v57, v59, v57
	v_cvt_i32_f32_e32 v58, v58
	v_exp_f32_e32 v57, v57
	v_cmp_ngt_f32_e32 vcc, s13, v32
	v_ldexp_f32 v57, v57, v58
	v_cndmask_b32_e32 v57, 0, v57, vcc
	v_cmp_nlt_f32_e32 vcc, s15, v32
	v_cndmask_b32_e32 v32, v172, v57, vcc
	v_add_f32_e32 v32, 1.0, v32
	v_rcp_f32_e32 v32, v32
	v_fma_f32 v32, v32, -2.0, 1.0
.LBB25_691:                             ;   in Loop: Header=BB25_689 Depth=1
	s_andn2_saveexec_b64 s[0:1], s[0:1]
; %bb.692:                              ;   in Loop: Header=BB25_689 Depth=1
	v_mul_f32_e32 v32, v16, v16
	v_mov_b32_e32 v57, 0x3ca908c9
	v_fmac_f32_e32 v57, 0xbbbac73d, v32
	v_fma_f32 v57, v32, v57, v166
	v_fma_f32 v57, v32, v57, v167
	;; [unrolled: 1-line block ×3, first 2 shown]
	v_mul_f32_e64 v57, |v16|, v57
	v_fma_f32 v32, v32, v57, |v16|
; %bb.693:                              ;   in Loop: Header=BB25_689 Depth=1
	s_or_b64 exec, exec, s[0:1]
	v_cmp_nlt_f32_e64 s[0:1], |v17|, s2
                                        ; implicit-def: $vgpr57
	s_and_saveexec_b64 s[20:21], s[0:1]
	s_xor_b64 s[0:1], exec, s[20:21]
	s_cbranch_execz .LBB25_695
; %bb.694:                              ;   in Loop: Header=BB25_689 Depth=1
	v_add_f32_e64 v57, |v17|, |v17|
	v_mul_f32_e32 v58, 0x3fb8aa3b, v57
	v_rndne_f32_e32 v59, v58
	v_sub_f32_e32 v60, v58, v59
	v_fma_f32 v58, v57, s12, -v58
	v_fmac_f32_e32 v58, 0x32a5705f, v57
	v_add_f32_e32 v58, v60, v58
	v_cvt_i32_f32_e32 v59, v59
	v_exp_f32_e32 v58, v58
	v_cmp_ngt_f32_e32 vcc, s13, v57
	v_ldexp_f32 v58, v58, v59
	v_cndmask_b32_e32 v58, 0, v58, vcc
	v_cmp_nlt_f32_e32 vcc, s15, v57
	v_cndmask_b32_e32 v57, v172, v58, vcc
	v_add_f32_e32 v57, 1.0, v57
	v_rcp_f32_e32 v57, v57
	v_fma_f32 v57, v57, -2.0, 1.0
.LBB25_695:                             ;   in Loop: Header=BB25_689 Depth=1
	s_andn2_saveexec_b64 s[0:1], s[0:1]
; %bb.696:                              ;   in Loop: Header=BB25_689 Depth=1
	v_mul_f32_e32 v57, v17, v17
	v_mov_b32_e32 v58, 0x3ca908c9
	v_fmac_f32_e32 v58, 0xbbbac73d, v57
	v_fma_f32 v58, v57, v58, v166
	v_fma_f32 v58, v57, v58, v167
	;; [unrolled: 1-line block ×3, first 2 shown]
	v_mul_f32_e64 v58, |v17|, v58
	v_fma_f32 v57, v57, v58, |v17|
; %bb.697:                              ;   in Loop: Header=BB25_689 Depth=1
	s_or_b64 exec, exec, s[0:1]
	v_cmp_nlt_f32_e64 s[0:1], |v18|, s2
                                        ; implicit-def: $vgpr58
	s_and_saveexec_b64 s[20:21], s[0:1]
	s_xor_b64 s[0:1], exec, s[20:21]
	s_cbranch_execz .LBB25_699
; %bb.698:                              ;   in Loop: Header=BB25_689 Depth=1
	v_add_f32_e64 v58, |v18|, |v18|
	v_mul_f32_e32 v59, 0x3fb8aa3b, v58
	v_rndne_f32_e32 v60, v59
	v_sub_f32_e32 v61, v59, v60
	v_fma_f32 v59, v58, s12, -v59
	v_fmac_f32_e32 v59, 0x32a5705f, v58
	v_add_f32_e32 v59, v61, v59
	v_cvt_i32_f32_e32 v60, v60
	v_exp_f32_e32 v59, v59
	v_cmp_ngt_f32_e32 vcc, s13, v58
	v_ldexp_f32 v59, v59, v60
	v_cndmask_b32_e32 v59, 0, v59, vcc
	v_cmp_nlt_f32_e32 vcc, s15, v58
	v_cndmask_b32_e32 v58, v172, v59, vcc
	v_add_f32_e32 v58, 1.0, v58
	v_rcp_f32_e32 v58, v58
	v_fma_f32 v58, v58, -2.0, 1.0
.LBB25_699:                             ;   in Loop: Header=BB25_689 Depth=1
	s_andn2_saveexec_b64 s[0:1], s[0:1]
; %bb.700:                              ;   in Loop: Header=BB25_689 Depth=1
	v_mul_f32_e32 v58, v18, v18
	v_mov_b32_e32 v59, 0x3ca908c9
	v_fmac_f32_e32 v59, 0xbbbac73d, v58
	v_fma_f32 v59, v58, v59, v166
	v_fma_f32 v59, v58, v59, v167
	;; [unrolled: 1-line block ×3, first 2 shown]
	v_mul_f32_e64 v59, |v18|, v59
	v_fma_f32 v58, v58, v59, |v18|
; %bb.701:                              ;   in Loop: Header=BB25_689 Depth=1
	s_or_b64 exec, exec, s[0:1]
	v_cmp_nlt_f32_e64 s[0:1], |v19|, s2
                                        ; implicit-def: $vgpr59
	s_and_saveexec_b64 s[20:21], s[0:1]
	s_xor_b64 s[0:1], exec, s[20:21]
	s_cbranch_execz .LBB25_703
; %bb.702:                              ;   in Loop: Header=BB25_689 Depth=1
	v_add_f32_e64 v59, |v19|, |v19|
	v_mul_f32_e32 v60, 0x3fb8aa3b, v59
	v_rndne_f32_e32 v61, v60
	v_sub_f32_e32 v62, v60, v61
	v_fma_f32 v60, v59, s12, -v60
	v_fmac_f32_e32 v60, 0x32a5705f, v59
	v_add_f32_e32 v60, v62, v60
	v_cvt_i32_f32_e32 v61, v61
	v_exp_f32_e32 v60, v60
	v_cmp_ngt_f32_e32 vcc, s13, v59
	v_ldexp_f32 v60, v60, v61
	v_cndmask_b32_e32 v60, 0, v60, vcc
	v_cmp_nlt_f32_e32 vcc, s15, v59
	v_cndmask_b32_e32 v59, v172, v60, vcc
	v_add_f32_e32 v59, 1.0, v59
	v_rcp_f32_e32 v59, v59
	v_fma_f32 v59, v59, -2.0, 1.0
.LBB25_703:                             ;   in Loop: Header=BB25_689 Depth=1
	s_andn2_saveexec_b64 s[0:1], s[0:1]
; %bb.704:                              ;   in Loop: Header=BB25_689 Depth=1
	v_mul_f32_e32 v59, v19, v19
	v_mov_b32_e32 v60, 0x3ca908c9
	v_fmac_f32_e32 v60, 0xbbbac73d, v59
	v_fma_f32 v60, v59, v60, v166
	v_fma_f32 v60, v59, v60, v167
	;; [unrolled: 1-line block ×3, first 2 shown]
	v_mul_f32_e64 v60, |v19|, v60
	v_fma_f32 v59, v59, v60, |v19|
; %bb.705:                              ;   in Loop: Header=BB25_689 Depth=1
	s_or_b64 exec, exec, s[0:1]
	v_cmp_nlt_f32_e64 s[0:1], |v20|, s2
                                        ; implicit-def: $vgpr60
	s_and_saveexec_b64 s[20:21], s[0:1]
	s_xor_b64 s[0:1], exec, s[20:21]
	s_cbranch_execz .LBB25_707
; %bb.706:                              ;   in Loop: Header=BB25_689 Depth=1
	v_add_f32_e64 v60, |v20|, |v20|
	v_mul_f32_e32 v61, 0x3fb8aa3b, v60
	v_rndne_f32_e32 v62, v61
	v_sub_f32_e32 v63, v61, v62
	v_fma_f32 v61, v60, s12, -v61
	v_fmac_f32_e32 v61, 0x32a5705f, v60
	v_add_f32_e32 v61, v63, v61
	v_cvt_i32_f32_e32 v62, v62
	v_exp_f32_e32 v61, v61
	v_cmp_ngt_f32_e32 vcc, s13, v60
	v_ldexp_f32 v61, v61, v62
	v_cndmask_b32_e32 v61, 0, v61, vcc
	v_cmp_nlt_f32_e32 vcc, s15, v60
	v_cndmask_b32_e32 v60, v172, v61, vcc
	v_add_f32_e32 v60, 1.0, v60
	v_rcp_f32_e32 v60, v60
	v_fma_f32 v60, v60, -2.0, 1.0
.LBB25_707:                             ;   in Loop: Header=BB25_689 Depth=1
	s_andn2_saveexec_b64 s[0:1], s[0:1]
; %bb.708:                              ;   in Loop: Header=BB25_689 Depth=1
	v_mul_f32_e32 v60, v20, v20
	v_mov_b32_e32 v61, 0x3ca908c9
	v_fmac_f32_e32 v61, 0xbbbac73d, v60
	v_fma_f32 v61, v60, v61, v166
	v_fma_f32 v61, v60, v61, v167
	;; [unrolled: 1-line block ×3, first 2 shown]
	v_mul_f32_e64 v61, |v20|, v61
	v_fma_f32 v60, v60, v61, |v20|
; %bb.709:                              ;   in Loop: Header=BB25_689 Depth=1
	s_or_b64 exec, exec, s[0:1]
	v_cmp_nlt_f32_e64 s[0:1], |v21|, s2
                                        ; implicit-def: $vgpr61
	s_and_saveexec_b64 s[20:21], s[0:1]
	s_xor_b64 s[0:1], exec, s[20:21]
	s_cbranch_execz .LBB25_711
; %bb.710:                              ;   in Loop: Header=BB25_689 Depth=1
	v_add_f32_e64 v61, |v21|, |v21|
	v_mul_f32_e32 v62, 0x3fb8aa3b, v61
	v_rndne_f32_e32 v63, v62
	v_sub_f32_e32 v75, v62, v63
	v_fma_f32 v62, v61, s12, -v62
	v_fmac_f32_e32 v62, 0x32a5705f, v61
	v_add_f32_e32 v62, v75, v62
	v_cvt_i32_f32_e32 v63, v63
	v_exp_f32_e32 v62, v62
	v_cmp_ngt_f32_e32 vcc, s13, v61
	v_ldexp_f32 v62, v62, v63
	v_cndmask_b32_e32 v62, 0, v62, vcc
	v_cmp_nlt_f32_e32 vcc, s15, v61
	v_cndmask_b32_e32 v61, v172, v62, vcc
	v_add_f32_e32 v61, 1.0, v61
	v_rcp_f32_e32 v61, v61
	v_fma_f32 v61, v61, -2.0, 1.0
.LBB25_711:                             ;   in Loop: Header=BB25_689 Depth=1
	s_andn2_saveexec_b64 s[0:1], s[0:1]
; %bb.712:                              ;   in Loop: Header=BB25_689 Depth=1
	v_mul_f32_e32 v61, v21, v21
	v_mov_b32_e32 v62, 0x3ca908c9
	v_fmac_f32_e32 v62, 0xbbbac73d, v61
	v_fma_f32 v62, v61, v62, v166
	v_fma_f32 v62, v61, v62, v167
	;; [unrolled: 1-line block ×3, first 2 shown]
	v_mul_f32_e64 v62, |v21|, v62
	v_fma_f32 v61, v61, v62, |v21|
; %bb.713:                              ;   in Loop: Header=BB25_689 Depth=1
	s_or_b64 exec, exec, s[0:1]
	v_cmp_nlt_f32_e64 s[0:1], |v22|, s2
                                        ; implicit-def: $vgpr62
	s_and_saveexec_b64 s[20:21], s[0:1]
	s_xor_b64 s[0:1], exec, s[20:21]
	s_cbranch_execz .LBB25_715
; %bb.714:                              ;   in Loop: Header=BB25_689 Depth=1
	v_add_f32_e64 v62, |v22|, |v22|
	v_mul_f32_e32 v63, 0x3fb8aa3b, v62
	v_rndne_f32_e32 v75, v63
	v_sub_f32_e32 v77, v63, v75
	v_fma_f32 v63, v62, s12, -v63
	v_fmac_f32_e32 v63, 0x32a5705f, v62
	v_add_f32_e32 v63, v77, v63
	v_cvt_i32_f32_e32 v75, v75
	v_exp_f32_e32 v63, v63
	v_cmp_ngt_f32_e32 vcc, s13, v62
	v_ldexp_f32 v63, v63, v75
	v_cndmask_b32_e32 v63, 0, v63, vcc
	v_cmp_nlt_f32_e32 vcc, s15, v62
	v_cndmask_b32_e32 v62, v172, v63, vcc
	v_add_f32_e32 v62, 1.0, v62
	v_rcp_f32_e32 v62, v62
	v_fma_f32 v62, v62, -2.0, 1.0
.LBB25_715:                             ;   in Loop: Header=BB25_689 Depth=1
	s_andn2_saveexec_b64 s[0:1], s[0:1]
; %bb.716:                              ;   in Loop: Header=BB25_689 Depth=1
	v_mul_f32_e32 v62, v22, v22
	v_mov_b32_e32 v63, 0x3ca908c9
	v_fmac_f32_e32 v63, 0xbbbac73d, v62
	v_fma_f32 v63, v62, v63, v166
	v_fma_f32 v63, v62, v63, v167
	;; [unrolled: 1-line block ×3, first 2 shown]
	v_mul_f32_e64 v63, |v22|, v63
	v_fma_f32 v62, v62, v63, |v22|
; %bb.717:                              ;   in Loop: Header=BB25_689 Depth=1
	s_or_b64 exec, exec, s[0:1]
	v_cmp_nlt_f32_e64 s[0:1], |v23|, s2
                                        ; implicit-def: $vgpr63
	s_and_saveexec_b64 s[20:21], s[0:1]
	s_xor_b64 s[0:1], exec, s[20:21]
	s_cbranch_execz .LBB25_719
; %bb.718:                              ;   in Loop: Header=BB25_689 Depth=1
	v_add_f32_e64 v63, |v23|, |v23|
	v_mul_f32_e32 v75, 0x3fb8aa3b, v63
	v_rndne_f32_e32 v77, v75
	v_sub_f32_e32 v121, v75, v77
	v_fma_f32 v75, v63, s12, -v75
	v_fmac_f32_e32 v75, 0x32a5705f, v63
	v_add_f32_e32 v75, v121, v75
	v_cvt_i32_f32_e32 v77, v77
	v_exp_f32_e32 v75, v75
	v_cmp_ngt_f32_e32 vcc, s13, v63
	v_ldexp_f32 v75, v75, v77
	v_cndmask_b32_e32 v75, 0, v75, vcc
	v_cmp_nlt_f32_e32 vcc, s15, v63
	v_cndmask_b32_e32 v63, v172, v75, vcc
	v_add_f32_e32 v63, 1.0, v63
	v_rcp_f32_e32 v63, v63
	v_fma_f32 v63, v63, -2.0, 1.0
.LBB25_719:                             ;   in Loop: Header=BB25_689 Depth=1
	s_andn2_saveexec_b64 s[0:1], s[0:1]
; %bb.720:                              ;   in Loop: Header=BB25_689 Depth=1
	v_mul_f32_e32 v63, v23, v23
	v_mov_b32_e32 v75, 0x3ca908c9
	v_fmac_f32_e32 v75, 0xbbbac73d, v63
	v_fma_f32 v75, v63, v75, v166
	v_fma_f32 v75, v63, v75, v167
	;; [unrolled: 1-line block ×3, first 2 shown]
	v_mul_f32_e64 v75, |v23|, v75
	v_fma_f32 v63, v63, v75, |v23|
; %bb.721:                              ;   in Loop: Header=BB25_689 Depth=1
	s_or_b64 exec, exec, s[0:1]
	v_cmp_nlt_f32_e64 s[0:1], |v24|, s2
                                        ; implicit-def: $vgpr121
	s_and_saveexec_b64 s[20:21], s[0:1]
	s_xor_b64 s[0:1], exec, s[20:21]
	s_cbranch_execz .LBB25_723
; %bb.722:                              ;   in Loop: Header=BB25_689 Depth=1
	v_add_f32_e64 v75, |v24|, |v24|
	v_mul_f32_e32 v77, 0x3fb8aa3b, v75
	v_rndne_f32_e32 v121, v77
	v_sub_f32_e32 v174, v77, v121
	v_fma_f32 v77, v75, s12, -v77
	v_fmac_f32_e32 v77, 0x32a5705f, v75
	v_add_f32_e32 v77, v174, v77
	v_cvt_i32_f32_e32 v121, v121
	v_exp_f32_e32 v77, v77
	v_cmp_ngt_f32_e32 vcc, s13, v75
	v_ldexp_f32 v77, v77, v121
	v_cndmask_b32_e32 v77, 0, v77, vcc
	v_cmp_nlt_f32_e32 vcc, s15, v75
	v_cndmask_b32_e32 v75, v172, v77, vcc
	v_add_f32_e32 v75, 1.0, v75
	v_rcp_f32_e32 v75, v75
	v_fma_f32 v121, v75, -2.0, 1.0
.LBB25_723:                             ;   in Loop: Header=BB25_689 Depth=1
	s_andn2_saveexec_b64 s[0:1], s[0:1]
; %bb.724:                              ;   in Loop: Header=BB25_689 Depth=1
	v_mul_f32_e32 v75, v24, v24
	v_mov_b32_e32 v77, 0x3ca908c9
	v_fmac_f32_e32 v77, 0xbbbac73d, v75
	v_fma_f32 v77, v75, v77, v166
	v_fma_f32 v77, v75, v77, v167
	;; [unrolled: 1-line block ×3, first 2 shown]
	v_mul_f32_e64 v77, |v24|, v77
	v_fma_f32 v121, v75, v77, |v24|
; %bb.725:                              ;   in Loop: Header=BB25_689 Depth=1
	s_or_b64 exec, exec, s[0:1]
	v_cmp_nlt_f32_e64 s[0:1], |v25|, s2
                                        ; implicit-def: $vgpr174
	s_and_saveexec_b64 s[20:21], s[0:1]
	s_xor_b64 s[0:1], exec, s[20:21]
	s_cbranch_execz .LBB25_727
; %bb.726:                              ;   in Loop: Header=BB25_689 Depth=1
	v_add_f32_e64 v75, |v25|, |v25|
	v_mul_f32_e32 v77, 0x3fb8aa3b, v75
	v_rndne_f32_e32 v174, v77
	v_sub_f32_e32 v175, v77, v174
	v_fma_f32 v77, v75, s12, -v77
	v_fmac_f32_e32 v77, 0x32a5705f, v75
	v_add_f32_e32 v77, v175, v77
	v_cvt_i32_f32_e32 v174, v174
	v_exp_f32_e32 v77, v77
	v_cmp_ngt_f32_e32 vcc, s13, v75
	v_ldexp_f32 v77, v77, v174
	v_cndmask_b32_e32 v77, 0, v77, vcc
	v_cmp_nlt_f32_e32 vcc, s15, v75
	v_cndmask_b32_e32 v75, v172, v77, vcc
	v_add_f32_e32 v75, 1.0, v75
	v_rcp_f32_e32 v75, v75
	v_fma_f32 v174, v75, -2.0, 1.0
.LBB25_727:                             ;   in Loop: Header=BB25_689 Depth=1
	s_andn2_saveexec_b64 s[0:1], s[0:1]
; %bb.728:                              ;   in Loop: Header=BB25_689 Depth=1
	v_mul_f32_e32 v75, v25, v25
	v_mov_b32_e32 v77, 0x3ca908c9
	v_fmac_f32_e32 v77, 0xbbbac73d, v75
	v_fma_f32 v77, v75, v77, v166
	v_fma_f32 v77, v75, v77, v167
	;; [unrolled: 1-line block ×3, first 2 shown]
	v_mul_f32_e64 v77, |v25|, v77
	v_fma_f32 v174, v75, v77, |v25|
; %bb.729:                              ;   in Loop: Header=BB25_689 Depth=1
	s_or_b64 exec, exec, s[0:1]
	v_cmp_nlt_f32_e64 s[0:1], |v26|, s2
                                        ; implicit-def: $vgpr175
	s_and_saveexec_b64 s[20:21], s[0:1]
	s_xor_b64 s[0:1], exec, s[20:21]
	s_cbranch_execz .LBB25_731
; %bb.730:                              ;   in Loop: Header=BB25_689 Depth=1
	v_add_f32_e64 v75, |v26|, |v26|
	v_mul_f32_e32 v77, 0x3fb8aa3b, v75
	v_rndne_f32_e32 v175, v77
	v_sub_f32_e32 v176, v77, v175
	v_fma_f32 v77, v75, s12, -v77
	v_fmac_f32_e32 v77, 0x32a5705f, v75
	v_add_f32_e32 v77, v176, v77
	v_cvt_i32_f32_e32 v175, v175
	v_exp_f32_e32 v77, v77
	v_cmp_ngt_f32_e32 vcc, s13, v75
	v_ldexp_f32 v77, v77, v175
	v_cndmask_b32_e32 v77, 0, v77, vcc
	v_cmp_nlt_f32_e32 vcc, s15, v75
	v_cndmask_b32_e32 v75, v172, v77, vcc
	v_add_f32_e32 v75, 1.0, v75
	v_rcp_f32_e32 v75, v75
	v_fma_f32 v175, v75, -2.0, 1.0
.LBB25_731:                             ;   in Loop: Header=BB25_689 Depth=1
	s_andn2_saveexec_b64 s[0:1], s[0:1]
; %bb.732:                              ;   in Loop: Header=BB25_689 Depth=1
	v_mul_f32_e32 v75, v26, v26
	v_mov_b32_e32 v77, 0x3ca908c9
	v_fmac_f32_e32 v77, 0xbbbac73d, v75
	v_fma_f32 v77, v75, v77, v166
	v_fma_f32 v77, v75, v77, v167
	;; [unrolled: 1-line block ×3, first 2 shown]
	v_mul_f32_e64 v77, |v26|, v77
	v_fma_f32 v175, v75, v77, |v26|
; %bb.733:                              ;   in Loop: Header=BB25_689 Depth=1
	s_or_b64 exec, exec, s[0:1]
	v_cmp_nlt_f32_e64 s[0:1], |v27|, s2
                                        ; implicit-def: $vgpr176
	s_and_saveexec_b64 s[20:21], s[0:1]
	s_xor_b64 s[0:1], exec, s[20:21]
	s_cbranch_execz .LBB25_735
; %bb.734:                              ;   in Loop: Header=BB25_689 Depth=1
	v_add_f32_e64 v75, |v27|, |v27|
	v_mul_f32_e32 v77, 0x3fb8aa3b, v75
	v_rndne_f32_e32 v176, v77
	v_sub_f32_e32 v177, v77, v176
	v_fma_f32 v77, v75, s12, -v77
	v_fmac_f32_e32 v77, 0x32a5705f, v75
	v_add_f32_e32 v77, v177, v77
	v_cvt_i32_f32_e32 v176, v176
	v_exp_f32_e32 v77, v77
	v_cmp_ngt_f32_e32 vcc, s13, v75
	v_ldexp_f32 v77, v77, v176
	v_cndmask_b32_e32 v77, 0, v77, vcc
	v_cmp_nlt_f32_e32 vcc, s15, v75
	v_cndmask_b32_e32 v75, v172, v77, vcc
	v_add_f32_e32 v75, 1.0, v75
	v_rcp_f32_e32 v75, v75
	v_fma_f32 v176, v75, -2.0, 1.0
.LBB25_735:                             ;   in Loop: Header=BB25_689 Depth=1
	s_andn2_saveexec_b64 s[0:1], s[0:1]
; %bb.736:                              ;   in Loop: Header=BB25_689 Depth=1
	v_mul_f32_e32 v75, v27, v27
	v_mov_b32_e32 v77, 0x3ca908c9
	v_fmac_f32_e32 v77, 0xbbbac73d, v75
	v_fma_f32 v77, v75, v77, v166
	v_fma_f32 v77, v75, v77, v167
	;; [unrolled: 1-line block ×3, first 2 shown]
	v_mul_f32_e64 v77, |v27|, v77
	v_fma_f32 v176, v75, v77, |v27|
; %bb.737:                              ;   in Loop: Header=BB25_689 Depth=1
	s_or_b64 exec, exec, s[0:1]
	v_cmp_nlt_f32_e64 s[0:1], |v28|, s2
                                        ; implicit-def: $vgpr177
	s_and_saveexec_b64 s[20:21], s[0:1]
	s_xor_b64 s[0:1], exec, s[20:21]
	s_cbranch_execz .LBB25_739
; %bb.738:                              ;   in Loop: Header=BB25_689 Depth=1
	v_add_f32_e64 v75, |v28|, |v28|
	v_mul_f32_e32 v77, 0x3fb8aa3b, v75
	v_rndne_f32_e32 v177, v77
	v_sub_f32_e32 v178, v77, v177
	v_fma_f32 v77, v75, s12, -v77
	v_fmac_f32_e32 v77, 0x32a5705f, v75
	v_add_f32_e32 v77, v178, v77
	v_cvt_i32_f32_e32 v177, v177
	v_exp_f32_e32 v77, v77
	v_cmp_ngt_f32_e32 vcc, s13, v75
	v_ldexp_f32 v77, v77, v177
	v_cndmask_b32_e32 v77, 0, v77, vcc
	v_cmp_nlt_f32_e32 vcc, s15, v75
	v_cndmask_b32_e32 v75, v172, v77, vcc
	v_add_f32_e32 v75, 1.0, v75
	v_rcp_f32_e32 v75, v75
	v_fma_f32 v177, v75, -2.0, 1.0
.LBB25_739:                             ;   in Loop: Header=BB25_689 Depth=1
	s_andn2_saveexec_b64 s[0:1], s[0:1]
; %bb.740:                              ;   in Loop: Header=BB25_689 Depth=1
	v_mul_f32_e32 v75, v28, v28
	v_mov_b32_e32 v77, 0x3ca908c9
	v_fmac_f32_e32 v77, 0xbbbac73d, v75
	v_fma_f32 v77, v75, v77, v166
	v_fma_f32 v77, v75, v77, v167
	;; [unrolled: 1-line block ×3, first 2 shown]
	v_mul_f32_e64 v77, |v28|, v77
	v_fma_f32 v177, v75, v77, |v28|
; %bb.741:                              ;   in Loop: Header=BB25_689 Depth=1
	s_or_b64 exec, exec, s[0:1]
	v_cmp_nlt_f32_e64 s[0:1], |v29|, s2
                                        ; implicit-def: $vgpr178
	s_and_saveexec_b64 s[20:21], s[0:1]
	s_xor_b64 s[0:1], exec, s[20:21]
	s_cbranch_execz .LBB25_743
; %bb.742:                              ;   in Loop: Header=BB25_689 Depth=1
	v_add_f32_e64 v75, |v29|, |v29|
	v_mul_f32_e32 v77, 0x3fb8aa3b, v75
	v_rndne_f32_e32 v178, v77
	v_sub_f32_e32 v179, v77, v178
	v_fma_f32 v77, v75, s12, -v77
	v_fmac_f32_e32 v77, 0x32a5705f, v75
	v_add_f32_e32 v77, v179, v77
	v_cvt_i32_f32_e32 v178, v178
	v_exp_f32_e32 v77, v77
	v_cmp_ngt_f32_e32 vcc, s13, v75
	v_ldexp_f32 v77, v77, v178
	v_cndmask_b32_e32 v77, 0, v77, vcc
	v_cmp_nlt_f32_e32 vcc, s15, v75
	v_cndmask_b32_e32 v75, v172, v77, vcc
	v_add_f32_e32 v75, 1.0, v75
	v_rcp_f32_e32 v75, v75
	v_fma_f32 v178, v75, -2.0, 1.0
.LBB25_743:                             ;   in Loop: Header=BB25_689 Depth=1
	s_andn2_saveexec_b64 s[0:1], s[0:1]
; %bb.744:                              ;   in Loop: Header=BB25_689 Depth=1
	v_mul_f32_e32 v75, v29, v29
	v_mov_b32_e32 v77, 0x3ca908c9
	v_fmac_f32_e32 v77, 0xbbbac73d, v75
	v_fma_f32 v77, v75, v77, v166
	v_fma_f32 v77, v75, v77, v167
	;; [unrolled: 1-line block ×3, first 2 shown]
	v_mul_f32_e64 v77, |v29|, v77
	v_fma_f32 v178, v75, v77, |v29|
; %bb.745:                              ;   in Loop: Header=BB25_689 Depth=1
	s_or_b64 exec, exec, s[0:1]
	v_cmp_nlt_f32_e64 s[0:1], |v30|, s2
                                        ; implicit-def: $vgpr179
	s_and_saveexec_b64 s[20:21], s[0:1]
	s_xor_b64 s[0:1], exec, s[20:21]
	s_cbranch_execz .LBB25_747
; %bb.746:                              ;   in Loop: Header=BB25_689 Depth=1
	v_add_f32_e64 v75, |v30|, |v30|
	v_mul_f32_e32 v77, 0x3fb8aa3b, v75
	v_rndne_f32_e32 v179, v77
	v_sub_f32_e32 v180, v77, v179
	v_fma_f32 v77, v75, s12, -v77
	v_fmac_f32_e32 v77, 0x32a5705f, v75
	v_add_f32_e32 v77, v180, v77
	v_cvt_i32_f32_e32 v179, v179
	v_exp_f32_e32 v77, v77
	v_cmp_ngt_f32_e32 vcc, s13, v75
	v_ldexp_f32 v77, v77, v179
	v_cndmask_b32_e32 v77, 0, v77, vcc
	v_cmp_nlt_f32_e32 vcc, s15, v75
	v_cndmask_b32_e32 v75, v172, v77, vcc
	v_add_f32_e32 v75, 1.0, v75
	v_rcp_f32_e32 v75, v75
	v_fma_f32 v179, v75, -2.0, 1.0
.LBB25_747:                             ;   in Loop: Header=BB25_689 Depth=1
	s_andn2_saveexec_b64 s[0:1], s[0:1]
; %bb.748:                              ;   in Loop: Header=BB25_689 Depth=1
	v_mul_f32_e32 v75, v30, v30
	v_mov_b32_e32 v77, 0x3ca908c9
	v_fmac_f32_e32 v77, 0xbbbac73d, v75
	v_fma_f32 v77, v75, v77, v166
	v_fma_f32 v77, v75, v77, v167
	;; [unrolled: 1-line block ×3, first 2 shown]
	v_mul_f32_e64 v77, |v30|, v77
	v_fma_f32 v179, v75, v77, |v30|
; %bb.749:                              ;   in Loop: Header=BB25_689 Depth=1
	s_or_b64 exec, exec, s[0:1]
	v_cmp_nlt_f32_e64 s[0:1], |v31|, s2
                                        ; implicit-def: $vgpr180
	s_and_saveexec_b64 s[20:21], s[0:1]
	s_xor_b64 s[0:1], exec, s[20:21]
	s_cbranch_execz .LBB25_751
; %bb.750:                              ;   in Loop: Header=BB25_689 Depth=1
	v_add_f32_e64 v75, |v31|, |v31|
	v_mul_f32_e32 v77, 0x3fb8aa3b, v75
	v_rndne_f32_e32 v180, v77
	v_sub_f32_e32 v181, v77, v180
	v_fma_f32 v77, v75, s12, -v77
	v_fmac_f32_e32 v77, 0x32a5705f, v75
	v_add_f32_e32 v77, v181, v77
	v_cvt_i32_f32_e32 v180, v180
	v_exp_f32_e32 v77, v77
	v_cmp_ngt_f32_e32 vcc, s13, v75
	v_ldexp_f32 v77, v77, v180
	v_cndmask_b32_e32 v77, 0, v77, vcc
	v_cmp_nlt_f32_e32 vcc, s15, v75
	v_cndmask_b32_e32 v75, v172, v77, vcc
	v_add_f32_e32 v75, 1.0, v75
	v_rcp_f32_e32 v75, v75
	v_fma_f32 v180, v75, -2.0, 1.0
.LBB25_751:                             ;   in Loop: Header=BB25_689 Depth=1
	s_andn2_saveexec_b64 s[0:1], s[0:1]
; %bb.752:                              ;   in Loop: Header=BB25_689 Depth=1
	v_mul_f32_e32 v75, v31, v31
	v_mov_b32_e32 v77, 0x3ca908c9
	v_fmac_f32_e32 v77, 0xbbbac73d, v75
	v_fma_f32 v77, v75, v77, v166
	v_fma_f32 v77, v75, v77, v167
	;; [unrolled: 1-line block ×3, first 2 shown]
	v_mul_f32_e64 v77, |v31|, v77
	v_fma_f32 v180, v75, v77, |v31|
; %bb.753:                              ;   in Loop: Header=BB25_689 Depth=1
	s_or_b64 exec, exec, s[0:1]
	v_bfi_b32 v59, s16, v59, v19
	v_bfi_b32 v58, s16, v58, v18
	ds_read2_b32 v[18:19], v171 offset1:1
	v_bfi_b32 v28, s16, v177, v28
	v_bfi_b32 v27, s16, v176, v27
	;; [unrolled: 1-line block ×8, first 2 shown]
	ds_read_b32 v32, v126 offset:17408
	ds_read_b32 v57, v127 offset:17408
	ds_read2_b32 v[176:177], v169 offset1:1
	ds_read2_b32 v[20:21], v170 offset1:1
	v_bfi_b32 v63, s16, v63, v23
	v_bfi_b32 v62, s16, v62, v22
	s_waitcnt lgkmcnt(4)
	v_cvt_f32_f16_e32 v22, v18
	v_cvt_f32_f16_sdwa v23, v18 dst_sel:DWORD dst_unused:UNUSED_PAD src0_sel:WORD_1
	v_bfi_b32 v29, s16, v178, v29
	v_cvt_f32_f16_e32 v16, v19
	v_cvt_f32_f16_sdwa v17, v19 dst_sel:DWORD dst_unused:UNUSED_PAD src0_sel:WORD_1
	v_pk_fma_f32 v[18:19], v[28:29], s[36:37], v[22:23]
	s_waitcnt lgkmcnt(0)
	v_cvt_f32_f16_e32 v22, v21
	v_cvt_f32_f16_sdwa v23, v21 dst_sel:DWORD dst_unused:UNUSED_PAD src0_sel:WORD_1
	v_cvt_f32_f16_e32 v28, v20
	v_cvt_f32_f16_sdwa v29, v20 dst_sel:DWORD dst_unused:UNUSED_PAD src0_sel:WORD_1
	v_bfi_b32 v24, s16, v121, v24
	v_pk_fma_f32 v[20:21], v[26:27], s[36:37], v[22:23]
	v_cvt_f32_f16_e32 v26, v176
	v_pk_fma_f32 v[22:23], v[24:25], s[36:37], v[28:29]
	v_cvt_f32_f16_e32 v24, v177
	v_cvt_f32_f16_sdwa v25, v177 dst_sel:DWORD dst_unused:UNUSED_PAD src0_sel:WORD_1
	v_cvt_f32_f16_sdwa v27, v176 dst_sel:DWORD dst_unused:UNUSED_PAD src0_sel:WORD_1
	;; [unrolled: 1-line block ×3, first 2 shown]
	v_cvt_f32_f16_e32 v28, v32
	v_pk_fma_f32 v[62:63], v[62:63], s[36:37], v[24:25]
	v_pk_fma_f32 v[24:25], v[60:61], s[36:37], v[26:27]
	v_cvt_f32_f16_sdwa v27, v57 dst_sel:DWORD dst_unused:UNUSED_PAD src0_sel:WORD_1
	v_cvt_f32_f16_e32 v26, v57
	v_bfi_b32 v31, s16, v180, v31
	v_bfi_b32 v30, s16, v179, v30
	v_pk_fma_f32 v[16:17], v[30:31], s[36:37], v[16:17]
	v_pk_fma_f32 v[30:31], v[58:59], s[36:37], v[26:27]
	;; [unrolled: 1-line block ×3, first 2 shown]
	v_add_f32_e32 v28, 0x40051340, v26
	v_add_f32_e32 v29, 0x40051340, v27
	;; [unrolled: 1-line block ×4, first 2 shown]
	v_max3_f32 v28, v56, v28, v29
	v_add_f32_e32 v60, 0x40051340, v24
	v_add_f32_e32 v57, 0x40051340, v25
	v_max3_f32 v28, v28, v32, v58
	v_add_f32_e32 v176, 0x40051340, v62
	v_add_f32_e32 v182, 0x40051340, v63
	;; [unrolled: 3-line block ×6, first 2 shown]
	v_max3_f32 v28, v28, v121, v178
	v_max3_f32 v28, v28, v75, v77
	ds_bpermute_b32 v29, v128, v28
	s_mul_hi_i32 s1, s4, s26
	s_mul_i32 s0, s4, s26
	s_lshl_b64 s[0:1], s[0:1], 2
	s_add_u32 s5, s7, s0
	s_waitcnt lgkmcnt(0)
	v_max_f32_e32 v29, v29, v29
	v_max_f32_e32 v28, v28, v29
	ds_bpermute_b32 v29, v129, v28
	s_addc_u32 s19, s8, s1
	s_add_i32 s6, s6, 1
	s_add_i32 s4, s4, 64
	s_waitcnt lgkmcnt(0)
	v_max_f32_e32 v29, v29, v29
	v_max_f32_e32 v32, v28, v29
	v_pk_add_f32 v[28:29], v[26:27], v[32:33] op_sel_hi:[1,0] neg_lo:[0,1] neg_hi:[0,1]
	v_mul_f32_e32 v26, 0x3fb8aa3b, v29
	v_fma_f32 v27, v29, s12, -v26
	v_rndne_f32_e32 v57, v26
	v_fmac_f32_e32 v27, 0x32a5705f, v29
	v_sub_f32_e32 v26, v26, v57
	v_add_f32_e32 v26, v26, v27
	v_exp_f32_e32 v26, v26
	v_cvt_i32_f32_e32 v27, v57
	v_cmp_ngt_f32_e32 vcc, s13, v29
	v_pk_add_f32 v[30:31], v[30:31], v[32:33] op_sel_hi:[1,0] neg_lo:[0,1] neg_hi:[0,1]
	v_pk_add_f32 v[60:61], v[62:63], v[32:33] op_sel_hi:[1,0] neg_lo:[0,1] neg_hi:[0,1]
	v_ldexp_f32 v26, v26, v27
	v_mul_f32_e32 v27, 0x3fb8aa3b, v28
	v_fma_f32 v57, v28, s12, -v27
	v_rndne_f32_e32 v58, v27
	v_fmac_f32_e32 v57, 0x32a5705f, v28
	v_sub_f32_e32 v27, v27, v58
	v_add_f32_e32 v27, v27, v57
	v_exp_f32_e32 v27, v27
	v_cvt_i32_f32_e32 v57, v58
	v_cndmask_b32_e32 v26, 0, v26, vcc
	v_cmp_nlt_f32_e32 vcc, s15, v29
	v_mul_f32_e32 v29, 0x3fb8aa3b, v31
	v_ldexp_f32 v27, v27, v57
	v_fma_f32 v57, v31, s12, -v29
	v_rndne_f32_e32 v58, v29
	v_fmac_f32_e32 v57, 0x32a5705f, v31
	v_sub_f32_e32 v29, v29, v58
	v_add_f32_e32 v29, v29, v57
	v_exp_f32_e32 v29, v29
	v_cvt_i32_f32_e32 v57, v58
	v_cndmask_b32_e32 v26, v172, v26, vcc
	v_cmp_ngt_f32_e32 vcc, s13, v28
	v_cndmask_b32_e32 v27, 0, v27, vcc
	v_cmp_nlt_f32_e32 vcc, s15, v28
	v_cndmask_b32_e32 v28, v172, v27, vcc
	v_ldexp_f32 v27, v29, v57
	v_mul_f32_e32 v29, 0x3fb8aa3b, v30
	v_fma_f32 v57, v30, s12, -v29
	v_rndne_f32_e32 v58, v29
	v_fmac_f32_e32 v57, 0x32a5705f, v30
	v_sub_f32_e32 v29, v29, v58
	v_add_f32_e32 v29, v29, v57
	v_exp_f32_e32 v57, v29
	v_cvt_i32_f32_e32 v58, v58
	v_cmp_ngt_f32_e32 vcc, s13, v31
	v_cndmask_b32_e32 v27, 0, v27, vcc
	v_cmp_nlt_f32_e32 vcc, s15, v31
	v_cndmask_b32_e32 v29, v172, v27, vcc
	v_ldexp_f32 v27, v57, v58
	v_pk_add_f32 v[58:59], v[24:25], v[32:33] op_sel_hi:[1,0] neg_lo:[0,1] neg_hi:[0,1]
	v_mul_f32_e32 v24, 0x3fb8aa3b, v59
	v_fma_f32 v25, v59, s12, -v24
	v_rndne_f32_e32 v31, v24
	v_fmac_f32_e32 v25, 0x32a5705f, v59
	v_sub_f32_e32 v24, v24, v31
	v_add_f32_e32 v24, v24, v25
	v_exp_f32_e32 v24, v24
	v_cvt_i32_f32_e32 v25, v31
	v_cmp_ngt_f32_e32 vcc, s13, v30
	v_cndmask_b32_e32 v27, 0, v27, vcc
	v_cmp_nlt_f32_e32 vcc, s15, v30
	v_ldexp_f32 v24, v24, v25
	v_mul_f32_e32 v25, 0x3fb8aa3b, v58
	v_cndmask_b32_e32 v30, v172, v27, vcc
	v_fma_f32 v27, v58, s12, -v25
	v_rndne_f32_e32 v31, v25
	v_fmac_f32_e32 v27, 0x32a5705f, v58
	v_sub_f32_e32 v25, v25, v31
	v_add_f32_e32 v25, v25, v27
	v_exp_f32_e32 v25, v25
	v_cvt_i32_f32_e32 v27, v31
	v_cmp_ngt_f32_e32 vcc, s13, v59
	v_cndmask_b32_e32 v24, 0, v24, vcc
	v_cmp_nlt_f32_e32 vcc, s15, v59
	v_ldexp_f32 v25, v25, v27
	v_mul_f32_e32 v27, 0x3fb8aa3b, v61
	v_fma_f32 v31, v61, s12, -v27
	v_rndne_f32_e32 v57, v27
	v_fmac_f32_e32 v31, 0x32a5705f, v61
	v_sub_f32_e32 v27, v27, v57
	v_add_f32_e32 v27, v27, v31
	v_exp_f32_e32 v27, v27
	v_cvt_i32_f32_e32 v57, v57
	v_cndmask_b32_e32 v24, v172, v24, vcc
	v_cmp_ngt_f32_e32 vcc, s13, v58
	v_cndmask_b32_e32 v25, 0, v25, vcc
	v_cmp_nlt_f32_e32 vcc, s15, v58
	v_cndmask_b32_e32 v31, v172, v25, vcc
	v_ldexp_f32 v25, v27, v57
	v_mul_f32_e32 v27, 0x3fb8aa3b, v60
	v_fma_f32 v57, v60, s12, -v27
	v_rndne_f32_e32 v58, v27
	v_fmac_f32_e32 v57, 0x32a5705f, v60
	v_sub_f32_e32 v27, v27, v58
	v_add_f32_e32 v27, v27, v57
	v_exp_f32_e32 v27, v27
	v_cvt_i32_f32_e32 v57, v58
	v_pk_add_f32 v[22:23], v[22:23], v[32:33] op_sel_hi:[1,0] neg_lo:[0,1] neg_hi:[0,1]
	v_cmp_ngt_f32_e32 vcc, s13, v61
	v_cndmask_b32_e32 v25, 0, v25, vcc
	v_ldexp_f32 v27, v27, v57
	v_mul_f32_e32 v57, 0x3fb8aa3b, v23
	v_fma_f32 v58, v23, s12, -v57
	v_rndne_f32_e32 v59, v57
	v_fmac_f32_e32 v58, 0x32a5705f, v23
	v_sub_f32_e32 v57, v57, v59
	v_add_f32_e32 v57, v57, v58
	v_exp_f32_e32 v57, v57
	v_cvt_i32_f32_e32 v58, v59
	v_cmp_nlt_f32_e32 vcc, s15, v61
	v_cndmask_b32_e32 v25, v172, v25, vcc
	v_cmp_ngt_f32_e32 vcc, s13, v60
	v_ldexp_f32 v57, v57, v58
	v_mul_f32_e32 v58, 0x3fb8aa3b, v22
	v_cndmask_b32_e32 v27, 0, v27, vcc
	v_cmp_nlt_f32_e32 vcc, s15, v60
	v_fma_f32 v59, v22, s12, -v58
	v_rndne_f32_e32 v60, v58
	v_fmac_f32_e32 v59, 0x32a5705f, v22
	v_sub_f32_e32 v58, v58, v60
	v_add_f32_e32 v58, v58, v59
	v_exp_f32_e32 v58, v58
	v_cvt_i32_f32_e32 v59, v60
	v_cndmask_b32_e32 v27, v172, v27, vcc
	v_cmp_ngt_f32_e32 vcc, s13, v23
	v_cndmask_b32_e32 v57, 0, v57, vcc
	v_cmp_nlt_f32_e32 vcc, s15, v23
	v_pk_add_f32 v[20:21], v[20:21], v[32:33] op_sel_hi:[1,0] neg_lo:[0,1] neg_hi:[0,1]
	v_cndmask_b32_e32 v121, v172, v57, vcc
	v_mul_f32_e32 v57, 0x3fb8aa3b, v21
	v_ldexp_f32 v23, v58, v59
	v_fma_f32 v58, v21, s12, -v57
	v_rndne_f32_e32 v59, v57
	v_fmac_f32_e32 v58, 0x32a5705f, v21
	v_sub_f32_e32 v57, v57, v59
	v_add_f32_e32 v57, v57, v58
	v_exp_f32_e32 v57, v57
	v_cvt_i32_f32_e32 v58, v59
	v_cmp_ngt_f32_e32 vcc, s13, v22
	v_cndmask_b32_e32 v23, 0, v23, vcc
	v_cmp_nlt_f32_e32 vcc, s15, v22
	v_cndmask_b32_e32 v174, v172, v23, vcc
	v_mul_f32_e32 v23, 0x3fb8aa3b, v20
	v_ldexp_f32 v22, v57, v58
	v_fma_f32 v57, v20, s12, -v23
	v_rndne_f32_e32 v58, v23
	v_fmac_f32_e32 v57, 0x32a5705f, v20
	v_sub_f32_e32 v23, v23, v58
	v_add_f32_e32 v23, v23, v57
	v_exp_f32_e32 v23, v23
	v_cvt_i32_f32_e32 v57, v58
	v_cmp_ngt_f32_e32 vcc, s13, v21
	v_cndmask_b32_e32 v22, 0, v22, vcc
	v_cmp_nlt_f32_e32 vcc, s15, v21
	v_pk_add_f32 v[18:19], v[18:19], v[32:33] op_sel_hi:[1,0] neg_lo:[0,1] neg_hi:[0,1]
	v_cndmask_b32_e32 v175, v172, v22, vcc
	v_mul_f32_e32 v22, 0x3fb8aa3b, v19
	v_ldexp_f32 v21, v23, v57
	v_fma_f32 v23, v19, s12, -v22
	v_rndne_f32_e32 v57, v22
	v_cmp_ngt_f32_e32 vcc, s13, v20
	v_fmac_f32_e32 v23, 0x32a5705f, v19
	v_sub_f32_e32 v22, v22, v57
	v_add_f32_e32 v22, v22, v23
	v_cndmask_b32_e32 v21, 0, v21, vcc
	v_cmp_nlt_f32_e32 vcc, s15, v20
	v_exp_f32_e32 v22, v22
	v_cvt_i32_f32_e32 v23, v57
	v_cndmask_b32_e32 v176, v172, v21, vcc
	v_add_co_u32_e64 v20, s[0:1], s5, v48
	v_mov_b32_e32 v21, s19
	v_addc_co_u32_e64 v21, s[0:1], v21, v49, s[0:1]
	v_add_co_u32_e64 v20, s[0:1], v20, v165
	v_addc_co_u32_e64 v21, s[0:1], 0, v21, s[0:1]
	v_ldexp_f32 v57, v22, v23
	v_add_co_u32_e64 v22, s[0:1], s5, v50
	v_mov_b32_e32 v23, s19
	v_addc_co_u32_e64 v23, s[0:1], v23, v51, s[0:1]
	v_add_co_u32_e64 v58, s[0:1], v22, v165
	v_addc_co_u32_e64 v59, s[0:1], 0, v23, s[0:1]
	v_add_co_u32_e64 v22, s[0:1], s5, v52
	v_mov_b32_e32 v23, s19
	v_addc_co_u32_e64 v23, s[0:1], v23, v53, s[0:1]
	v_add_co_u32_e64 v60, s[0:1], v22, v165
	v_addc_co_u32_e64 v61, s[0:1], 0, v23, s[0:1]
	;; [unrolled: 5-line block ×3, first 2 shown]
	global_load_dwordx4 v[20:23], v[20:21], off
	s_nop 0
	global_load_dwordx4 v[184:187], v[58:59], off
	global_load_dwordx4 v[188:191], v[60:61], off
	;; [unrolled: 1-line block ×3, first 2 shown]
	v_mul_f32_e32 v75, 0x3fb8aa3b, v18
	v_fma_f32 v77, v18, s12, -v75
	v_rndne_f32_e32 v177, v75
	v_fmac_f32_e32 v77, 0x32a5705f, v18
	v_sub_f32_e32 v58, v75, v177
	v_add_f32_e32 v58, v58, v77
	v_exp_f32_e32 v58, v58
	v_cvt_i32_f32_e32 v59, v177
	v_cmp_ngt_f32_e32 vcc, s13, v19
	v_cndmask_b32_e32 v57, 0, v57, vcc
	v_cmp_nlt_f32_e32 vcc, s15, v19
	v_pk_add_f32 v[16:17], v[16:17], v[32:33] op_sel_hi:[1,0] neg_lo:[0,1] neg_hi:[0,1]
	v_cndmask_b32_e32 v180, v172, v57, vcc
	v_mul_f32_e32 v57, 0x3fb8aa3b, v17
	v_ldexp_f32 v19, v58, v59
	v_fma_f32 v58, v17, s12, -v57
	v_rndne_f32_e32 v59, v57
	v_fmac_f32_e32 v58, 0x32a5705f, v17
	v_sub_f32_e32 v57, v57, v59
	v_add_f32_e32 v57, v57, v58
	v_exp_f32_e32 v57, v57
	v_cvt_i32_f32_e32 v58, v59
	v_cmp_ngt_f32_e32 vcc, s13, v18
	v_cndmask_b32_e32 v19, 0, v19, vcc
	v_cmp_nlt_f32_e32 vcc, s15, v18
	v_cndmask_b32_e32 v181, v172, v19, vcc
	v_ldexp_f32 v18, v57, v58
	v_cmp_ngt_f32_e32 vcc, s13, v17
	v_cndmask_b32_e32 v18, 0, v18, vcc
	v_cmp_nlt_f32_e32 vcc, s15, v17
	v_mul_f32_e32 v17, 0x3fb8aa3b, v16
	v_fma_f32 v19, v16, s12, -v17
	v_rndne_f32_e32 v57, v17
	v_fmac_f32_e32 v19, 0x32a5705f, v16
	v_sub_f32_e32 v17, v17, v57
	v_sub_f32_e32 v56, v56, v32
	v_add_f32_e32 v17, v17, v19
	v_cvt_i32_f32_e32 v19, v57
	v_mul_f32_e32 v57, 0x3fb8aa3b, v56
	v_fma_f32 v58, v56, s12, -v57
	v_rndne_f32_e32 v59, v57
	v_fmac_f32_e32 v58, 0x32a5705f, v56
	v_sub_f32_e32 v57, v57, v59
	v_add_f32_e32 v57, v57, v58
	v_exp_f32_e32 v57, v57
	v_cvt_i32_f32_e32 v58, v59
	v_exp_f32_e32 v17, v17
	v_cndmask_b32_e32 v178, v172, v18, vcc
	v_cmp_ngt_f32_e64 s[0:1], s13, v56
	v_ldexp_f32 v18, v57, v58
	v_cndmask_b32_e64 v18, 0, v18, s[0:1]
	v_cmp_nlt_f32_e64 s[0:1], s15, v56
	v_cndmask_b32_e64 v18, v172, v18, s[0:1]
	v_cmp_le_f32_e64 s[0:1], s17, v56
	v_cndmask_b32_e64 v179, 0, v18, s[0:1]
	s_waitcnt vmcnt(3)
	ds_write_b128 v120, v[20:23]
	s_waitcnt vmcnt(2)
	ds_write_b128 v122, v[184:187]
	;; [unrolled: 2-line block ×4, first 2 shown]
	s_waitcnt lgkmcnt(0)
	s_barrier
	ds_read_u16 v20, v131 offset:544
	ds_read_u16 v21, v132
	ds_read_u16 v22, v130
	ds_read_u16 v23, v131 offset:272
	v_ldexp_f32 v17, v17, v19
	v_cmp_ngt_f32_e32 vcc, s13, v16
	v_cvt_f16_f32_e32 v177, v179
	v_cndmask_b32_e32 v17, 0, v17, vcc
	v_cmp_nlt_f32_e32 vcc, s15, v16
	v_cvt_f16_f32_e32 v16, v26
	v_cvt_f16_f32_e32 v18, v28
	v_cndmask_b32_e32 v182, v172, v17, vcc
	v_pk_mul_f16 v17, v177, v106 op_sel_hi:[0,1]
	v_pk_mul_f16 v19, v177, v105 op_sel_hi:[0,1]
	v_cvt_f16_f32_e32 v56, v29
	v_cvt_f16_f32_e32 v57, v30
	s_waitcnt lgkmcnt(2)
	v_perm_b32 v21, v21, v20, s18
	s_waitcnt lgkmcnt(0)
	v_perm_b32 v20, v23, v22, s18
	v_pack_b32_f16 v60, v18, v16
	v_cvt_f32_f16_e32 v16, v17
	v_cvt_f32_f16_sdwa v17, v17 dst_sel:DWORD dst_unused:UNUSED_PAD src0_sel:WORD_1
	v_cvt_f32_f16_e32 v18, v19
	v_cvt_f32_f16_sdwa v19, v19 dst_sel:DWORD dst_unused:UNUSED_PAD src0_sel:WORD_1
	v_pack_b32_f16 v61, v57, v56
	v_cvt_f16_f32_e32 v58, v24
	v_cvt_f16_f32_e32 v59, v31
	v_mfma_f32_16x16x16f16 v[16:19], v[20:21], v[60:61], v[16:19]
	v_cvt_f16_f32_e32 v62, v25
	v_cvt_f16_f32_e32 v63, v27
	;; [unrolled: 1-line block ×4, first 2 shown]
	v_pack_b32_f16 v58, v59, v58
	v_pack_b32_f16 v59, v63, v62
	v_pk_mul_f16 v77, v177, v100 op_sel_hi:[0,1]
	v_pack_b32_f16 v62, v57, v56
	ds_read_u16 v20, v130 offset:4352
	ds_read_u16 v21, v133 offset:544
	;; [unrolled: 1-line block ×4, first 2 shown]
	v_cvt_f16_f32_e32 v16, v16
	v_cvt_f16_f32_e32 v17, v17
	;; [unrolled: 1-line block ×4, first 2 shown]
	s_waitcnt lgkmcnt(1)
	v_perm_b32 v21, v23, v21, s18
	s_waitcnt lgkmcnt(0)
	v_perm_b32 v20, v56, v20, s18
	v_cvt_f32_f16_e32 v16, v16
	v_cvt_f32_f16_e32 v17, v17
	;; [unrolled: 1-line block ×4, first 2 shown]
	v_cvt_f16_f32_e32 v63, v175
	v_cvt_f16_f32_e32 v100, v176
	v_mfma_f32_16x16x16f16 v[16:19], v[20:21], v[58:59], v[16:19]
	ds_read_u16 v20, v130 offset:8704
	ds_read_u16 v21, v134 offset:544
	;; [unrolled: 1-line block ×4, first 2 shown]
	v_pack_b32_f16 v63, v100, v63
	v_cvt_f16_f32_e32 v22, v180
	v_cvt_f16_f32_e32 v23, v181
	s_waitcnt lgkmcnt(1)
	v_perm_b32 v21, v56, v21, s18
	s_waitcnt lgkmcnt(0)
	v_perm_b32 v20, v105, v20, s18
	v_cvt_f16_f32_e32 v57, v178
	v_cvt_f16_f32_e32 v16, v16
	;; [unrolled: 1-line block ×5, first 2 shown]
	v_cvt_f32_f16_e32 v16, v16
	v_cvt_f32_f16_e32 v17, v17
	;; [unrolled: 1-line block ×4, first 2 shown]
	v_cvt_f16_f32_e32 v100, v182
	v_pack_b32_f16 v56, v23, v22
	v_mfma_f32_16x16x16f16 v[16:19], v[20:21], v[62:63], v[16:19]
	v_pack_b32_f16 v57, v100, v57
	ds_read_u16 v100, v132 offset:32
	ds_read_u16 v20, v130 offset:13056
	;; [unrolled: 1-line block ×5, first 2 shown]
	v_pk_mul_f16 v75, v177, v109 op_sel_hi:[0,1]
	ds_read_u16 v105, v130 offset:32
	ds_read_u16 v106, v131 offset:304
	ds_read_u16 v109, v136 offset:544
	v_add_f32_e32 v26, v28, v26
	s_waitcnt lgkmcnt(4)
	v_perm_b32 v21, v22, v21, s18
	v_cvt_f16_f32_e32 v16, v16
	v_cvt_f16_f32_e32 v17, v17
	;; [unrolled: 1-line block ×4, first 2 shown]
	s_waitcnt lgkmcnt(3)
	v_perm_b32 v20, v23, v20, s18
	v_cvt_f32_f16_e32 v16, v16
	v_cvt_f32_f16_e32 v17, v17
	;; [unrolled: 1-line block ×4, first 2 shown]
	s_waitcnt lgkmcnt(0)
	v_perm_b32 v185, v100, v109, s18
	v_perm_b32 v184, v106, v105, s18
	v_mfma_f32_16x16x16f16 v[20:23], v[20:21], v[56:57], v[16:19]
	v_add_f32_e32 v26, v30, v26
	v_add_f32_e32 v26, v29, v26
	;; [unrolled: 1-line block ×4, first 2 shown]
	s_nop 2
	v_cvt_f32_f16_e32 v16, v75
	v_cvt_f32_f16_sdwa v17, v75 dst_sel:DWORD dst_unused:UNUSED_PAD src0_sel:WORD_1
	v_cvt_f32_f16_e32 v18, v77
	v_cvt_f32_f16_sdwa v19, v77 dst_sel:DWORD dst_unused:UNUSED_PAD src0_sel:WORD_1
	ds_read_u16 v75, v130 offset:4384
	ds_read_u16 v77, v137 offset:544
	;; [unrolled: 1-line block ×4, first 2 shown]
	v_mfma_f32_16x16x16f16 v[16:19], v[184:185], v[60:61], v[16:19]
	s_waitcnt lgkmcnt(1)
	v_perm_b32 v185, v100, v77, s18
	s_waitcnt lgkmcnt(0)
	v_perm_b32 v184, v105, v75, s18
	ds_read_u16 v75, v130 offset:8736
	ds_read_u16 v77, v138 offset:544
	;; [unrolled: 1-line block ×4, first 2 shown]
	v_add_f32_e32 v24, v27, v24
	v_pk_mul_f16 v76, v177, v76 op_sel_hi:[0,1]
	v_pk_mul_f16 v74, v177, v74 op_sel_hi:[0,1]
	v_cvt_f32_f16_sdwa v183, v74 dst_sel:DWORD dst_unused:UNUSED_PAD src0_sel:WORD_1
	v_cvt_f16_f32_e32 v16, v16
	v_cvt_f16_f32_e32 v17, v17
	;; [unrolled: 1-line block ×4, first 2 shown]
	v_cvt_f32_f16_e32 v16, v16
	v_cvt_f32_f16_e32 v17, v17
	;; [unrolled: 1-line block ×4, first 2 shown]
	v_cmp_lt_i32_e32 vcc, s6, v116
	s_and_b64 vcc, exec, vcc
	v_mfma_f32_16x16x16f16 v[16:19], v[184:185], v[58:59], v[16:19]
	s_waitcnt lgkmcnt(1)
	v_perm_b32 v185, v100, v77, s18
	s_waitcnt lgkmcnt(0)
	v_perm_b32 v184, v105, v75, s18
	ds_read_u16 v75, v130 offset:13088
	ds_read_u16 v77, v139 offset:544
	ds_read_u16 v100, v132 offset:13088
	ds_read_u16 v105, v131 offset:13360
	s_nop 2
	v_cvt_f16_f32_e32 v16, v16
	v_cvt_f16_f32_e32 v17, v17
	;; [unrolled: 1-line block ×4, first 2 shown]
	v_cvt_f32_f16_e32 v16, v16
	v_cvt_f32_f16_e32 v17, v17
	v_cvt_f32_f16_e32 v18, v18
	v_cvt_f32_f16_e32 v19, v19
	s_nop 1
	v_mfma_f32_16x16x16f16 v[16:19], v[184:185], v[62:63], v[16:19]
	s_waitcnt lgkmcnt(1)
	v_perm_b32 v185, v100, v77, s18
	s_waitcnt lgkmcnt(0)
	v_perm_b32 v184, v105, v75, s18
	v_pk_mul_f16 v75, v177, v84 op_sel_hi:[0,1]
	v_pk_mul_f16 v77, v177, v82 op_sel_hi:[0,1]
	ds_read_u16 v82, v130 offset:64
	ds_read_u16 v84, v140 offset:544
	;; [unrolled: 1-line block ×4, first 2 shown]
	v_cvt_f32_f16_e32 v186, v77
	v_cvt_f32_f16_sdwa v187, v77 dst_sel:DWORD dst_unused:UNUSED_PAD src0_sel:WORD_1
	v_cvt_f16_f32_e32 v16, v16
	v_cvt_f16_f32_e32 v17, v17
	v_cvt_f16_f32_e32 v18, v18
	v_cvt_f16_f32_e32 v19, v19
	v_cvt_f32_f16_e32 v16, v16
	v_cvt_f32_f16_e32 v17, v17
	;; [unrolled: 1-line block ×4, first 2 shown]
	s_waitcnt lgkmcnt(1)
	v_perm_b32 v189, v100, v84, s18
	s_waitcnt lgkmcnt(0)
	v_perm_b32 v188, v105, v82, s18
	v_mfma_f32_16x16x16f16 v[16:19], v[184:185], v[56:57], v[16:19]
	v_cvt_f32_f16_e32 v184, v75
	v_cvt_f32_f16_sdwa v185, v75 dst_sel:DWORD dst_unused:UNUSED_PAD src0_sel:WORD_1
	ds_read_u16 v100, v130 offset:4416
	ds_read_u16 v105, v141 offset:544
	;; [unrolled: 1-line block ×4, first 2 shown]
	v_mfma_f32_16x16x16f16 v[184:187], v[188:189], v[60:61], v[184:187]
	s_waitcnt lgkmcnt(1)
	v_perm_b32 v189, v106, v105, s18
	s_waitcnt lgkmcnt(0)
	v_perm_b32 v188, v109, v100, s18
	ds_read_u16 v100, v130 offset:8768
	ds_read_u16 v105, v142 offset:544
	;; [unrolled: 1-line block ×4, first 2 shown]
	s_nop 2
	v_cvt_f16_f32_e32 v75, v184
	v_cvt_f16_f32_e32 v77, v185
	;; [unrolled: 1-line block ×4, first 2 shown]
	v_cvt_f32_f16_e32 v184, v75
	v_cvt_f32_f16_e32 v185, v77
	;; [unrolled: 1-line block ×4, first 2 shown]
	s_nop 1
	v_mfma_f32_16x16x16f16 v[184:187], v[188:189], v[58:59], v[184:187]
	s_waitcnt lgkmcnt(1)
	v_perm_b32 v189, v106, v105, s18
	s_waitcnt lgkmcnt(0)
	v_perm_b32 v188, v109, v100, s18
	s_nop 6
	v_cvt_f16_f32_e32 v75, v184
	v_cvt_f16_f32_e32 v77, v185
	;; [unrolled: 1-line block ×4, first 2 shown]
	v_cvt_f32_f16_e32 v184, v75
	v_cvt_f32_f16_e32 v185, v77
	;; [unrolled: 1-line block ×4, first 2 shown]
	ds_read_u16 v77, v130 offset:13120
	ds_read_u16 v82, v143 offset:544
	;; [unrolled: 1-line block ×4, first 2 shown]
	v_mfma_f32_16x16x16f16 v[184:187], v[188:189], v[62:63], v[184:187]
	s_nop 7
	s_nop 2
	v_cvt_f16_f32_e32 v28, v184
	v_cvt_f16_f32_e32 v29, v185
	;; [unrolled: 1-line block ×4, first 2 shown]
	v_cvt_f32_f16_e32 v184, v28
	v_cvt_f32_f16_e32 v185, v29
	s_waitcnt lgkmcnt(1)
	v_perm_b32 v29, v84, v82, s18
	s_waitcnt lgkmcnt(0)
	v_perm_b32 v28, v100, v77, s18
	v_cvt_f32_f16_e32 v187, v75
	v_pk_mul_f16 v75, v177, v80 op_sel_hi:[0,1]
	v_pk_mul_f16 v77, v177, v78 op_sel_hi:[0,1]
	ds_read_u16 v78, v130 offset:96
	ds_read_u16 v80, v144 offset:544
	;; [unrolled: 1-line block ×4, first 2 shown]
	v_cvt_f32_f16_e32 v186, v30
	s_waitcnt lgkmcnt(1)
	v_perm_b32 v189, v82, v80, s18
	s_waitcnt lgkmcnt(0)
	v_perm_b32 v188, v84, v78, s18
	v_mfma_f32_16x16x16f16 v[28:31], v[28:29], v[56:57], v[184:187]
	s_nop 6
	v_cvt_f32_f16_e32 v184, v75
	v_cvt_f32_f16_sdwa v185, v75 dst_sel:DWORD dst_unused:UNUSED_PAD src0_sel:WORD_1
	v_cvt_f32_f16_e32 v186, v77
	v_cvt_f32_f16_sdwa v187, v77 dst_sel:DWORD dst_unused:UNUSED_PAD src0_sel:WORD_1
	v_add_f32_e32 v75, v25, v24
	ds_read_u16 v77, v130 offset:4448
	ds_read_u16 v78, v145 offset:544
	;; [unrolled: 1-line block ×4, first 2 shown]
	v_mfma_f32_16x16x16f16 v[24:27], v[188:189], v[60:61], v[184:187]
	v_add_f32_e32 v75, v174, v75
	v_add_f32_e32 v75, v121, v75
	;; [unrolled: 1-line block ×4, first 2 shown]
	s_waitcnt lgkmcnt(1)
	s_nop 1
	v_perm_b32 v185, v80, v78, s18
	s_waitcnt lgkmcnt(0)
	v_perm_b32 v184, v82, v77, s18
	ds_read_u16 v77, v130 offset:8800
	ds_read_u16 v78, v146 offset:544
	;; [unrolled: 1-line block ×4, first 2 shown]
	v_cvt_f16_f32_e32 v24, v24
	v_cvt_f16_f32_e32 v25, v25
	;; [unrolled: 1-line block ×4, first 2 shown]
	v_cvt_f32_f16_e32 v24, v24
	v_cvt_f32_f16_e32 v25, v25
	;; [unrolled: 1-line block ×4, first 2 shown]
	v_add_f32_e32 v75, v181, v75
	v_add_f32_e32 v75, v180, v75
	v_mfma_f32_16x16x16f16 v[24:27], v[184:185], v[58:59], v[24:27]
	s_waitcnt lgkmcnt(1)
	v_perm_b32 v185, v80, v78, s18
	s_waitcnt lgkmcnt(0)
	v_perm_b32 v184, v82, v77, s18
	ds_read_u16 v77, v130 offset:13152
	ds_read_u16 v78, v147 offset:544
	;; [unrolled: 1-line block ×4, first 2 shown]
	v_add_f32_e32 v75, v182, v75
	v_cvt_f32_f16_e32 v180, v76
	v_cvt_f32_f16_sdwa v181, v76 dst_sel:DWORD dst_unused:UNUSED_PAD src0_sel:WORD_1
	s_waitcnt lgkmcnt(1)
	v_perm_b32 v175, v80, v78, s18
	v_cvt_f16_f32_e32 v24, v24
	v_cvt_f16_f32_e32 v25, v25
	;; [unrolled: 1-line block ×4, first 2 shown]
	v_cvt_f32_f16_e32 v24, v24
	v_cvt_f32_f16_e32 v25, v25
	;; [unrolled: 1-line block ×4, first 2 shown]
	s_waitcnt lgkmcnt(0)
	v_perm_b32 v174, v82, v77, s18
	ds_read_u16 v77, v130 offset:128
	ds_read_u16 v78, v148 offset:544
	;; [unrolled: 1-line block ×4, first 2 shown]
	v_mfma_f32_16x16x16f16 v[24:27], v[184:185], v[62:63], v[24:27]
	v_cvt_f32_f16_e32 v182, v74
	v_add_f32_e32 v121, v178, v75
	v_fmac_f32_e32 v121, v173, v179
	v_pk_mul_f16 v74, v177, v67 op_sel_hi:[0,1]
	s_nop 6
	v_cvt_f16_f32_e32 v24, v24
	v_cvt_f16_f32_e32 v25, v25
	;; [unrolled: 1-line block ×4, first 2 shown]
	v_cvt_f32_f16_e32 v24, v24
	v_cvt_f32_f16_e32 v25, v25
	;; [unrolled: 1-line block ×4, first 2 shown]
	s_nop 1
	v_mfma_f32_16x16x16f16 v[24:27], v[174:175], v[56:57], v[24:27]
	s_waitcnt lgkmcnt(1)
	v_perm_b32 v175, v80, v78, s18
	s_waitcnt lgkmcnt(0)
	v_perm_b32 v174, v82, v77, s18
	ds_read_u16 v78, v130 offset:4480
	ds_read_u16 v80, v149 offset:544
	;; [unrolled: 1-line block ×4, first 2 shown]
	s_nop 2
	v_cvt_f16_f32_e32 v26, v26
	v_mfma_f32_16x16x16f16 v[178:181], v[174:175], v[60:61], v[180:183]
	s_waitcnt lgkmcnt(1)
	v_perm_b32 v175, v82, v80, s18
	s_waitcnt lgkmcnt(0)
	v_perm_b32 v174, v84, v78, s18
	v_cvt_f16_f32_e32 v27, v27
	s_nop 5
	v_cvt_f16_f32_e32 v67, v178
	v_cvt_f16_f32_e32 v75, v179
	;; [unrolled: 1-line block ×4, first 2 shown]
	v_cvt_f32_f16_e32 v178, v67
	v_cvt_f32_f16_e32 v179, v75
	;; [unrolled: 1-line block ×4, first 2 shown]
	v_pk_mul_f16 v77, v177, v103 op_sel_hi:[0,1]
	ds_read_u16 v82, v130 offset:8832
	ds_read_u16 v84, v150 offset:544
	;; [unrolled: 1-line block ×4, first 2 shown]
	v_mfma_f32_16x16x16f16 v[178:181], v[174:175], v[58:59], v[178:181]
	v_pk_mul_f16 v75, v177, v66 op_sel_hi:[0,1]
	v_pk_mul_f16 v76, v177, v104 op_sel_hi:[0,1]
	s_waitcnt lgkmcnt(1)
	v_perm_b32 v105, v100, v84, s18
	s_waitcnt lgkmcnt(0)
	v_perm_b32 v104, v103, v82, s18
	s_nop 4
	v_cvt_f16_f32_e32 v66, v178
	v_cvt_f16_f32_e32 v67, v179
	v_cvt_f16_f32_e32 v78, v180
	v_cvt_f16_f32_e32 v80, v181
	v_cvt_f32_f16_e32 v178, v66
	v_cvt_f32_f16_e32 v179, v67
	;; [unrolled: 1-line block ×4, first 2 shown]
	v_pk_mul_f16 v67, v177, v102 op_sel_hi:[0,1]
	v_pk_mul_f16 v66, v177, v101 op_sel_hi:[0,1]
	v_mfma_f32_16x16x16f16 v[100:103], v[104:105], v[62:63], v[178:181]
	v_cvt_f16_f32_e32 v78, v20
	s_nop 7
	s_nop 1
	v_cvt_f16_f32_e32 v84, v103
	ds_read_u16 v103, v130 offset:13184
	ds_read_u16 v104, v151 offset:544
	;; [unrolled: 1-line block ×4, first 2 shown]
	v_cvt_f16_f32_e32 v20, v100
	v_cvt_f16_f32_e32 v80, v101
	;; [unrolled: 1-line block ×3, first 2 shown]
	s_waitcnt lgkmcnt(1)
	v_perm_b32 v105, v105, v104, s18
	s_waitcnt lgkmcnt(0)
	v_perm_b32 v104, v106, v103, s18
	v_cvt_f32_f16_e32 v100, v20
	v_cvt_f32_f16_e32 v101, v80
	;; [unrolled: 1-line block ×4, first 2 shown]
	v_cvt_f16_f32_e32 v80, v21
	v_cvt_f16_f32_e32 v82, v22
	v_cvt_f16_f32_e32 v84, v23
	v_mfma_f32_16x16x16f16 v[20:23], v[104:105], v[56:57], v[100:103]
	s_nop 6
	ds_read_u16 v103, v130 offset:160
	ds_read_u16 v104, v152 offset:544
	;; [unrolled: 1-line block ×4, first 2 shown]
	v_cvt_f32_f16_e32 v100, v74
	v_cvt_f32_f16_sdwa v101, v74 dst_sel:DWORD dst_unused:UNUSED_PAD src0_sel:WORD_1
	v_cvt_f32_f16_e32 v102, v75
	s_waitcnt lgkmcnt(1)
	v_perm_b32 v175, v105, v104, s18
	s_waitcnt lgkmcnt(0)
	v_perm_b32 v174, v106, v103, s18
	v_cvt_f32_f16_sdwa v103, v75 dst_sel:DWORD dst_unused:UNUSED_PAD src0_sel:WORD_1
	v_pack_b32_f16 v106, v78, v80
	v_pack_b32_f16 v105, v82, v84
	v_mfma_f32_16x16x16f16 v[100:103], v[174:175], v[60:61], v[100:103]
	v_cvt_f16_f32_e32 v74, v16
	s_nop 7
	s_nop 1
	v_cvt_f16_f32_e32 v80, v103
	ds_read_u16 v82, v130 offset:4512
	ds_read_u16 v84, v153 offset:544
	;; [unrolled: 1-line block ×4, first 2 shown]
	v_cvt_f16_f32_e32 v16, v100
	v_cvt_f16_f32_e32 v75, v101
	;; [unrolled: 1-line block ×3, first 2 shown]
	s_waitcnt lgkmcnt(1)
	v_perm_b32 v175, v103, v84, s18
	s_waitcnt lgkmcnt(0)
	v_perm_b32 v174, v104, v82, s18
	v_cvt_f32_f16_e32 v100, v16
	v_cvt_f32_f16_e32 v101, v75
	;; [unrolled: 1-line block ×4, first 2 shown]
	v_cvt_f16_f32_e32 v75, v17
	v_cvt_f16_f32_e32 v78, v18
	;; [unrolled: 1-line block ×3, first 2 shown]
	v_mfma_f32_16x16x16f16 v[16:19], v[174:175], v[58:59], v[100:103]
	ds_read_u16 v82, v130 offset:8864
	ds_read_u16 v84, v154 offset:544
	s_nop 4
	ds_read_u16 v100, v132 offset:8864
	ds_read_u16 v101, v131 offset:9136
	v_pack_b32_f16 v109, v74, v75
	v_cvt_f16_f32_e32 v74, v28
	s_waitcnt lgkmcnt(1)
	v_perm_b32 v103, v100, v84, s18
	s_waitcnt lgkmcnt(0)
	v_perm_b32 v102, v101, v82, s18
	v_pack_b32_f16 v100, v78, v80
	v_cvt_f16_f32_e32 v16, v16
	v_cvt_f16_f32_e32 v17, v17
	;; [unrolled: 1-line block ×4, first 2 shown]
	v_cvt_f32_f16_e32 v16, v16
	v_cvt_f32_f16_e32 v17, v17
	;; [unrolled: 1-line block ×4, first 2 shown]
	ds_read_u16 v28, v130 offset:13216
	ds_read_u16 v75, v155 offset:544
	;; [unrolled: 1-line block ×4, first 2 shown]
	v_mfma_f32_16x16x16f16 v[16:19], v[102:103], v[62:63], v[16:19]
	s_waitcnt lgkmcnt(1)
	v_perm_b32 v103, v78, v75, s18
	s_waitcnt lgkmcnt(0)
	v_perm_b32 v102, v80, v28, s18
	v_cvt_f16_f32_e32 v75, v29
	v_cvt_f16_f32_e32 v78, v30
	;; [unrolled: 1-line block ×3, first 2 shown]
	s_nop 3
	v_cvt_f16_f32_e32 v16, v16
	v_cvt_f16_f32_e32 v17, v17
	v_cvt_f16_f32_e32 v18, v18
	v_cvt_f16_f32_e32 v19, v19
	v_cvt_f32_f16_e32 v16, v16
	v_cvt_f32_f16_e32 v17, v17
	v_cvt_f32_f16_e32 v18, v18
	v_cvt_f32_f16_e32 v19, v19
	s_nop 1
	v_mfma_f32_16x16x16f16 v[28:31], v[102:103], v[56:57], v[16:19]
	s_nop 6
	ds_read_u16 v19, v130 offset:192
	ds_read_u16 v82, v156 offset:544
	;; [unrolled: 1-line block ×4, first 2 shown]
	v_cvt_f32_f16_e32 v16, v76
	v_cvt_f32_f16_sdwa v17, v76 dst_sel:DWORD dst_unused:UNUSED_PAD src0_sel:WORD_1
	v_cvt_f32_f16_e32 v18, v77
	s_waitcnt lgkmcnt(1)
	v_perm_b32 v103, v84, v82, s18
	s_waitcnt lgkmcnt(0)
	v_perm_b32 v102, v101, v19, s18
	v_cvt_f32_f16_sdwa v19, v77 dst_sel:DWORD dst_unused:UNUSED_PAD src0_sel:WORD_1
	v_pack_b32_f16 v84, v74, v75
	v_cvt_f16_f32_e32 v74, v24
	v_mfma_f32_16x16x16f16 v[16:19], v[102:103], v[60:61], v[16:19]
	ds_read_u16 v24, v130 offset:4544
	ds_read_u16 v75, v157 offset:544
	;; [unrolled: 1-line block ×4, first 2 shown]
	v_pack_b32_f16 v82, v78, v80
	v_pack_b32_f16 v78, v26, v27
	v_cvt_f16_f32_e32 v26, v20
	s_waitcnt lgkmcnt(1)
	v_perm_b32 v103, v76, v75, s18
	s_waitcnt lgkmcnt(0)
	v_perm_b32 v102, v77, v24, s18
	v_cvt_f16_f32_e32 v75, v25
	v_cvt_f16_f32_e32 v16, v16
	;; [unrolled: 1-line block ×5, first 2 shown]
	v_cvt_f32_f16_e32 v16, v16
	v_cvt_f32_f16_e32 v17, v17
	;; [unrolled: 1-line block ×4, first 2 shown]
	ds_read_u16 v24, v130 offset:8896
	ds_read_u16 v25, v158 offset:544
	;; [unrolled: 1-line block ×4, first 2 shown]
	v_mfma_f32_16x16x16f16 v[16:19], v[102:103], v[58:59], v[16:19]
	s_waitcnt lgkmcnt(1)
	v_perm_b32 v25, v76, v25, s18
	s_waitcnt lgkmcnt(0)
	v_perm_b32 v24, v77, v24, s18
	v_pack_b32_f16 v80, v74, v75
	v_cvt_f16_f32_e32 v75, v23
	v_cvt_f16_f32_e32 v74, v22
	v_cvt_f32_f16_e32 v22, v66
	s_nop 2
	v_cvt_f16_f32_e32 v16, v16
	v_cvt_f16_f32_e32 v17, v17
	;; [unrolled: 1-line block ×4, first 2 shown]
	v_cvt_f32_f16_e32 v16, v16
	v_cvt_f32_f16_e32 v17, v17
	;; [unrolled: 1-line block ×4, first 2 shown]
	v_pack_b32_f16 v74, v74, v75
	s_nop 0
	v_mfma_f32_16x16x16f16 v[16:19], v[24:25], v[62:63], v[16:19]
	ds_read_u16 v20, v130 offset:13248
	ds_read_u16 v24, v159 offset:544
	;; [unrolled: 1-line block ×4, first 2 shown]
	s_waitcnt lgkmcnt(1)
	v_perm_b32 v25, v25, v24, s18
	s_waitcnt lgkmcnt(0)
	v_perm_b32 v24, v27, v20, s18
	v_cvt_f16_f32_e32 v27, v21
	s_nop 1
	v_cvt_f16_f32_e32 v16, v16
	v_cvt_f16_f32_e32 v17, v17
	;; [unrolled: 1-line block ×4, first 2 shown]
	v_cvt_f32_f16_e32 v16, v16
	v_cvt_f32_f16_e32 v17, v17
	;; [unrolled: 1-line block ×5, first 2 shown]
	v_cvt_f32_f16_sdwa v21, v67 dst_sel:DWORD dst_unused:UNUSED_PAD src0_sel:WORD_1
	v_mfma_f32_16x16x16f16 v[16:19], v[24:25], v[56:57], v[16:19]
	ds_read_u16 v23, v130 offset:224
	ds_read_u16 v24, v160 offset:544
	;; [unrolled: 1-line block ×4, first 2 shown]
	s_waitcnt lgkmcnt(1)
	v_perm_b32 v25, v25, v24, s18
	s_waitcnt lgkmcnt(0)
	v_perm_b32 v24, v76, v23, s18
	v_cvt_f32_f16_sdwa v23, v66 dst_sel:DWORD dst_unused:UNUSED_PAD src0_sel:WORD_1
	v_pack_b32_f16 v76, v26, v27
	v_cvt_f16_f32_e32 v26, v28
	v_mfma_f32_16x16x16f16 v[20:23], v[24:25], v[60:61], v[20:23]
	ds_read_u16 v24, v130 offset:4576
	ds_read_u16 v25, v161 offset:544
	;; [unrolled: 1-line block ×4, first 2 shown]
	v_cvt_f16_f32_e32 v16, v16
	v_cvt_f16_f32_e32 v17, v17
	s_waitcnt lgkmcnt(1)
	v_perm_b32 v25, v27, v25, s18
	s_waitcnt lgkmcnt(0)
	v_perm_b32 v24, v28, v24, s18
	v_cvt_f16_f32_e32 v27, v29
	v_cvt_f16_f32_e32 v20, v20
	;; [unrolled: 1-line block ×5, first 2 shown]
	v_cvt_f32_f16_e32 v20, v20
	v_cvt_f32_f16_e32 v21, v21
	;; [unrolled: 1-line block ×4, first 2 shown]
	v_cvt_f16_f32_e32 v28, v30
	v_cvt_f16_f32_e32 v29, v31
	v_mfma_f32_16x16x16f16 v[20:23], v[24:25], v[58:59], v[20:23]
	ds_read_u16 v24, v130 offset:8928
	ds_read_u16 v25, v162 offset:544
	;; [unrolled: 1-line block ×4, first 2 shown]
	v_pack_b32_f16 v67, v26, v27
	v_pack_b32_f16 v66, v28, v29
	v_cvt_f16_f32_e32 v28, v18
	s_waitcnt lgkmcnt(1)
	v_perm_b32 v25, v30, v25, s18
	s_waitcnt lgkmcnt(0)
	v_perm_b32 v24, v31, v24, s18
	v_cvt_f16_f32_e32 v29, v19
	v_cvt_f16_f32_e32 v20, v20
	;; [unrolled: 1-line block ×5, first 2 shown]
	v_cvt_f32_f16_e32 v20, v20
	v_cvt_f32_f16_e32 v21, v21
	;; [unrolled: 1-line block ×4, first 2 shown]
	v_pack_b32_f16 v104, v16, v17
	v_pack_b32_f16 v103, v28, v29
	v_mfma_f32_16x16x16f16 v[20:23], v[24:25], v[62:63], v[20:23]
	s_nop 7
	s_nop 2
	v_cvt_f16_f32_e32 v24, v20
	v_cvt_f16_f32_e32 v25, v21
	;; [unrolled: 1-line block ×4, first 2 shown]
	ds_read_u16 v21, v130 offset:13280
	ds_read_u16 v22, v163 offset:544
	;; [unrolled: 1-line block ×4, first 2 shown]
	v_cvt_f32_f16_e32 v24, v24
	v_cvt_f32_f16_e32 v25, v25
	;; [unrolled: 1-line block ×3, first 2 shown]
	s_waitcnt lgkmcnt(1)
	v_perm_b32 v23, v23, v22, s18
	s_waitcnt lgkmcnt(0)
	v_perm_b32 v22, v27, v21, s18
	v_cvt_f32_f16_e32 v27, v20
	s_barrier
	s_nop 0
	v_mfma_f32_16x16x16f16 v[18:21], v[22:23], v[56:57], v[24:27]
	s_nop 7
	s_nop 2
	v_cvt_f16_f32_e32 v18, v18
	v_cvt_f16_f32_e32 v19, v19
	;; [unrolled: 1-line block ×4, first 2 shown]
	v_pack_b32_f16 v102, v18, v19
	v_pack_b32_f16 v101, v20, v21
	s_cbranch_vccz .LBB25_755
; %bb.754:                              ;   in Loop: Header=BB25_689 Depth=1
	v_mov_b32_e32 v173, v121
	v_mov_b32_e32 v56, v32
	s_branch .LBB25_689
.LBB25_755:
	s_lshl_b32 s0, s6, 6
	s_ashr_i32 s1, s0, 31
	s_lshl_b64 s[4:5], s[0:1], 1
	s_add_u32 s2, s11, s4
	s_addc_u32 s4, s14, s5
	v_mov_b32_e32 v16, s4
	v_add_co_u32_e32 v20, vcc, s2, v117
	s_mul_i32 s1, s38, s1
	s_mul_hi_u32 s2, s38, s0
	v_addc_co_u32_e32 v21, vcc, 0, v16, vcc
	v_lshlrev_b64 v[16:17], 1, v[36:37]
	s_add_i32 s1, s2, s1
	s_mul_i32 s2, s3, s0
	v_add_co_u32_e32 v16, vcc, v20, v16
	s_add_i32 s3, s1, s2
	s_mul_i32 s2, s38, s0
	v_addc_co_u32_e32 v17, vcc, v21, v17, vcc
	v_lshlrev_b64 v[18:19], 1, v[38:39]
	s_lshl_b64 s[2:3], s[2:3], 2
	v_add_co_u32_e32 v18, vcc, v20, v18
	s_add_u32 s1, s9, s2
	v_addc_co_u32_e32 v19, vcc, v21, v19, vcc
	global_load_dword v39, v[16:17], off
	global_load_dword v48, v[18:19], off
	s_addc_u32 s2, s10, s3
	v_lshlrev_b64 v[16:17], 2, v[40:41]
	v_mov_b32_e32 v18, s2
	v_add_co_u32_e32 v16, vcc, s1, v16
	v_addc_co_u32_e32 v17, vcc, v18, v17, vcc
	v_lshlrev_b64 v[28:29], 2, v[34:35]
	v_add_co_u32_e32 v24, vcc, v16, v28
	v_addc_co_u32_e32 v25, vcc, v17, v29, vcc
	v_lshlrev_b64 v[16:17], 2, v[42:43]
	v_add_co_u32_e32 v16, vcc, s1, v16
	v_addc_co_u32_e32 v17, vcc, v18, v17, vcc
	v_add_co_u32_e32 v26, vcc, v16, v28
	v_addc_co_u32_e32 v27, vcc, v17, v29, vcc
	global_load_dwordx4 v[16:19], v[24:25], off
	global_load_dwordx4 v[20:23], v[26:27], off
	v_lshlrev_b64 v[24:25], 2, v[44:45]
	v_mov_b32_e32 v26, s2
	v_add_co_u32_e32 v24, vcc, s1, v24
	v_addc_co_u32_e32 v25, vcc, v26, v25, vcc
	v_add_co_u32_e32 v30, vcc, v24, v28
	v_addc_co_u32_e32 v31, vcc, v25, v29, vcc
	v_lshlrev_b64 v[24:25], 2, v[46:47]
	v_add_co_u32_e32 v24, vcc, s1, v24
	v_addc_co_u32_e32 v25, vcc, v26, v25, vcc
	v_add_co_u32_e32 v36, vcc, v24, v28
	v_addc_co_u32_e32 v37, vcc, v25, v29, vcc
	global_load_dwordx4 v[24:27], v[30:31], off
	global_load_dwordx4 v[40:43], v[36:37], off
	v_add_u32_e32 v30, 0, v117
	v_lshlrev_b32_e32 v31, 2, v34
	v_add_u32_e32 v34, v30, v110
	v_add_u32_e32 v30, v30, v111
	v_add3_u32 v35, 0, v112, v31
	v_add3_u32 v36, 0, v113, v31
	;; [unrolled: 1-line block ×4, first 2 shown]
	s_mov_b32 s1, 0x3f200000
	s_waitcnt vmcnt(5)
	ds_write_b32 v34, v39 offset:17408
	s_waitcnt vmcnt(4)
	ds_write_b32 v30, v48 offset:17408
	s_waitcnt vmcnt(3)
	ds_write_b128 v35, v[16:19]
	s_waitcnt vmcnt(2)
	ds_write_b128 v36, v[20:23]
	;; [unrolled: 2-line block ×4, first 2 shown]
	v_add3_u32 v30, 0, v107, v108
	v_add_u32_e32 v31, 0x1000, v30
	s_waitcnt lgkmcnt(0)
	s_barrier
	ds_read2_b64 v[16:19], v30 offset1:4
	ds_read2_b64 v[24:27], v31 offset0:32 offset1:36
	s_waitcnt lgkmcnt(1)
	v_mfma_f32_16x16x16f16 v[20:23], v[16:17], v[12:13], 0
	v_add_u32_e32 v34, 0x2000, v30
	ds_read2_b64 v[44:47], v34 offset0:64 offset1:68
	s_waitcnt lgkmcnt(1)
	v_mfma_f32_16x16x16f16 v[40:43], v[24:25], v[12:13], 0
	v_mfma_f32_16x16x16f16 v[16:19], v[18:19], v[14:15], v[20:23]
	;; [unrolled: 1-line block ×3, first 2 shown]
	s_nop 7
	s_nop 0
	ds_read2_b64 v[40:43], v30 offset0:8 offset1:12
	s_waitcnt lgkmcnt(0)
	v_mfma_f32_16x16x16f16 v[16:19], v[40:41], v[8:9], v[16:19]
	v_mfma_f32_16x16x16f16 v[16:19], v[42:43], v[10:11], v[16:19]
	ds_read2_b64 v[40:43], v30 offset0:16 offset1:20
	s_waitcnt lgkmcnt(0)
	v_mfma_f32_16x16x16f16 v[16:19], v[40:41], v[4:5], v[16:19]
	v_mfma_f32_16x16x16f16 v[48:51], v[44:45], v[12:13], 0
	;; [unrolled: 1-line block ×3, first 2 shown]
	ds_read2_b64 v[40:43], v30 offset0:24 offset1:28
	v_add_u32_e32 v30, 0x3000, v30
	v_mfma_f32_16x16x16f16 v[24:27], v[46:47], v[14:15], v[48:51]
	ds_read2_b64 v[44:47], v31 offset0:40 offset1:44
	s_nop 5
	ds_read2_b64 v[48:51], v34 offset0:72 offset1:76
	s_waitcnt lgkmcnt(2)
	v_mfma_f32_16x16x16f16 v[16:19], v[40:41], v[0:1], v[16:19]
	s_waitcnt lgkmcnt(0)
	v_mfma_f32_16x16x16f16 v[24:27], v[48:49], v[8:9], v[24:27]
	v_mfma_f32_16x16x16f16 v[16:19], v[42:43], v[2:3], v[16:19]
	ds_read2_b64 v[40:43], v34 offset0:80 offset1:84
	v_mfma_f32_16x16x16f16 v[20:23], v[44:45], v[8:9], v[20:23]
	s_nop 7
	s_nop 0
	v_cmp_nlt_f32_e64 s[2:3], |v16|, s1
	v_mfma_f32_16x16x16f16 v[24:27], v[50:51], v[10:11], v[24:27]
	v_mfma_f32_16x16x16f16 v[20:23], v[46:47], v[10:11], v[20:23]
	ds_read2_b64 v[44:47], v31 offset0:48 offset1:52
	s_waitcnt lgkmcnt(1)
	v_mfma_f32_16x16x16f16 v[24:27], v[40:41], v[4:5], v[24:27]
	v_mfma_f32_16x16x16f16 v[24:27], v[42:43], v[6:7], v[24:27]
	ds_read2_b64 v[40:43], v34 offset0:88 offset1:92
	s_waitcnt lgkmcnt(1)
	;; [unrolled: 4-line block ×4, first 2 shown]
	v_mfma_f32_16x16x16f16 v[20:23], v[44:45], v[0:1], v[20:23]
	v_mfma_f32_16x16x16f16 v[20:23], v[46:47], v[2:3], v[20:23]
	s_waitcnt lgkmcnt(0)
	v_mfma_f32_16x16x16f16 v[44:47], v[40:41], v[12:13], 0
	v_mfma_f32_16x16x16f16 v[12:15], v[42:43], v[14:15], v[44:47]
	ds_read2_b64 v[40:43], v30 offset0:104 offset1:108
	s_waitcnt lgkmcnt(0)
	v_mfma_f32_16x16x16f16 v[12:15], v[40:41], v[8:9], v[12:15]
	v_mfma_f32_16x16x16f16 v[8:11], v[42:43], v[10:11], v[12:15]
	s_nop 7
	s_nop 1
	ds_read2_b64 v[12:15], v30 offset0:112 offset1:116
	s_waitcnt lgkmcnt(0)
	v_mfma_f32_16x16x16f16 v[8:11], v[12:13], v[4:5], v[8:11]
	v_mfma_f32_16x16x16f16 v[4:7], v[14:15], v[6:7], v[8:11]
	s_nop 7
	s_nop 1
	ds_read2_b64 v[8:11], v30 offset0:120 offset1:124
	s_waitcnt lgkmcnt(0)
	v_mfma_f32_16x16x16f16 v[6:9], v[8:9], v[0:1], v[4:7]
	s_barrier
	s_waitcnt lgkmcnt(0)
                                        ; implicit-def: $vgpr4
	v_mfma_f32_16x16x16f16 v[0:3], v[10:11], v[2:3], v[6:9]
	s_and_saveexec_b64 s[4:5], s[2:3]
	s_xor_b64 s[2:3], exec, s[4:5]
	s_cbranch_execz .LBB25_757
; %bb.756:
	s_nop 0
	v_add_f32_e64 v4, |v16|, |v16|
	v_mul_f32_e32 v5, 0x3fb8aa3b, v4
	s_mov_b32 s1, 0x3fb8aa3b
	s_nop 0
	v_rndne_f32_e32 v6, v5
	v_sub_f32_e32 v7, v5, v6
	v_fma_f32 v5, v4, s1, -v5
	v_fmac_f32_e32 v5, 0x32a5705f, v4
	v_add_f32_e32 v5, v7, v5
	v_exp_f32_e32 v5, v5
	v_cvt_i32_f32_e32 v6, v6
	s_mov_b32 s1, 0xc2ce8ed0
	v_cmp_ngt_f32_e32 vcc, s1, v4
	s_mov_b32 s1, 0x42b17218
	v_ldexp_f32 v5, v5, v6
	v_cndmask_b32_e32 v5, 0, v5, vcc
	v_mov_b32_e32 v6, 0x7f800000
	v_cmp_nlt_f32_e32 vcc, s1, v4
	v_cndmask_b32_e32 v4, v6, v5, vcc
	v_add_f32_e32 v4, 1.0, v4
	v_rcp_f32_e32 v4, v4
	v_fma_f32 v4, v4, -2.0, 1.0
.LBB25_757:
	s_or_saveexec_b64 s[2:3], s[2:3]
	v_readlane_b32 s6, v254, 8
	s_xor_b64 exec, exec, s[2:3]
; %bb.758:
	v_mul_f32_e32 v4, v16, v16
	v_mov_b32_e32 v5, 0x3ca908c9
	v_fmac_f32_e32 v5, 0xbbbac73d, v4
	v_mov_b32_e32 v6, 0xbd5c1c4e
	v_fmac_f32_e32 v6, v4, v5
	;; [unrolled: 2-line block ×4, first 2 shown]
	v_mul_f32_e64 v5, |v16|, v6
	v_fma_f32 v4, v4, v5, |v16|
; %bb.759:
	s_or_b64 exec, exec, s[2:3]
	s_mov_b32 s1, 0x3f200000
	v_cmp_nlt_f32_e64 s[2:3], |v17|, s1
                                        ; implicit-def: $vgpr5
	s_and_saveexec_b64 s[4:5], s[2:3]
	s_xor_b64 s[2:3], exec, s[4:5]
	s_cbranch_execz .LBB25_761
; %bb.760:
	v_add_f32_e64 v5, |v17|, |v17|
	v_mul_f32_e32 v6, 0x3fb8aa3b, v5
	s_mov_b32 s1, 0x3fb8aa3b
	v_rndne_f32_e32 v7, v6
	v_sub_f32_e32 v8, v6, v7
	v_fma_f32 v6, v5, s1, -v6
	v_fmac_f32_e32 v6, 0x32a5705f, v5
	v_add_f32_e32 v6, v8, v6
	v_exp_f32_e32 v6, v6
	v_cvt_i32_f32_e32 v7, v7
	s_mov_b32 s1, 0xc2ce8ed0
	v_cmp_ngt_f32_e32 vcc, s1, v5
	s_mov_b32 s1, 0x42b17218
	v_ldexp_f32 v6, v6, v7
	v_cndmask_b32_e32 v6, 0, v6, vcc
	v_mov_b32_e32 v7, 0x7f800000
	v_cmp_nlt_f32_e32 vcc, s1, v5
	v_cndmask_b32_e32 v5, v7, v6, vcc
	v_add_f32_e32 v5, 1.0, v5
	v_rcp_f32_e32 v5, v5
	v_fma_f32 v5, v5, -2.0, 1.0
.LBB25_761:
	s_andn2_saveexec_b64 s[2:3], s[2:3]
; %bb.762:
	v_mul_f32_e32 v5, v17, v17
	v_mov_b32_e32 v6, 0x3ca908c9
	v_fmac_f32_e32 v6, 0xbbbac73d, v5
	v_mov_b32_e32 v7, 0xbd5c1c4e
	v_fmac_f32_e32 v7, v5, v6
	;; [unrolled: 2-line block ×4, first 2 shown]
	v_mul_f32_e64 v6, |v17|, v7
	v_fma_f32 v5, v5, v6, |v17|
; %bb.763:
	s_or_b64 exec, exec, s[2:3]
	s_mov_b32 s1, 0x3f200000
	v_cmp_nlt_f32_e64 s[2:3], |v18|, s1
                                        ; implicit-def: $vgpr6
	s_and_saveexec_b64 s[4:5], s[2:3]
	s_xor_b64 s[2:3], exec, s[4:5]
	s_cbranch_execz .LBB25_765
; %bb.764:
	v_add_f32_e64 v6, |v18|, |v18|
	v_mul_f32_e32 v7, 0x3fb8aa3b, v6
	s_mov_b32 s1, 0x3fb8aa3b
	v_rndne_f32_e32 v8, v7
	v_sub_f32_e32 v9, v7, v8
	v_fma_f32 v7, v6, s1, -v7
	v_fmac_f32_e32 v7, 0x32a5705f, v6
	v_add_f32_e32 v7, v9, v7
	v_exp_f32_e32 v7, v7
	v_cvt_i32_f32_e32 v8, v8
	s_mov_b32 s1, 0xc2ce8ed0
	v_cmp_ngt_f32_e32 vcc, s1, v6
	s_mov_b32 s1, 0x42b17218
	v_ldexp_f32 v7, v7, v8
	v_cndmask_b32_e32 v7, 0, v7, vcc
	v_mov_b32_e32 v8, 0x7f800000
	v_cmp_nlt_f32_e32 vcc, s1, v6
	v_cndmask_b32_e32 v6, v8, v7, vcc
	v_add_f32_e32 v6, 1.0, v6
	v_rcp_f32_e32 v6, v6
	v_fma_f32 v6, v6, -2.0, 1.0
.LBB25_765:
	s_andn2_saveexec_b64 s[2:3], s[2:3]
; %bb.766:
	v_mul_f32_e32 v6, v18, v18
	v_mov_b32_e32 v7, 0x3ca908c9
	v_fmac_f32_e32 v7, 0xbbbac73d, v6
	v_mov_b32_e32 v8, 0xbd5c1c4e
	v_fmac_f32_e32 v8, v6, v7
	;; [unrolled: 2-line block ×4, first 2 shown]
	v_mul_f32_e64 v7, |v18|, v8
	v_fma_f32 v6, v6, v7, |v18|
; %bb.767:
	s_or_b64 exec, exec, s[2:3]
	s_mov_b32 s1, 0x3f200000
	v_cmp_nlt_f32_e64 s[2:3], |v19|, s1
                                        ; implicit-def: $vgpr7
	s_and_saveexec_b64 s[4:5], s[2:3]
	s_xor_b64 s[2:3], exec, s[4:5]
	s_cbranch_execz .LBB25_769
; %bb.768:
	v_add_f32_e64 v7, |v19|, |v19|
	v_mul_f32_e32 v8, 0x3fb8aa3b, v7
	s_mov_b32 s1, 0x3fb8aa3b
	v_rndne_f32_e32 v9, v8
	v_sub_f32_e32 v10, v8, v9
	v_fma_f32 v8, v7, s1, -v8
	v_fmac_f32_e32 v8, 0x32a5705f, v7
	v_add_f32_e32 v8, v10, v8
	v_exp_f32_e32 v8, v8
	v_cvt_i32_f32_e32 v9, v9
	s_mov_b32 s1, 0xc2ce8ed0
	v_cmp_ngt_f32_e32 vcc, s1, v7
	s_mov_b32 s1, 0x42b17218
	v_ldexp_f32 v8, v8, v9
	v_cndmask_b32_e32 v8, 0, v8, vcc
	v_mov_b32_e32 v9, 0x7f800000
	v_cmp_nlt_f32_e32 vcc, s1, v7
	v_cndmask_b32_e32 v7, v9, v8, vcc
	v_add_f32_e32 v7, 1.0, v7
	v_rcp_f32_e32 v7, v7
	v_fma_f32 v7, v7, -2.0, 1.0
.LBB25_769:
	s_andn2_saveexec_b64 s[2:3], s[2:3]
; %bb.770:
	v_mul_f32_e32 v7, v19, v19
	v_mov_b32_e32 v8, 0x3ca908c9
	v_fmac_f32_e32 v8, 0xbbbac73d, v7
	v_mov_b32_e32 v9, 0xbd5c1c4e
	v_fmac_f32_e32 v9, v7, v8
	;; [unrolled: 2-line block ×4, first 2 shown]
	v_mul_f32_e64 v8, |v19|, v9
	v_fma_f32 v7, v7, v8, |v19|
; %bb.771:
	s_or_b64 exec, exec, s[2:3]
	s_mov_b32 s1, 0x3f200000
	v_cmp_nlt_f32_e64 s[2:3], |v20|, s1
                                        ; implicit-def: $vgpr8
	s_and_saveexec_b64 s[4:5], s[2:3]
	s_xor_b64 s[2:3], exec, s[4:5]
	s_cbranch_execz .LBB25_773
; %bb.772:
	v_add_f32_e64 v8, |v20|, |v20|
	v_mul_f32_e32 v9, 0x3fb8aa3b, v8
	s_mov_b32 s1, 0x3fb8aa3b
	v_rndne_f32_e32 v10, v9
	v_sub_f32_e32 v11, v9, v10
	v_fma_f32 v9, v8, s1, -v9
	v_fmac_f32_e32 v9, 0x32a5705f, v8
	v_add_f32_e32 v9, v11, v9
	v_exp_f32_e32 v9, v9
	v_cvt_i32_f32_e32 v10, v10
	s_mov_b32 s1, 0xc2ce8ed0
	v_cmp_ngt_f32_e32 vcc, s1, v8
	s_mov_b32 s1, 0x42b17218
	v_ldexp_f32 v9, v9, v10
	v_cndmask_b32_e32 v9, 0, v9, vcc
	v_mov_b32_e32 v10, 0x7f800000
	v_cmp_nlt_f32_e32 vcc, s1, v8
	v_cndmask_b32_e32 v8, v10, v9, vcc
	v_add_f32_e32 v8, 1.0, v8
	v_rcp_f32_e32 v8, v8
	v_fma_f32 v8, v8, -2.0, 1.0
.LBB25_773:
	s_andn2_saveexec_b64 s[2:3], s[2:3]
; %bb.774:
	v_mul_f32_e32 v8, v20, v20
	v_mov_b32_e32 v9, 0x3ca908c9
	v_fmac_f32_e32 v9, 0xbbbac73d, v8
	v_mov_b32_e32 v10, 0xbd5c1c4e
	v_fmac_f32_e32 v10, v8, v9
	v_mov_b32_e32 v9, 0x3e088382
	v_fmac_f32_e32 v9, v8, v10
	v_mov_b32_e32 v10, 0xbeaaaa99
	v_fmac_f32_e32 v10, v8, v9
	v_mul_f32_e64 v9, |v20|, v10
	v_fma_f32 v8, v8, v9, |v20|
; %bb.775:
	s_or_b64 exec, exec, s[2:3]
	s_mov_b32 s1, 0x3f200000
	v_cmp_nlt_f32_e64 s[2:3], |v21|, s1
                                        ; implicit-def: $vgpr9
	s_and_saveexec_b64 s[4:5], s[2:3]
	s_xor_b64 s[2:3], exec, s[4:5]
	s_cbranch_execz .LBB25_777
; %bb.776:
	v_add_f32_e64 v9, |v21|, |v21|
	v_mul_f32_e32 v10, 0x3fb8aa3b, v9
	s_mov_b32 s1, 0x3fb8aa3b
	v_rndne_f32_e32 v11, v10
	v_sub_f32_e32 v12, v10, v11
	v_fma_f32 v10, v9, s1, -v10
	v_fmac_f32_e32 v10, 0x32a5705f, v9
	v_add_f32_e32 v10, v12, v10
	v_exp_f32_e32 v10, v10
	v_cvt_i32_f32_e32 v11, v11
	s_mov_b32 s1, 0xc2ce8ed0
	v_cmp_ngt_f32_e32 vcc, s1, v9
	s_mov_b32 s1, 0x42b17218
	v_ldexp_f32 v10, v10, v11
	v_cndmask_b32_e32 v10, 0, v10, vcc
	v_mov_b32_e32 v11, 0x7f800000
	v_cmp_nlt_f32_e32 vcc, s1, v9
	v_cndmask_b32_e32 v9, v11, v10, vcc
	v_add_f32_e32 v9, 1.0, v9
	v_rcp_f32_e32 v9, v9
	v_fma_f32 v9, v9, -2.0, 1.0
.LBB25_777:
	s_andn2_saveexec_b64 s[2:3], s[2:3]
; %bb.778:
	v_mul_f32_e32 v9, v21, v21
	v_mov_b32_e32 v10, 0x3ca908c9
	v_fmac_f32_e32 v10, 0xbbbac73d, v9
	v_mov_b32_e32 v11, 0xbd5c1c4e
	v_fmac_f32_e32 v11, v9, v10
	;; [unrolled: 2-line block ×4, first 2 shown]
	v_mul_f32_e64 v10, |v21|, v11
	v_fma_f32 v9, v9, v10, |v21|
; %bb.779:
	s_or_b64 exec, exec, s[2:3]
	s_mov_b32 s1, 0x3f200000
	v_cmp_nlt_f32_e64 s[2:3], |v22|, s1
                                        ; implicit-def: $vgpr10
	s_and_saveexec_b64 s[4:5], s[2:3]
	s_xor_b64 s[2:3], exec, s[4:5]
	s_cbranch_execz .LBB25_781
; %bb.780:
	v_add_f32_e64 v10, |v22|, |v22|
	v_mul_f32_e32 v11, 0x3fb8aa3b, v10
	s_mov_b32 s1, 0x3fb8aa3b
	v_rndne_f32_e32 v12, v11
	v_sub_f32_e32 v13, v11, v12
	v_fma_f32 v11, v10, s1, -v11
	v_fmac_f32_e32 v11, 0x32a5705f, v10
	v_add_f32_e32 v11, v13, v11
	v_exp_f32_e32 v11, v11
	v_cvt_i32_f32_e32 v12, v12
	s_mov_b32 s1, 0xc2ce8ed0
	v_cmp_ngt_f32_e32 vcc, s1, v10
	s_mov_b32 s1, 0x42b17218
	v_ldexp_f32 v11, v11, v12
	v_cndmask_b32_e32 v11, 0, v11, vcc
	v_mov_b32_e32 v12, 0x7f800000
	v_cmp_nlt_f32_e32 vcc, s1, v10
	v_cndmask_b32_e32 v10, v12, v11, vcc
	v_add_f32_e32 v10, 1.0, v10
	v_rcp_f32_e32 v10, v10
	v_fma_f32 v10, v10, -2.0, 1.0
.LBB25_781:
	s_andn2_saveexec_b64 s[2:3], s[2:3]
; %bb.782:
	v_mul_f32_e32 v10, v22, v22
	v_mov_b32_e32 v11, 0x3ca908c9
	v_fmac_f32_e32 v11, 0xbbbac73d, v10
	v_mov_b32_e32 v12, 0xbd5c1c4e
	v_fmac_f32_e32 v12, v10, v11
	;; [unrolled: 2-line block ×4, first 2 shown]
	v_mul_f32_e64 v11, |v22|, v12
	v_fma_f32 v10, v10, v11, |v22|
; %bb.783:
	s_or_b64 exec, exec, s[2:3]
	s_mov_b32 s1, 0x3f200000
	v_cmp_nlt_f32_e64 s[2:3], |v23|, s1
                                        ; implicit-def: $vgpr11
	s_and_saveexec_b64 s[4:5], s[2:3]
	s_xor_b64 s[2:3], exec, s[4:5]
	s_cbranch_execz .LBB25_785
; %bb.784:
	v_add_f32_e64 v11, |v23|, |v23|
	v_mul_f32_e32 v12, 0x3fb8aa3b, v11
	s_mov_b32 s1, 0x3fb8aa3b
	v_rndne_f32_e32 v13, v12
	v_sub_f32_e32 v14, v12, v13
	v_fma_f32 v12, v11, s1, -v12
	v_fmac_f32_e32 v12, 0x32a5705f, v11
	v_add_f32_e32 v12, v14, v12
	v_exp_f32_e32 v12, v12
	v_cvt_i32_f32_e32 v13, v13
	s_mov_b32 s1, 0xc2ce8ed0
	v_cmp_ngt_f32_e32 vcc, s1, v11
	s_mov_b32 s1, 0x42b17218
	v_ldexp_f32 v12, v12, v13
	v_cndmask_b32_e32 v12, 0, v12, vcc
	v_mov_b32_e32 v13, 0x7f800000
	v_cmp_nlt_f32_e32 vcc, s1, v11
	v_cndmask_b32_e32 v11, v13, v12, vcc
	v_add_f32_e32 v11, 1.0, v11
	v_rcp_f32_e32 v11, v11
	v_fma_f32 v11, v11, -2.0, 1.0
.LBB25_785:
	s_andn2_saveexec_b64 s[2:3], s[2:3]
; %bb.786:
	v_mul_f32_e32 v11, v23, v23
	v_mov_b32_e32 v12, 0x3ca908c9
	v_fmac_f32_e32 v12, 0xbbbac73d, v11
	v_mov_b32_e32 v13, 0xbd5c1c4e
	v_fmac_f32_e32 v13, v11, v12
	;; [unrolled: 2-line block ×4, first 2 shown]
	v_mul_f32_e64 v12, |v23|, v13
	v_fma_f32 v11, v11, v12, |v23|
; %bb.787:
	s_or_b64 exec, exec, s[2:3]
	s_mov_b32 s1, 0x3f200000
	v_cmp_nlt_f32_e64 s[2:3], |v24|, s1
                                        ; implicit-def: $vgpr12
	s_and_saveexec_b64 s[4:5], s[2:3]
	s_xor_b64 s[2:3], exec, s[4:5]
	s_cbranch_execz .LBB25_789
; %bb.788:
	v_add_f32_e64 v12, |v24|, |v24|
	v_mul_f32_e32 v13, 0x3fb8aa3b, v12
	s_mov_b32 s1, 0x3fb8aa3b
	v_rndne_f32_e32 v14, v13
	v_sub_f32_e32 v15, v13, v14
	v_fma_f32 v13, v12, s1, -v13
	v_fmac_f32_e32 v13, 0x32a5705f, v12
	v_add_f32_e32 v13, v15, v13
	v_exp_f32_e32 v13, v13
	v_cvt_i32_f32_e32 v14, v14
	s_mov_b32 s1, 0xc2ce8ed0
	v_cmp_ngt_f32_e32 vcc, s1, v12
	s_mov_b32 s1, 0x42b17218
	v_ldexp_f32 v13, v13, v14
	v_cndmask_b32_e32 v13, 0, v13, vcc
	v_mov_b32_e32 v14, 0x7f800000
	v_cmp_nlt_f32_e32 vcc, s1, v12
	v_cndmask_b32_e32 v12, v14, v13, vcc
	v_add_f32_e32 v12, 1.0, v12
	v_rcp_f32_e32 v12, v12
	v_fma_f32 v12, v12, -2.0, 1.0
.LBB25_789:
	s_andn2_saveexec_b64 s[2:3], s[2:3]
; %bb.790:
	v_mul_f32_e32 v12, v24, v24
	v_mov_b32_e32 v13, 0x3ca908c9
	v_fmac_f32_e32 v13, 0xbbbac73d, v12
	v_mov_b32_e32 v14, 0xbd5c1c4e
	v_fmac_f32_e32 v14, v12, v13
	v_mov_b32_e32 v13, 0x3e088382
	v_fmac_f32_e32 v13, v12, v14
	v_mov_b32_e32 v14, 0xbeaaaa99
	v_fmac_f32_e32 v14, v12, v13
	v_mul_f32_e64 v13, |v24|, v14
	v_fma_f32 v12, v12, v13, |v24|
; %bb.791:
	s_or_b64 exec, exec, s[2:3]
	s_mov_b32 s1, 0x3f200000
	v_cmp_nlt_f32_e64 s[2:3], |v25|, s1
                                        ; implicit-def: $vgpr13
	s_and_saveexec_b64 s[4:5], s[2:3]
	s_xor_b64 s[2:3], exec, s[4:5]
	s_cbranch_execz .LBB25_793
; %bb.792:
	v_add_f32_e64 v13, |v25|, |v25|
	v_mul_f32_e32 v14, 0x3fb8aa3b, v13
	s_mov_b32 s1, 0x3fb8aa3b
	v_rndne_f32_e32 v15, v14
	v_sub_f32_e32 v30, v14, v15
	v_fma_f32 v14, v13, s1, -v14
	v_fmac_f32_e32 v14, 0x32a5705f, v13
	v_add_f32_e32 v14, v30, v14
	v_exp_f32_e32 v14, v14
	v_cvt_i32_f32_e32 v15, v15
	s_mov_b32 s1, 0xc2ce8ed0
	v_cmp_ngt_f32_e32 vcc, s1, v13
	s_mov_b32 s1, 0x42b17218
	v_ldexp_f32 v14, v14, v15
	v_cndmask_b32_e32 v14, 0, v14, vcc
	v_mov_b32_e32 v15, 0x7f800000
	v_cmp_nlt_f32_e32 vcc, s1, v13
	v_cndmask_b32_e32 v13, v15, v14, vcc
	v_add_f32_e32 v13, 1.0, v13
	v_rcp_f32_e32 v13, v13
	v_fma_f32 v13, v13, -2.0, 1.0
.LBB25_793:
	s_andn2_saveexec_b64 s[2:3], s[2:3]
; %bb.794:
	v_mul_f32_e32 v13, v25, v25
	v_mov_b32_e32 v14, 0x3ca908c9
	v_fmac_f32_e32 v14, 0xbbbac73d, v13
	v_mov_b32_e32 v15, 0xbd5c1c4e
	v_fmac_f32_e32 v15, v13, v14
	;; [unrolled: 2-line block ×4, first 2 shown]
	v_mul_f32_e64 v14, |v25|, v15
	v_fma_f32 v13, v13, v14, |v25|
; %bb.795:
	s_or_b64 exec, exec, s[2:3]
	s_mov_b32 s1, 0x3f200000
	v_cmp_nlt_f32_e64 s[2:3], |v26|, s1
                                        ; implicit-def: $vgpr14
	s_and_saveexec_b64 s[4:5], s[2:3]
	s_xor_b64 s[2:3], exec, s[4:5]
	s_cbranch_execz .LBB25_797
; %bb.796:
	v_add_f32_e64 v14, |v26|, |v26|
	v_mul_f32_e32 v15, 0x3fb8aa3b, v14
	s_mov_b32 s1, 0x3fb8aa3b
	v_rndne_f32_e32 v30, v15
	v_sub_f32_e32 v31, v15, v30
	v_fma_f32 v15, v14, s1, -v15
	v_fmac_f32_e32 v15, 0x32a5705f, v14
	v_add_f32_e32 v15, v31, v15
	v_exp_f32_e32 v15, v15
	v_cvt_i32_f32_e32 v30, v30
	s_mov_b32 s1, 0xc2ce8ed0
	v_cmp_ngt_f32_e32 vcc, s1, v14
	s_mov_b32 s1, 0x42b17218
	v_ldexp_f32 v15, v15, v30
	v_cndmask_b32_e32 v15, 0, v15, vcc
	v_mov_b32_e32 v30, 0x7f800000
	v_cmp_nlt_f32_e32 vcc, s1, v14
	v_cndmask_b32_e32 v14, v30, v15, vcc
	v_add_f32_e32 v14, 1.0, v14
	v_rcp_f32_e32 v14, v14
	v_fma_f32 v14, v14, -2.0, 1.0
.LBB25_797:
	s_andn2_saveexec_b64 s[2:3], s[2:3]
; %bb.798:
	v_mul_f32_e32 v14, v26, v26
	v_mov_b32_e32 v15, 0x3ca908c9
	v_fmac_f32_e32 v15, 0xbbbac73d, v14
	v_mov_b32_e32 v30, 0xbd5c1c4e
	v_fmac_f32_e32 v30, v14, v15
	;; [unrolled: 2-line block ×4, first 2 shown]
	v_mul_f32_e64 v15, |v26|, v30
	v_fma_f32 v14, v14, v15, |v26|
; %bb.799:
	s_or_b64 exec, exec, s[2:3]
	s_mov_b32 s1, 0x3f200000
	v_cmp_nlt_f32_e64 s[2:3], |v27|, s1
                                        ; implicit-def: $vgpr15
	s_and_saveexec_b64 s[4:5], s[2:3]
	s_xor_b64 s[2:3], exec, s[4:5]
	s_cbranch_execz .LBB25_801
; %bb.800:
	v_add_f32_e64 v15, |v27|, |v27|
	v_mul_f32_e32 v30, 0x3fb8aa3b, v15
	s_mov_b32 s1, 0x3fb8aa3b
	v_rndne_f32_e32 v31, v30
	v_sub_f32_e32 v34, v30, v31
	v_fma_f32 v30, v15, s1, -v30
	v_fmac_f32_e32 v30, 0x32a5705f, v15
	v_add_f32_e32 v30, v34, v30
	v_exp_f32_e32 v30, v30
	v_cvt_i32_f32_e32 v31, v31
	s_mov_b32 s1, 0xc2ce8ed0
	v_cmp_ngt_f32_e32 vcc, s1, v15
	s_mov_b32 s1, 0x42b17218
	v_ldexp_f32 v30, v30, v31
	v_cndmask_b32_e32 v30, 0, v30, vcc
	v_mov_b32_e32 v31, 0x7f800000
	v_cmp_nlt_f32_e32 vcc, s1, v15
	v_cndmask_b32_e32 v15, v31, v30, vcc
	v_add_f32_e32 v15, 1.0, v15
	v_rcp_f32_e32 v15, v15
	v_fma_f32 v15, v15, -2.0, 1.0
.LBB25_801:
	s_andn2_saveexec_b64 s[2:3], s[2:3]
; %bb.802:
	v_mul_f32_e32 v15, v27, v27
	v_mov_b32_e32 v30, 0x3ca908c9
	v_fmac_f32_e32 v30, 0xbbbac73d, v15
	v_mov_b32_e32 v31, 0xbd5c1c4e
	v_fmac_f32_e32 v31, v15, v30
	;; [unrolled: 2-line block ×4, first 2 shown]
	v_mul_f32_e64 v30, |v27|, v31
	v_fma_f32 v15, v15, v30, |v27|
; %bb.803:
	s_or_b64 exec, exec, s[2:3]
	s_mov_b32 s1, 0x3f200000
	v_cmp_nlt_f32_e64 s[2:3], |v0|, s1
                                        ; implicit-def: $vgpr30
	s_and_saveexec_b64 s[4:5], s[2:3]
	s_xor_b64 s[2:3], exec, s[4:5]
	s_cbranch_execz .LBB25_805
; %bb.804:
	v_add_f32_e64 v30, |v0|, |v0|
	v_mul_f32_e32 v31, 0x3fb8aa3b, v30
	s_mov_b32 s1, 0x3fb8aa3b
	v_rndne_f32_e32 v34, v31
	v_sub_f32_e32 v39, v31, v34
	v_fma_f32 v31, v30, s1, -v31
	v_fmac_f32_e32 v31, 0x32a5705f, v30
	v_add_f32_e32 v31, v39, v31
	v_exp_f32_e32 v31, v31
	v_cvt_i32_f32_e32 v34, v34
	s_mov_b32 s1, 0xc2ce8ed0
	v_cmp_ngt_f32_e32 vcc, s1, v30
	s_mov_b32 s1, 0x42b17218
	v_ldexp_f32 v31, v31, v34
	v_cndmask_b32_e32 v31, 0, v31, vcc
	v_mov_b32_e32 v34, 0x7f800000
	v_cmp_nlt_f32_e32 vcc, s1, v30
	v_cndmask_b32_e32 v30, v34, v31, vcc
	v_add_f32_e32 v30, 1.0, v30
	v_rcp_f32_e32 v30, v30
	v_fma_f32 v30, v30, -2.0, 1.0
.LBB25_805:
	s_andn2_saveexec_b64 s[2:3], s[2:3]
; %bb.806:
	v_mul_f32_e32 v30, v0, v0
	v_mov_b32_e32 v31, 0x3ca908c9
	v_fmac_f32_e32 v31, 0xbbbac73d, v30
	v_mov_b32_e32 v34, 0xbd5c1c4e
	v_fmac_f32_e32 v34, v30, v31
	v_mov_b32_e32 v31, 0x3e088382
	v_fmac_f32_e32 v31, v30, v34
	v_mov_b32_e32 v34, 0xbeaaaa99
	v_fmac_f32_e32 v34, v30, v31
	v_mul_f32_e64 v31, |v0|, v34
	v_fma_f32 v30, v30, v31, |v0|
; %bb.807:
	s_or_b64 exec, exec, s[2:3]
	s_mov_b32 s1, 0x3f200000
	v_cmp_nlt_f32_e64 s[2:3], |v1|, s1
                                        ; implicit-def: $vgpr31
	s_and_saveexec_b64 s[4:5], s[2:3]
	s_xor_b64 s[2:3], exec, s[4:5]
	s_cbranch_execz .LBB25_809
; %bb.808:
	v_add_f32_e64 v31, |v1|, |v1|
	v_mul_f32_e32 v34, 0x3fb8aa3b, v31
	s_mov_b32 s1, 0x3fb8aa3b
	v_rndne_f32_e32 v39, v34
	v_sub_f32_e32 v40, v34, v39
	v_fma_f32 v34, v31, s1, -v34
	v_fmac_f32_e32 v34, 0x32a5705f, v31
	v_add_f32_e32 v34, v40, v34
	v_exp_f32_e32 v34, v34
	v_cvt_i32_f32_e32 v39, v39
	s_mov_b32 s1, 0xc2ce8ed0
	v_cmp_ngt_f32_e32 vcc, s1, v31
	s_mov_b32 s1, 0x42b17218
	v_ldexp_f32 v34, v34, v39
	v_cndmask_b32_e32 v34, 0, v34, vcc
	v_mov_b32_e32 v39, 0x7f800000
	v_cmp_nlt_f32_e32 vcc, s1, v31
	v_cndmask_b32_e32 v31, v39, v34, vcc
	v_add_f32_e32 v31, 1.0, v31
	v_rcp_f32_e32 v31, v31
	v_fma_f32 v31, v31, -2.0, 1.0
.LBB25_809:
	s_andn2_saveexec_b64 s[2:3], s[2:3]
; %bb.810:
	v_mul_f32_e32 v31, v1, v1
	v_mov_b32_e32 v34, 0x3ca908c9
	v_fmac_f32_e32 v34, 0xbbbac73d, v31
	v_mov_b32_e32 v39, 0xbd5c1c4e
	v_fmac_f32_e32 v39, v31, v34
	;; [unrolled: 2-line block ×4, first 2 shown]
	v_mul_f32_e64 v34, |v1|, v39
	v_fma_f32 v31, v31, v34, |v1|
; %bb.811:
	s_or_b64 exec, exec, s[2:3]
	s_mov_b32 s1, 0x3f200000
	v_cmp_nlt_f32_e64 s[2:3], |v2|, s1
                                        ; implicit-def: $vgpr34
	s_and_saveexec_b64 s[4:5], s[2:3]
	s_xor_b64 s[2:3], exec, s[4:5]
	s_cbranch_execz .LBB25_813
; %bb.812:
	v_add_f32_e64 v34, |v2|, |v2|
	v_mul_f32_e32 v39, 0x3fb8aa3b, v34
	s_mov_b32 s1, 0x3fb8aa3b
	v_rndne_f32_e32 v40, v39
	v_sub_f32_e32 v41, v39, v40
	v_fma_f32 v39, v34, s1, -v39
	v_fmac_f32_e32 v39, 0x32a5705f, v34
	v_add_f32_e32 v39, v41, v39
	v_exp_f32_e32 v39, v39
	v_cvt_i32_f32_e32 v40, v40
	s_mov_b32 s1, 0xc2ce8ed0
	v_cmp_ngt_f32_e32 vcc, s1, v34
	s_mov_b32 s1, 0x42b17218
	v_ldexp_f32 v39, v39, v40
	v_cndmask_b32_e32 v39, 0, v39, vcc
	v_mov_b32_e32 v40, 0x7f800000
	v_cmp_nlt_f32_e32 vcc, s1, v34
	v_cndmask_b32_e32 v34, v40, v39, vcc
	v_add_f32_e32 v34, 1.0, v34
	v_rcp_f32_e32 v34, v34
	v_fma_f32 v34, v34, -2.0, 1.0
.LBB25_813:
	s_andn2_saveexec_b64 s[2:3], s[2:3]
; %bb.814:
	v_mul_f32_e32 v34, v2, v2
	v_mov_b32_e32 v39, 0x3ca908c9
	v_fmac_f32_e32 v39, 0xbbbac73d, v34
	v_mov_b32_e32 v40, 0xbd5c1c4e
	v_fmac_f32_e32 v40, v34, v39
	;; [unrolled: 2-line block ×4, first 2 shown]
	v_mul_f32_e64 v39, |v2|, v40
	v_fma_f32 v34, v34, v39, |v2|
; %bb.815:
	s_or_b64 exec, exec, s[2:3]
	s_mov_b32 s1, 0x3f200000
	v_cmp_nlt_f32_e64 s[2:3], |v3|, s1
                                        ; implicit-def: $vgpr39
	s_and_saveexec_b64 s[4:5], s[2:3]
	s_xor_b64 s[2:3], exec, s[4:5]
	s_cbranch_execz .LBB25_817
; %bb.816:
	v_add_f32_e64 v39, |v3|, |v3|
	v_mul_f32_e32 v40, 0x3fb8aa3b, v39
	s_mov_b32 s1, 0x3fb8aa3b
	v_rndne_f32_e32 v41, v40
	v_sub_f32_e32 v42, v40, v41
	v_fma_f32 v40, v39, s1, -v40
	v_fmac_f32_e32 v40, 0x32a5705f, v39
	v_add_f32_e32 v40, v42, v40
	v_exp_f32_e32 v40, v40
	v_cvt_i32_f32_e32 v41, v41
	s_mov_b32 s1, 0xc2ce8ed0
	v_cmp_ngt_f32_e32 vcc, s1, v39
	s_mov_b32 s1, 0x42b17218
	v_ldexp_f32 v40, v40, v41
	v_cndmask_b32_e32 v40, 0, v40, vcc
	v_mov_b32_e32 v41, 0x7f800000
	v_cmp_nlt_f32_e32 vcc, s1, v39
	v_cndmask_b32_e32 v39, v41, v40, vcc
	v_add_f32_e32 v39, 1.0, v39
	v_rcp_f32_e32 v39, v39
	v_fma_f32 v39, v39, -2.0, 1.0
.LBB25_817:
	s_andn2_saveexec_b64 s[2:3], s[2:3]
; %bb.818:
	v_mul_f32_e32 v39, v3, v3
	v_mov_b32_e32 v40, 0x3ca908c9
	v_fmac_f32_e32 v40, 0xbbbac73d, v39
	v_mov_b32_e32 v41, 0xbd5c1c4e
	v_fmac_f32_e32 v41, v39, v40
	;; [unrolled: 2-line block ×4, first 2 shown]
	v_mul_f32_e64 v40, |v3|, v41
	v_fma_f32 v39, v39, v40, |v3|
; %bb.819:
	s_or_b64 exec, exec, s[2:3]
	s_brev_b32 s1, -2
	v_bfi_b32 v30, s1, v30, v0
	v_bfi_b32 v0, s1, v34, v2
	v_and_or_b32 v2, v64, 12, v98
	v_bfi_b32 v31, s1, v31, v1
	v_bfi_b32 v1, s1, v39, v3
	v_bfi_b32 v15, s1, v15, v27
	v_bfi_b32 v14, s1, v14, v26
	v_bfi_b32 v13, s1, v13, v25
	v_bfi_b32 v12, s1, v12, v24
	v_bfi_b32 v11, s1, v11, v23
	v_bfi_b32 v10, s1, v10, v22
	v_bfi_b32 v9, s1, v9, v21
	v_bfi_b32 v8, s1, v8, v20
	v_bfi_b32 v7, s1, v7, v19
	v_bfi_b32 v6, s1, v6, v18
	v_bfi_b32 v17, s1, v5, v17
	v_bfi_b32 v16, s1, v4, v16
	v_lshrrev_b32_e32 v2, 2, v2
	s_movk_i32 s1, 0x90
	v_and_b32_e32 v5, 0xfc, v69
	v_mad_u32_u24 v2, v2, s1, 0
	v_lshl_add_u32 v3, v5, 1, v2
	v_add_u32_e32 v2, v2, v99
	v_add_u32_e32 v20, 0x4440, v3
	;; [unrolled: 1-line block ×3, first 2 shown]
	ds_read_b32 v26, v3 offset:17408
	ds_read_b32 v27, v2 offset:17408
	ds_read2_b32 v[18:19], v4 offset1:1
	ds_read2_b32 v[20:21], v20 offset1:1
	v_add_u32_e32 v2, 0x4460, v3
	ds_read2_b32 v[2:3], v2 offset1:1
	v_mbcnt_hi_u32_b32 v4, -1, v86
	v_and_b32_e32 v22, 64, v4
	v_add_u32_e32 v34, 64, v22
	v_xor_b32_e32 v22, 32, v4
	v_cmp_lt_i32_e32 vcc, v22, v34
	v_cndmask_b32_e32 v24, v4, v22, vcc
	s_waitcnt lgkmcnt(0)
	v_cvt_f32_f16_e32 v22, v3
	v_cvt_f32_f16_sdwa v23, v3 dst_sel:DWORD dst_unused:UNUSED_PAD src0_sel:WORD_1
	v_lshlrev_b32_e32 v39, 2, v24
	v_cvt_f32_f16_e32 v24, v2
	v_cvt_f32_f16_sdwa v25, v2 dst_sel:DWORD dst_unused:UNUSED_PAD src0_sel:WORD_1
	v_pk_fma_f32 v[0:1], v[0:1], s[36:37], v[22:23] op_sel_hi:[1,0,1]
	v_cvt_f32_f16_e32 v22, v21
	v_cvt_f32_f16_sdwa v23, v21 dst_sel:DWORD dst_unused:UNUSED_PAD src0_sel:WORD_1
	v_pk_fma_f32 v[2:3], v[30:31], s[36:37], v[24:25] op_sel_hi:[1,0,1]
	v_cvt_f32_f16_e32 v24, v20
	v_cvt_f32_f16_sdwa v25, v20 dst_sel:DWORD dst_unused:UNUSED_PAD src0_sel:WORD_1
	v_cvt_f32_f16_e32 v20, v19
	v_cvt_f32_f16_sdwa v21, v19 dst_sel:DWORD dst_unused:UNUSED_PAD src0_sel:WORD_1
	v_pk_fma_f32 v[14:15], v[14:15], s[36:37], v[22:23] op_sel_hi:[1,0,1]
	v_cvt_f32_f16_e32 v22, v18
	v_cvt_f32_f16_sdwa v23, v18 dst_sel:DWORD dst_unused:UNUSED_PAD src0_sel:WORD_1
	v_pk_fma_f32 v[10:11], v[10:11], s[36:37], v[20:21] op_sel_hi:[1,0,1]
	v_cvt_f32_f16_e32 v20, v26
	v_cvt_f32_f16_sdwa v21, v26 dst_sel:DWORD dst_unused:UNUSED_PAD src0_sel:WORD_1
	v_cvt_f32_f16_e32 v18, v27
	v_cvt_f32_f16_sdwa v19, v27 dst_sel:DWORD dst_unused:UNUSED_PAD src0_sel:WORD_1
	v_pk_fma_f32 v[8:9], v[8:9], s[36:37], v[22:23] op_sel_hi:[1,0,1]
	v_pk_fma_f32 v[16:17], v[16:17], s[36:37], v[20:21] op_sel_hi:[1,0,1]
	v_add_f32_e32 v20, 0x40051340, v16
	v_pk_fma_f32 v[6:7], v[6:7], s[36:37], v[18:19] op_sel_hi:[1,0,1]
	v_add_f32_e32 v21, 0x40051340, v17
	v_add_f32_e32 v18, 0x40051340, v6
	;; [unrolled: 1-line block ×3, first 2 shown]
	v_max3_f32 v20, v32, v20, v21
	v_add_f32_e32 v22, 0x40051340, v8
	v_add_f32_e32 v23, 0x40051340, v9
	v_max3_f32 v18, v20, v18, v19
	v_pk_fma_f32 v[12:13], v[12:13], s[36:37], v[24:25] op_sel_hi:[1,0,1]
	v_add_f32_e32 v44, 0x40051340, v10
	v_add_f32_e32 v45, 0x40051340, v11
	v_max3_f32 v18, v18, v22, v23
	v_add_f32_e32 v24, 0x40051340, v12
	v_add_f32_e32 v25, 0x40051340, v13
	v_max3_f32 v18, v18, v44, v45
	;; [unrolled: 3-line block ×5, first 2 shown]
	v_max3_f32 v18, v18, v40, v41
	ds_bpermute_b32 v19, v39, v18
	v_xor_b32_e32 v20, 16, v4
	v_cmp_lt_i32_e32 vcc, v20, v34
	v_cndmask_b32_e32 v4, v4, v20, vcc
	v_lshlrev_b32_e32 v40, 2, v4
	s_waitcnt lgkmcnt(0)
	v_max_f32_e32 v4, v19, v19
	v_max_f32_e32 v4, v18, v4
	ds_bpermute_b32 v18, v40, v4
	s_mov_b32 s3, 0x3fb8aa3b
	s_mov_b32 s1, 0xc2ce8ed0
	;; [unrolled: 1-line block ×3, first 2 shown]
	v_mov_b32_e32 v30, 0x7f800000
	s_waitcnt lgkmcnt(0)
	v_max_f32_e32 v18, v18, v18
	v_max_f32_e32 v34, v4, v18
	v_pk_add_f32 v[16:17], v[16:17], v[34:35] op_sel_hi:[1,0] neg_lo:[0,1] neg_hi:[0,1]
	v_mul_f32_e32 v4, 0x3fb8aa3b, v17
	v_fma_f32 v18, v17, s3, -v4
	v_rndne_f32_e32 v19, v4
	v_fmac_f32_e32 v18, 0x32a5705f, v17
	v_sub_f32_e32 v4, v4, v19
	v_add_f32_e32 v4, v4, v18
	v_exp_f32_e32 v4, v4
	v_cvt_i32_f32_e32 v18, v19
	v_cmp_ngt_f32_e32 vcc, s1, v17
	v_pk_add_f32 v[6:7], v[6:7], v[34:35] op_sel_hi:[1,0] neg_lo:[0,1] neg_hi:[0,1]
	v_pk_add_f32 v[8:9], v[8:9], v[34:35] op_sel_hi:[1,0] neg_lo:[0,1] neg_hi:[0,1]
	v_ldexp_f32 v4, v4, v18
	v_mul_f32_e32 v18, 0x3fb8aa3b, v16
	v_fma_f32 v19, v16, s3, -v18
	v_rndne_f32_e32 v20, v18
	v_fmac_f32_e32 v19, 0x32a5705f, v16
	v_sub_f32_e32 v18, v18, v20
	v_add_f32_e32 v18, v18, v19
	v_exp_f32_e32 v18, v18
	v_cvt_i32_f32_e32 v19, v20
	v_cndmask_b32_e32 v4, 0, v4, vcc
	v_cmp_nlt_f32_e32 vcc, s2, v17
	v_mul_f32_e32 v17, 0x3fb8aa3b, v7
	v_cndmask_b32_e32 v24, v30, v4, vcc
	v_ldexp_f32 v4, v18, v19
	v_fma_f32 v18, v7, s3, -v17
	v_rndne_f32_e32 v19, v17
	v_fmac_f32_e32 v18, 0x32a5705f, v7
	v_sub_f32_e32 v17, v17, v19
	v_add_f32_e32 v17, v17, v18
	v_exp_f32_e32 v17, v17
	v_cvt_i32_f32_e32 v18, v19
	v_cmp_ngt_f32_e32 vcc, s1, v16
	v_cndmask_b32_e32 v4, 0, v4, vcc
	v_cmp_nlt_f32_e32 vcc, s2, v16
	v_mul_f32_e32 v16, 0x3fb8aa3b, v6
	v_cndmask_b32_e32 v25, v30, v4, vcc
	v_ldexp_f32 v4, v17, v18
	v_fma_f32 v17, v6, s3, -v16
	v_rndne_f32_e32 v18, v16
	v_fmac_f32_e32 v17, 0x32a5705f, v6
	v_sub_f32_e32 v16, v16, v18
	v_add_f32_e32 v16, v16, v17
	v_exp_f32_e32 v16, v16
	v_cvt_i32_f32_e32 v17, v18
	v_cmp_ngt_f32_e32 vcc, s1, v7
	;; [unrolled: 13-line block ×4, first 2 shown]
	v_cndmask_b32_e32 v4, 0, v4, vcc
	v_cmp_nlt_f32_e32 vcc, s2, v9
	v_cndmask_b32_e32 v41, v30, v4, vcc
	v_ldexp_f32 v4, v6, v7
	v_pk_add_f32 v[6:7], v[10:11], v[34:35] op_sel_hi:[1,0] neg_lo:[0,1] neg_hi:[0,1]
	v_mul_f32_e32 v9, 0x3fb8aa3b, v7
	v_fma_f32 v10, v7, s3, -v9
	v_rndne_f32_e32 v11, v9
	v_fmac_f32_e32 v10, 0x32a5705f, v7
	v_sub_f32_e32 v9, v9, v11
	v_add_f32_e32 v9, v9, v10
	v_exp_f32_e32 v9, v9
	v_cvt_i32_f32_e32 v10, v11
	v_cmp_ngt_f32_e32 vcc, s1, v8
	v_cndmask_b32_e32 v4, 0, v4, vcc
	v_cmp_nlt_f32_e32 vcc, s2, v8
	v_mul_f32_e32 v8, 0x3fb8aa3b, v6
	v_cndmask_b32_e32 v43, v30, v4, vcc
	v_ldexp_f32 v4, v9, v10
	v_fma_f32 v9, v6, s3, -v8
	v_rndne_f32_e32 v10, v8
	v_fmac_f32_e32 v9, 0x32a5705f, v6
	v_sub_f32_e32 v8, v8, v10
	v_add_f32_e32 v8, v8, v9
	v_exp_f32_e32 v8, v8
	v_cvt_i32_f32_e32 v9, v10
	v_cmp_ngt_f32_e32 vcc, s1, v7
	v_cndmask_b32_e32 v4, 0, v4, vcc
	v_cmp_nlt_f32_e32 vcc, s2, v7
	v_cndmask_b32_e32 v42, v30, v4, vcc
	v_ldexp_f32 v4, v8, v9
	v_pk_add_f32 v[8:9], v[12:13], v[34:35] op_sel_hi:[1,0] neg_lo:[0,1] neg_hi:[0,1]
	v_mul_f32_e32 v7, 0x3fb8aa3b, v9
	v_fma_f32 v10, v9, s3, -v7
	v_rndne_f32_e32 v11, v7
	v_fmac_f32_e32 v10, 0x32a5705f, v9
	v_sub_f32_e32 v7, v7, v11
	v_add_f32_e32 v7, v7, v10
	v_exp_f32_e32 v7, v7
	v_cvt_i32_f32_e32 v10, v11
	v_cmp_ngt_f32_e32 vcc, s1, v6
	v_cndmask_b32_e32 v4, 0, v4, vcc
	v_cmp_nlt_f32_e32 vcc, s2, v6
	v_mul_f32_e32 v6, 0x3fb8aa3b, v8
	v_cndmask_b32_e32 v44, v30, v4, vcc
	v_ldexp_f32 v4, v7, v10
	v_fma_f32 v7, v8, s3, -v6
	v_rndne_f32_e32 v10, v6
	v_fmac_f32_e32 v7, 0x32a5705f, v8
	v_sub_f32_e32 v6, v6, v10
	v_add_f32_e32 v6, v6, v7
	v_exp_f32_e32 v6, v6
	v_cvt_i32_f32_e32 v7, v10
	v_cmp_ngt_f32_e32 vcc, s1, v9
	;; [unrolled: 27-line block ×3, first 2 shown]
	v_pk_add_f32 v[2:3], v[2:3], v[34:35] op_sel_hi:[1,0] neg_lo:[0,1] neg_hi:[0,1]
	v_cndmask_b32_e32 v4, 0, v4, vcc
	v_cmp_nlt_f32_e32 vcc, s2, v7
	v_mul_f32_e32 v7, 0x3fb8aa3b, v3
	v_cndmask_b32_e32 v47, v30, v4, vcc
	v_ldexp_f32 v4, v8, v9
	v_fma_f32 v8, v3, s3, -v7
	v_rndne_f32_e32 v9, v7
	v_fmac_f32_e32 v8, 0x32a5705f, v3
	v_sub_f32_e32 v7, v7, v9
	v_add_f32_e32 v7, v7, v8
	v_exp_f32_e32 v7, v7
	v_cvt_i32_f32_e32 v8, v9
	v_cmp_ngt_f32_e32 vcc, s1, v6
	v_cndmask_b32_e32 v4, 0, v4, vcc
	v_cmp_nlt_f32_e32 vcc, s2, v6
	v_mul_f32_e32 v6, 0x3fb8aa3b, v2
	v_cndmask_b32_e32 v48, v30, v4, vcc
	v_ldexp_f32 v4, v7, v8
	v_fma_f32 v7, v2, s3, -v6
	v_rndne_f32_e32 v31, v6
	v_fmac_f32_e32 v7, 0x32a5705f, v2
	v_sub_f32_e32 v6, v6, v31
	v_add_f32_e32 v6, v6, v7
	s_mul_hi_i32 s5, s0, s26
	s_mul_i32 s4, s0, s26
	v_exp_f32_e32 v50, v6
	s_lshl_b64 s[4:5], s[4:5], 2
	v_mul_lo_u32 v6, v70, s26
	s_add_u32 s0, s7, s4
	v_ashrrev_i32_e32 v7, 31, v6
	s_addc_u32 s4, s8, s5
	v_lshlrev_b64 v[6:7], 2, v[6:7]
	v_mov_b32_e32 v8, s4
	v_add_co_u32_e32 v6, vcc, s0, v6
	v_addc_co_u32_e32 v7, vcc, v8, v7, vcc
	v_mul_lo_u32 v8, v71, s26
	v_add_co_u32_e32 v6, vcc, v6, v28
	v_ashrrev_i32_e32 v9, 31, v8
	v_addc_co_u32_e32 v7, vcc, v7, v29, vcc
	v_lshlrev_b64 v[8:9], 2, v[8:9]
	v_mov_b32_e32 v10, s4
	v_add_co_u32_e32 v8, vcc, s0, v8
	v_addc_co_u32_e32 v9, vcc, v10, v9, vcc
	v_mul_lo_u32 v10, v72, s26
	v_add_co_u32_e32 v8, vcc, v8, v28
	v_ashrrev_i32_e32 v11, 31, v10
	v_addc_co_u32_e32 v9, vcc, v9, v29, vcc
	v_lshlrev_b64 v[10:11], 2, v[10:11]
	v_mov_b32_e32 v12, s4
	v_add_co_u32_e32 v10, vcc, s0, v10
	v_addc_co_u32_e32 v11, vcc, v12, v11, vcc
	v_add_co_u32_e32 v22, vcc, v10, v28
	v_mul_lo_u32 v10, v73, s26
	v_addc_co_u32_e32 v23, vcc, v11, v29, vcc
	v_ashrrev_i32_e32 v11, 31, v10
	v_lshlrev_b64 v[10:11], 2, v[10:11]
	v_add_co_u32_e32 v10, vcc, s0, v10
	v_addc_co_u32_e32 v11, vcc, v12, v11, vcc
	v_add_co_u32_e32 v28, vcc, v10, v28
	v_addc_co_u32_e32 v29, vcc, v11, v29, vcc
	global_load_dwordx4 v[10:13], v[6:7], off
	global_load_dwordx4 v[14:17], v[8:9], off
	;; [unrolled: 1-line block ×4, first 2 shown]
	v_cvt_i32_f32_e32 v6, v31
	v_cmp_ngt_f32_e32 vcc, s1, v3
	v_cndmask_b32_e32 v4, 0, v4, vcc
	v_cmp_nlt_f32_e32 vcc, s2, v3
	v_pk_add_f32 v[0:1], v[0:1], v[34:35] op_sel_hi:[1,0] neg_lo:[0,1] neg_hi:[0,1]
	v_cndmask_b32_e32 v49, v30, v4, vcc
	v_mul_f32_e32 v4, 0x3fb8aa3b, v1
	v_ldexp_f32 v3, v50, v6
	v_fma_f32 v6, v1, s3, -v4
	v_rndne_f32_e32 v7, v4
	v_fmac_f32_e32 v6, 0x32a5705f, v1
	v_sub_f32_e32 v4, v4, v7
	v_add_f32_e32 v4, v4, v6
	v_exp_f32_e32 v4, v4
	v_cvt_i32_f32_e32 v6, v7
	v_cmp_ngt_f32_e32 vcc, s1, v2
	v_cndmask_b32_e32 v3, 0, v3, vcc
	v_cmp_nlt_f32_e32 vcc, s2, v2
	v_cndmask_b32_e32 v50, v30, v3, vcc
	v_mul_f32_e32 v3, 0x3fb8aa3b, v0
	v_ldexp_f32 v2, v4, v6
	v_fma_f32 v4, v0, s3, -v3
	v_rndne_f32_e32 v6, v3
	v_fmac_f32_e32 v4, 0x32a5705f, v0
	v_sub_f32_e32 v3, v3, v6
	v_add_f32_e32 v3, v3, v4
	v_cvt_i32_f32_e32 v4, v6
	v_sub_f32_e32 v6, v32, v34
	v_mul_f32_e32 v7, 0x3fb8aa3b, v6
	v_fma_f32 v8, v6, s3, -v7
	v_rndne_f32_e32 v9, v7
	v_fmac_f32_e32 v8, 0x32a5705f, v6
	v_sub_f32_e32 v7, v7, v9
	v_add_f32_e32 v7, v7, v8
	v_exp_f32_e32 v7, v7
	v_cvt_i32_f32_e32 v8, v9
	v_cmp_ngt_f32_e32 vcc, s1, v1
	v_cndmask_b32_e32 v2, 0, v2, vcc
	v_exp_f32_e32 v3, v3
	v_cmp_nlt_f32_e32 vcc, s2, v1
	v_cndmask_b32_e32 v51, v30, v2, vcc
	v_ldexp_f32 v2, v7, v8
	v_cmp_ngt_f32_e32 vcc, s1, v6
	v_cndmask_b32_e32 v2, 0, v2, vcc
	v_cmp_nlt_f32_e32 vcc, s2, v6
	s_mov_b32 s0, 0xc1a00000
	v_cndmask_b32_e32 v2, v30, v2, vcc
	v_cmp_le_f32_e32 vcc, s0, v6
	v_ldexp_f32 v1, v3, v4
	v_cndmask_b32_e32 v52, 0, v2, vcc
	v_cmp_ngt_f32_e32 vcc, s1, v0
	v_cndmask_b32_e32 v1, 0, v1, vcc
	v_cmp_nlt_f32_e32 vcc, s2, v0
	v_cvt_f16_f32_e32 v0, v24
	v_cvt_f16_f32_e32 v2, v25
	;; [unrolled: 1-line block ×9, first 2 shown]
	v_cndmask_b32_e32 v53, v30, v1, vcc
	v_pack_b32_f16 v30, v2, v0
	v_mul_u32_u24_e32 v0, 0x88, v5
	v_mul_u32_u24_e32 v2, 0x110, v5
	v_or_b32_e32 v5, 3, v69
	v_pack_b32_f16 v31, v7, v6
	v_or_b32_e32 v0, v0, v33
	v_mul_u32_u24_e32 v7, 0x110, v5
	v_add3_u32 v5, 0, v2, v68
	v_pack_b32_f16 v28, v9, v8
	s_waitcnt vmcnt(3)
	ds_write_b128 v35, v[10:13]
	s_waitcnt vmcnt(2)
	ds_write_b128 v36, v[14:17]
	s_waitcnt vmcnt(1)
	ds_write_b128 v37, v[18:21]
	s_waitcnt vmcnt(0)
	ds_write_b128 v38, v[56:59]
	s_waitcnt lgkmcnt(0)
	s_barrier
	v_lshl_add_u32 v6, v0, 1, 0
	v_add3_u32 v7, 0, v7, v68
	s_mov_b32 s0, 0x5040100
	ds_read_u16 v11, v5 offset:544
	ds_read_u16 v8, v5 offset:576
	;; [unrolled: 1-line block ×8, first 2 shown]
	ds_read_u16 v13, v7
	ds_read_u16 v17, v7 offset:32
	ds_read_u16 v18, v7 offset:64
	;; [unrolled: 1-line block ×7, first 2 shown]
	v_pack_b32_f16 v29, v23, v22
	s_waitcnt lgkmcnt(7)
	v_perm_b32 v15, v13, v11, s0
	ds_read_u16 v11, v6
	ds_read_u16 v13, v6 offset:32
	ds_read_u16 v22, v6 offset:64
	;; [unrolled: 1-line block ×15, first 2 shown]
	v_pk_mul_f16 v1, v54, v106 op_sel_hi:[0,1]
	v_pk_mul_f16 v3, v54, v105 op_sel_hi:[0,1]
	s_waitcnt lgkmcnt(7)
	v_perm_b32 v14, v14, v11, s0
	v_cvt_f32_f16_e32 v0, v1
	v_cvt_f32_f16_sdwa v1, v1 dst_sel:DWORD dst_unused:UNUSED_PAD src0_sel:WORD_1
	v_cvt_f32_f16_e32 v2, v3
	v_cvt_f32_f16_sdwa v3, v3 dst_sel:DWORD dst_unused:UNUSED_PAD src0_sel:WORD_1
	v_pk_mul_f16 v4, v54, v109 op_sel_hi:[0,1]
	v_cvt_f16_f32_e32 v9, v45
	v_mfma_f32_16x16x16f16 v[0:3], v[14:15], v[30:31], v[0:3]
	ds_read_u16 v14, v5 offset:4896
	ds_read_u16 v86, v5 offset:4928
	ds_read_u16 v99, v5 offset:4960
	ds_read_u16 v105, v5 offset:4992
	ds_read_u16 v106, v5 offset:5024
	ds_read_u16 v107, v5 offset:5056
	ds_read_u16 v108, v5 offset:5088
	ds_read_u16 v109, v5 offset:5120
	ds_read_u16 v15, v7 offset:4352
	ds_read_u16 v110, v7 offset:4384
	ds_read_u16 v111, v7 offset:4416
	ds_read_u16 v112, v7 offset:4448
	ds_read_u16 v113, v7 offset:4480
	ds_read_u16 v114, v7 offset:4512
	ds_read_u16 v115, v7 offset:4544
	ds_read_u16 v116, v7 offset:4576
	s_waitcnt lgkmcnt(7)
	v_perm_b32 v15, v15, v14, s0
	ds_read_u16 v14, v6 offset:4352
	ds_read_u16 v117, v6 offset:4384
	;; [unrolled: 1-line block ×16, first 2 shown]
	s_waitcnt lgkmcnt(7)
	v_perm_b32 v14, v32, v14, s0
	v_cvt_f16_f32_e32 v11, v46
	v_cvt_f16_f32_e32 v33, v47
	;; [unrolled: 1-line block ×7, first 2 shown]
	v_cvt_f32_f16_e32 v0, v0
	v_cvt_f32_f16_e32 v1, v1
	v_cvt_f32_f16_e32 v2, v2
	v_cvt_f32_f16_e32 v3, v3
	v_pack_b32_f16 v32, v11, v9
	v_pack_b32_f16 v33, v36, v33
	v_mfma_f32_16x16x16f16 v[0:3], v[14:15], v[28:29], v[0:3]
	ds_read_u16 v11, v5 offset:9248
	ds_read_u16 v132, v5 offset:9280
	;; [unrolled: 1-line block ×16, first 2 shown]
	s_waitcnt lgkmcnt(7)
	v_perm_b32 v15, v14, v11, s0
	ds_read_u16 v11, v6 offset:8704
	ds_read_u16 v146, v6 offset:8736
	;; [unrolled: 1-line block ×16, first 2 shown]
	s_waitcnt lgkmcnt(7)
	v_perm_b32 v14, v14, v11, s0
	v_cvt_f16_f32_e32 v37, v51
	v_cvt_f16_f32_e32 v56, v53
	v_cvt_f16_f32_e32 v9, v49
	v_cvt_f16_f32_e32 v0, v0
	v_cvt_f16_f32_e32 v1, v1
	v_cvt_f16_f32_e32 v2, v2
	v_cvt_f16_f32_e32 v3, v3
	v_cvt_f32_f16_e32 v0, v0
	v_cvt_f32_f16_e32 v1, v1
	;; [unrolled: 1-line block ×4, first 2 shown]
	v_cvt_f16_f32_e32 v11, v50
	v_pack_b32_f16 v37, v56, v37
	v_mfma_f32_16x16x16f16 v[0:3], v[14:15], v[32:33], v[0:3]
	ds_read_u16 v14, v5 offset:13600
	ds_read_u16 v15, v5 offset:13632
	;; [unrolled: 1-line block ×16, first 2 shown]
	s_waitcnt lgkmcnt(7)
	v_perm_b32 v7, v36, v14, s0
	ds_read_u16 v14, v6 offset:13056
	ds_read_u16 v173, v6 offset:13088
	;; [unrolled: 1-line block ×16, first 2 shown]
	s_waitcnt lgkmcnt(7)
	v_perm_b32 v6, v6, v14, s0
	v_pk_mul_f16 v14, v54, v100 op_sel_hi:[0,1]
	v_cvt_f32_f16_e32 v56, v4
	v_cvt_f32_f16_sdwa v57, v4 dst_sel:DWORD dst_unused:UNUSED_PAD src0_sel:WORD_1
	v_cvt_f16_f32_e32 v0, v0
	v_cvt_f16_f32_e32 v1, v1
	;; [unrolled: 1-line block ×4, first 2 shown]
	v_perm_b32 v5, v17, v8, s0
	v_perm_b32 v4, v59, v13, s0
	v_cvt_f32_f16_e32 v0, v0
	v_cvt_f32_f16_e32 v1, v1
	;; [unrolled: 1-line block ×5, first 2 shown]
	v_cvt_f32_f16_sdwa v59, v14 dst_sel:DWORD dst_unused:UNUSED_PAD src0_sel:WORD_1
	v_pack_b32_f16 v36, v11, v9
	v_perm_b32 v9, v110, v86, s0
	v_perm_b32 v8, v125, v117, s0
	v_mfma_f32_16x16x16f16 v[0:3], v[6:7], v[36:37], v[0:3]
	v_pk_mul_f16 v11, v54, v84 op_sel_hi:[0,1]
	v_pk_mul_f16 v13, v54, v82 op_sel_hi:[0,1]
	v_perm_b32 v14, v126, v118, s0
	v_pk_mul_f16 v17, v54, v78 op_sel_hi:[0,1]
	s_mov_b32 s1, 0
	v_cmp_gt_u32_e32 vcc, 16, v64
	s_waitcnt lgkmcnt(0)
	v_mfma_f32_16x16x16f16 v[4:7], v[4:5], v[30:31], v[56:59]
	s_barrier
	s_barrier
	s_nop 4
	v_cvt_f32_f16_e32 v56, v11
	v_cvt_f32_f16_sdwa v57, v11 dst_sel:DWORD dst_unused:UNUSED_PAD src0_sel:WORD_1
	s_nop 1
	v_cvt_f16_f32_e32 v4, v4
	v_cvt_f16_f32_e32 v5, v5
	;; [unrolled: 1-line block ×4, first 2 shown]
	v_cvt_f32_f16_e32 v4, v4
	v_cvt_f32_f16_e32 v5, v5
	;; [unrolled: 1-line block ×5, first 2 shown]
	v_cvt_f32_f16_sdwa v59, v13 dst_sel:DWORD dst_unused:UNUSED_PAD src0_sel:WORD_1
	v_mfma_f32_16x16x16f16 v[4:7], v[8:9], v[28:29], v[4:7]
	v_perm_b32 v9, v139, v132, s0
	v_perm_b32 v8, v153, v146, s0
	v_pk_mul_f16 v13, v54, v80 op_sel_hi:[0,1]
	s_nop 7
	v_cvt_f16_f32_e32 v4, v4
	v_cvt_f16_f32_e32 v5, v5
	;; [unrolled: 1-line block ×4, first 2 shown]
	v_cvt_f32_f16_e32 v4, v4
	v_cvt_f32_f16_e32 v5, v5
	;; [unrolled: 1-line block ×4, first 2 shown]
	s_nop 1
	v_mfma_f32_16x16x16f16 v[4:7], v[8:9], v[32:33], v[4:7]
	v_perm_b32 v9, v166, v15, s0
	v_perm_b32 v8, v180, v173, s0
	;; [unrolled: 1-line block ×3, first 2 shown]
	s_nop 7
	v_cvt_f16_f32_e32 v4, v4
	v_cvt_f16_f32_e32 v5, v5
	;; [unrolled: 1-line block ×4, first 2 shown]
	v_cvt_f32_f16_e32 v4, v4
	v_cvt_f32_f16_e32 v5, v5
	;; [unrolled: 1-line block ×4, first 2 shown]
	s_nop 1
	v_mfma_f32_16x16x16f16 v[4:7], v[8:9], v[36:37], v[4:7]
	v_perm_b32 v9, v18, v10, s0
	v_perm_b32 v8, v70, v22, s0
	;; [unrolled: 1-line block ×3, first 2 shown]
	v_pk_mul_f16 v22, v54, v74 op_sel_hi:[0,1]
	v_mfma_f32_16x16x16f16 v[8:11], v[8:9], v[30:31], v[56:59]
	s_nop 6
	v_cvt_f32_f16_e32 v56, v13
	s_nop 2
	v_cvt_f16_f32_e32 v8, v8
	v_cvt_f16_f32_e32 v9, v9
	;; [unrolled: 1-line block ×4, first 2 shown]
	v_cvt_f32_f16_e32 v8, v8
	v_cvt_f32_f16_e32 v9, v9
	;; [unrolled: 1-line block ×4, first 2 shown]
	v_cvt_f32_f16_sdwa v57, v13 dst_sel:DWORD dst_unused:UNUSED_PAD src0_sel:WORD_1
	v_perm_b32 v13, v19, v12, s0
	v_mfma_f32_16x16x16f16 v[8:11], v[14:15], v[28:29], v[8:11]
	v_perm_b32 v15, v140, v133, s0
	v_perm_b32 v14, v154, v147, s0
	;; [unrolled: 1-line block ×3, first 2 shown]
	v_cvt_f32_f16_e32 v58, v17
	v_cvt_f32_f16_sdwa v59, v17 dst_sel:DWORD dst_unused:UNUSED_PAD src0_sel:WORD_1
	v_perm_b32 v19, v112, v105, s0
	v_pk_mul_f16 v17, v54, v76 op_sel_hi:[0,1]
	s_nop 3
	v_cvt_f16_f32_e32 v8, v8
	v_cvt_f16_f32_e32 v9, v9
	;; [unrolled: 1-line block ×4, first 2 shown]
	v_cvt_f32_f16_e32 v8, v8
	v_cvt_f32_f16_e32 v9, v9
	;; [unrolled: 1-line block ×4, first 2 shown]
	v_perm_b32 v23, v113, v106, s0
	s_nop 0
	v_mfma_f32_16x16x16f16 v[8:11], v[14:15], v[32:33], v[8:11]
	v_perm_b32 v15, v167, v160, s0
	v_perm_b32 v14, v181, v174, s0
	s_nop 7
	s_nop 0
	v_cvt_f16_f32_e32 v8, v8
	v_cvt_f16_f32_e32 v9, v9
	;; [unrolled: 1-line block ×4, first 2 shown]
	v_cvt_f32_f16_e32 v8, v8
	v_cvt_f32_f16_e32 v9, v9
	;; [unrolled: 1-line block ×4, first 2 shown]
	s_nop 1
	v_mfma_f32_16x16x16f16 v[8:11], v[14:15], v[36:37], v[8:11]
	v_mfma_f32_16x16x16f16 v[12:15], v[12:13], v[30:31], v[56:59]
	s_nop 6
	v_cvt_f32_f16_e32 v56, v17
	s_nop 2
	v_cvt_f16_f32_e32 v12, v12
	v_cvt_f16_f32_e32 v13, v13
	;; [unrolled: 1-line block ×4, first 2 shown]
	v_cvt_f32_f16_e32 v12, v12
	v_cvt_f32_f16_e32 v13, v13
	;; [unrolled: 1-line block ×4, first 2 shown]
	v_cvt_f32_f16_sdwa v57, v17 dst_sel:DWORD dst_unused:UNUSED_PAD src0_sel:WORD_1
	v_perm_b32 v17, v21, v16, s0
	v_mfma_f32_16x16x16f16 v[12:15], v[18:19], v[28:29], v[12:15]
	v_perm_b32 v19, v141, v134, s0
	v_perm_b32 v18, v155, v148, s0
	;; [unrolled: 1-line block ×3, first 2 shown]
	v_cvt_f32_f16_e32 v58, v22
	v_cvt_f32_f16_sdwa v59, v22 dst_sel:DWORD dst_unused:UNUSED_PAD src0_sel:WORD_1
	v_perm_b32 v22, v128, v120, s0
	v_pk_mul_f16 v21, v54, v67 op_sel_hi:[0,1]
	s_nop 3
	v_cvt_f16_f32_e32 v12, v12
	v_cvt_f16_f32_e32 v13, v13
	;; [unrolled: 1-line block ×4, first 2 shown]
	v_cvt_f32_f16_e32 v12, v12
	v_cvt_f32_f16_e32 v13, v13
	;; [unrolled: 1-line block ×4, first 2 shown]
	v_perm_b32 v61, v60, v35, s0
	v_perm_b32 v60, v75, v68, s0
	v_mfma_f32_16x16x16f16 v[12:15], v[18:19], v[32:33], v[12:15]
	v_perm_b32 v19, v168, v161, s0
	v_perm_b32 v18, v182, v175, s0
	s_nop 7
	s_nop 0
	v_cvt_f16_f32_e32 v12, v12
	v_cvt_f16_f32_e32 v13, v13
	;; [unrolled: 1-line block ×4, first 2 shown]
	v_cvt_f32_f16_e32 v12, v12
	v_cvt_f32_f16_e32 v13, v13
	;; [unrolled: 1-line block ×4, first 2 shown]
	s_nop 1
	v_mfma_f32_16x16x16f16 v[12:15], v[18:19], v[36:37], v[12:15]
	v_mfma_f32_16x16x16f16 v[16:19], v[16:17], v[30:31], v[56:59]
	s_nop 6
	v_pk_mul_f16 v59, v54, v66 op_sel_hi:[0,1]
	s_nop 2
	v_cvt_f16_f32_e32 v16, v16
	v_cvt_f16_f32_e32 v17, v17
	;; [unrolled: 1-line block ×4, first 2 shown]
	v_cvt_f32_f16_e32 v16, v16
	v_cvt_f32_f16_e32 v17, v17
	;; [unrolled: 1-line block ×5, first 2 shown]
	v_cvt_f32_f16_sdwa v57, v21 dst_sel:DWORD dst_unused:UNUSED_PAD src0_sel:WORD_1
	v_mfma_f32_16x16x16f16 v[16:19], v[22:23], v[28:29], v[16:19]
	v_perm_b32 v23, v142, v135, s0
	v_perm_b32 v22, v156, v149, s0
	v_perm_b32 v21, v55, v20, s0
	v_perm_b32 v20, v73, v63, s0
	v_cvt_f32_f16_e32 v58, v59
	v_cvt_f32_f16_sdwa v59, v59 dst_sel:DWORD dst_unused:UNUSED_PAD src0_sel:WORD_1
	v_pk_mul_f16 v55, v54, v104 op_sel_hi:[0,1]
	s_nop 3
	v_cvt_f16_f32_e32 v16, v16
	v_cvt_f16_f32_e32 v17, v17
	;; [unrolled: 1-line block ×4, first 2 shown]
	v_cvt_f32_f16_e32 v16, v16
	v_cvt_f32_f16_e32 v17, v17
	;; [unrolled: 1-line block ×4, first 2 shown]
	s_nop 1
	v_mfma_f32_16x16x16f16 v[16:19], v[22:23], v[32:33], v[16:19]
	v_perm_b32 v23, v169, v162, s0
	v_perm_b32 v22, v183, v176, s0
	s_nop 7
	s_nop 0
	v_cvt_f16_f32_e32 v16, v16
	v_cvt_f16_f32_e32 v17, v17
	;; [unrolled: 1-line block ×4, first 2 shown]
	v_cvt_f32_f16_e32 v16, v16
	v_cvt_f32_f16_e32 v17, v17
	;; [unrolled: 1-line block ×4, first 2 shown]
	s_nop 1
	v_mfma_f32_16x16x16f16 v[16:19], v[22:23], v[36:37], v[16:19]
	v_mfma_f32_16x16x16f16 v[20:23], v[20:21], v[30:31], v[56:59]
	s_nop 6
	v_perm_b32 v57, v114, v107, s0
	s_nop 2
	v_cvt_f16_f32_e32 v20, v20
	v_cvt_f16_f32_e32 v21, v21
	;; [unrolled: 1-line block ×4, first 2 shown]
	v_perm_b32 v56, v129, v122, s0
	v_cvt_f32_f16_e32 v20, v20
	v_cvt_f32_f16_e32 v21, v21
	v_cvt_f32_f16_e32 v22, v22
	v_cvt_f32_f16_e32 v23, v23
	v_pk_mul_f16 v59, v54, v103 op_sel_hi:[0,1]
	v_cvt_f32_f16_e32 v58, v59
	v_mfma_f32_16x16x16f16 v[20:23], v[56:57], v[28:29], v[20:23]
	v_perm_b32 v57, v143, v136, s0
	v_perm_b32 v56, v157, v150, s0
	v_cvt_f32_f16_sdwa v59, v59 dst_sel:DWORD dst_unused:UNUSED_PAD src0_sel:WORD_1
	s_nop 7
	v_cvt_f16_f32_e32 v20, v20
	v_cvt_f16_f32_e32 v21, v21
	;; [unrolled: 1-line block ×4, first 2 shown]
	v_cvt_f32_f16_e32 v20, v20
	v_cvt_f32_f16_e32 v21, v21
	;; [unrolled: 1-line block ×4, first 2 shown]
	s_nop 1
	v_mfma_f32_16x16x16f16 v[20:23], v[56:57], v[32:33], v[20:23]
	v_perm_b32 v57, v170, v163, s0
	v_perm_b32 v56, v184, v177, s0
	s_nop 7
	s_nop 0
	v_cvt_f16_f32_e32 v20, v20
	v_cvt_f16_f32_e32 v21, v21
	;; [unrolled: 1-line block ×4, first 2 shown]
	v_cvt_f32_f16_e32 v20, v20
	v_cvt_f32_f16_e32 v21, v21
	;; [unrolled: 1-line block ×4, first 2 shown]
	s_nop 1
	v_mfma_f32_16x16x16f16 v[20:23], v[56:57], v[36:37], v[20:23]
	v_cvt_f32_f16_e32 v56, v55
	v_cvt_f32_f16_sdwa v57, v55 dst_sel:DWORD dst_unused:UNUSED_PAD src0_sel:WORD_1
	s_nop 1
	v_mfma_f32_16x16x16f16 v[56:59], v[60:61], v[30:31], v[56:59]
	v_perm_b32 v61, v115, v108, s0
	v_perm_b32 v60, v130, v123, s0
	s_nop 7
	s_nop 0
	v_cvt_f16_f32_e32 v35, v56
	v_cvt_f16_f32_e32 v55, v57
	;; [unrolled: 1-line block ×4, first 2 shown]
	v_cvt_f32_f16_e32 v56, v35
	v_cvt_f32_f16_e32 v57, v55
	;; [unrolled: 1-line block ×4, first 2 shown]
	v_add_f32_e32 v35, v25, v24
	v_add_f32_e32 v27, v27, v35
	v_mfma_f32_16x16x16f16 v[56:59], v[60:61], v[28:29], v[56:59]
	v_add_f32_e32 v26, v26, v27
	v_add_f32_e32 v35, v43, v26
	;; [unrolled: 1-line block ×3, first 2 shown]
	v_pk_mul_f16 v41, v54, v102 op_sel_hi:[0,1]
	v_pk_mul_f16 v43, v54, v101 op_sel_hi:[0,1]
	v_cvt_f32_f16_e32 v54, v41
	v_add_f32_e32 v35, v44, v35
	s_nop 3
	v_cvt_f16_f32_e32 v24, v56
	v_cvt_f16_f32_e32 v25, v57
	;; [unrolled: 1-line block ×4, first 2 shown]
	v_cvt_f32_f16_e32 v56, v24
	v_cvt_f32_f16_e32 v57, v25
	v_perm_b32 v25, v144, v137, s0
	v_perm_b32 v24, v158, v151, s0
	v_cvt_f32_f16_e32 v58, v55
	v_cvt_f32_f16_e32 v59, v59
	v_cvt_f32_f16_sdwa v55, v41 dst_sel:DWORD dst_unused:UNUSED_PAD src0_sel:WORD_1
	v_add_f32_e32 v35, v42, v35
	v_mfma_f32_16x16x16f16 v[24:27], v[24:25], v[32:33], v[56:59]
	v_perm_b32 v42, v159, v152, s0
	v_add_f32_e32 v35, v46, v35
	v_add_f32_e32 v35, v45, v35
	;; [unrolled: 1-line block ×3, first 2 shown]
	s_nop 2
	v_perm_b32 v57, v171, v164, s0
	v_perm_b32 v56, v185, v178, s0
	;; [unrolled: 1-line block ×3, first 2 shown]
	s_nop 0
	v_cvt_f16_f32_e32 v24, v24
	v_cvt_f16_f32_e32 v25, v25
	;; [unrolled: 1-line block ×4, first 2 shown]
	v_cvt_f32_f16_e32 v24, v24
	v_cvt_f32_f16_e32 v25, v25
	;; [unrolled: 1-line block ×4, first 2 shown]
	v_perm_b32 v58, v77, v69, s0
	v_add_f32_e32 v35, v47, v35
	v_mfma_f32_16x16x16f16 v[24:27], v[56:57], v[36:37], v[24:27]
	v_cvt_f32_f16_e32 v56, v43
	v_cvt_f32_f16_sdwa v57, v43 dst_sel:DWORD dst_unused:UNUSED_PAD src0_sel:WORD_1
	v_perm_b32 v43, v145, v138, s0
	v_add_f32_e32 v35, v50, v35
	v_add_f32_e32 v35, v49, v35
	;; [unrolled: 1-line block ×4, first 2 shown]
	v_mfma_f32_16x16x16f16 v[54:57], v[58:59], v[30:31], v[54:57]
	v_fmac_f32_e32 v35, v121, v52
	s_nop 7
	s_nop 1
	v_cvt_f16_f32_e32 v30, v54
	v_cvt_f16_f32_e32 v31, v55
	v_cvt_f16_f32_e32 v38, v56
	v_cvt_f16_f32_e32 v41, v57
	v_cvt_f32_f16_e32 v54, v30
	v_cvt_f32_f16_e32 v55, v31
	v_perm_b32 v31, v116, v109, s0
	v_perm_b32 v30, v131, v124, s0
	v_cvt_f32_f16_e32 v56, v38
	v_cvt_f32_f16_e32 v57, v41
	ds_bpermute_b32 v38, v39, v35
	s_nop 0
	v_mfma_f32_16x16x16f16 v[28:31], v[30:31], v[28:29], v[54:57]
	s_nop 7
	s_nop 2
	v_cvt_f16_f32_e32 v28, v28
	v_cvt_f16_f32_e32 v29, v29
	v_cvt_f16_f32_e32 v30, v30
	v_cvt_f16_f32_e32 v31, v31
	v_cvt_f32_f16_e32 v28, v28
	v_cvt_f32_f16_e32 v29, v29
	;; [unrolled: 1-line block ×4, first 2 shown]
	s_nop 1
	v_mfma_f32_16x16x16f16 v[28:31], v[42:43], v[32:33], v[28:31]
	v_perm_b32 v33, v172, v165, s0
	v_perm_b32 v32, v186, v179, s0
	s_nop 7
	s_nop 0
	v_cvt_f16_f32_e32 v28, v28
	v_cvt_f16_f32_e32 v29, v29
	;; [unrolled: 1-line block ×4, first 2 shown]
	v_cvt_f32_f16_e32 v28, v28
	v_cvt_f32_f16_e32 v29, v29
	;; [unrolled: 1-line block ×4, first 2 shown]
	s_nop 1
	v_mfma_f32_16x16x16f16 v[28:31], v[32:33], v[36:37], v[28:31]
	s_waitcnt lgkmcnt(0)
	v_add_f32_e32 v32, v35, v38
	ds_bpermute_b32 v33, v40, v32
	s_and_saveexec_b64 s[2:3], vcc
	s_cbranch_execz .LBB25_821
; %bb.820:
	v_readlane_b32 s0, v254, 11
	s_add_i32 s0, s0, s6
	s_lshl_b32 s0, s0, 6
	s_lshl_b64 s[4:5], s[0:1], 3
	s_add_u32 s4, s22, s4
	v_or_b32_e32 v35, v98, v64
	s_addc_u32 s5, s23, s5
	v_lshlrev_b32_e32 v36, 3, v35
	s_waitcnt lgkmcnt(0)
	v_add_f32_e32 v35, v32, v33
	global_store_dwordx2 v36, v[34:35], s[4:5]
.LBB25_821:
	s_or_b64 exec, exec, s[2:3]
	v_cvt_f16_f32_e32 v0, v0
	v_cvt_f16_f32_e32 v1, v1
	v_cvt_f16_f32_e32 v2, v2
	v_cvt_f16_f32_e32 v3, v3
	v_cvt_f16_f32_e32 v4, v4
	v_cvt_f16_f32_e32 v6, v6
	v_cvt_f16_f32_e32 v7, v7
	v_cvt_f16_f32_e32 v5, v5
	v_pack_b32_f16 v2, v2, v3
	v_pack_b32_f16 v0, v0, v1
	v_pack_b32_f16 v1, v6, v7
	v_pack_b32_f16 v3, v4, v5
	v_cvt_f16_f32_e32 v4, v8
	v_cvt_f16_f32_e32 v5, v9
	v_cvt_f16_f32_e32 v6, v10
	v_cvt_f16_f32_e32 v7, v11
	v_cvt_f16_f32_e32 v8, v12
	v_cvt_f16_f32_e32 v9, v14
	v_cvt_f16_f32_e32 v10, v15
	v_cvt_f16_f32_e32 v11, v13
	v_pack_b32_f16 v6, v6, v7
	v_pack_b32_f16 v4, v4, v5
	v_pack_b32_f16 v5, v9, v10
	v_pack_b32_f16 v7, v8, v11
	v_cvt_f16_f32_e32 v8, v16
	v_cvt_f16_f32_e32 v9, v17
	v_cvt_f16_f32_e32 v10, v18
	v_cvt_f16_f32_e32 v11, v19
	v_cvt_f16_f32_e32 v12, v20
	v_cvt_f16_f32_e32 v13, v22
	v_cvt_f16_f32_e32 v14, v23
	v_cvt_f16_f32_e32 v15, v21
	v_pack_b32_f16 v10, v10, v11
	v_pack_b32_f16 v8, v8, v9
	v_pack_b32_f16 v9, v13, v14
	v_pack_b32_f16 v11, v12, v15
	v_cvt_f16_f32_e32 v12, v24
	v_cvt_f16_f32_e32 v13, v25
	;; [unrolled: 1-line block ×8, first 2 shown]
	v_readlane_b32 s2, v254, 4
	v_readlane_b32 s3, v254, 5
	v_pack_b32_f16 v14, v14, v15
	v_pack_b32_f16 v12, v12, v13
	;; [unrolled: 1-line block ×4, first 2 shown]
	ds_write2_b32 v65, v0, v2 offset1:1
	ds_write2_b32 v65, v3, v1 offset0:8 offset1:9
	ds_write2_b32 v65, v4, v6 offset0:16 offset1:17
	ds_write2_b32 v65, v7, v5 offset0:24 offset1:25
	ds_write2_b32 v65, v8, v10 offset0:32 offset1:33
	ds_write2_b32 v65, v11, v9 offset0:40 offset1:41
	ds_write2_b32 v65, v12, v14 offset0:48 offset1:49
	ds_write2_b32 v65, v15, v13 offset0:56 offset1:57
	s_waitcnt lgkmcnt(0)
	s_barrier
	s_load_dword s0, s[2:3], 0x10
	s_load_dword s4, s[2:3], 0x0
	v_lshlrev_b32_e32 v0, 2, v97
	v_mov_b32_e32 v1, 0
	s_waitcnt lgkmcnt(0)
	s_lshr_b32 s0, s0, 16
	s_cmp_lg_u32 s0, 0
	s_cselect_b64 s[2:3], -1, 0
	s_cmp_lg_u64 s[2:3], 0
	s_addc_u32 s0, s4, 0
	s_lshl_b32 s0, s0, 7
	s_lshl_b64 s[2:3], s[0:1], 3
	s_add_u32 s2, s22, s2
	s_addc_u32 s3, s23, s3
	s_lshl_b32 s0, s6, 12
	s_lshl_b64 s[0:1], s[0:1], 3
	s_add_u32 s0, s2, s0
	s_movk_i32 s2, 0x44
	v_mad_u32_u24 v8, v97, s2, v64
	v_lshl_add_u32 v9, v8, 2, 0
	ds_read_b32 v5, v9
	ds_read_b32 v6, v9 offset:1088
	ds_read_b32 v7, v9 offset:2176
	ds_read_b32 v10, v9 offset:3264
	ds_read_b32 v11, v9 offset:5440
	ds_read_b32 v12, v9 offset:6528
	ds_read_b32 v13, v9 offset:7616
	ds_read_b32 v14, v9 offset:9792
	s_waitcnt lgkmcnt(7)
	v_cvt_f32_f16_e32 v4, v5
	v_cvt_f32_f16_sdwa v5, v5 dst_sel:DWORD dst_unused:UNUSED_PAD src0_sel:WORD_1
	v_sub_u32_e32 v0, v8, v0
	s_addc_u32 s1, s3, s1
	v_lshlrev_b64 v[2:3], 3, v[0:1]
	v_mov_b32_e32 v0, s1
	v_add_co_u32_e32 v2, vcc, s0, v2
	v_addc_co_u32_e32 v3, vcc, v0, v3, vcc
	v_pk_add_f32 v[4:5], v[4:5], 0 op_sel_hi:[1,0]
	v_add_u32_e32 v15, 0x110, v8
	v_lshlrev_b32_e32 v0, 2, v96
	global_store_dwordx2 v[2:3], v[4:5], off
	v_sub_u32_e32 v0, v15, v0
	s_waitcnt lgkmcnt(6)
	v_cvt_f32_f16_e32 v4, v6
	v_cvt_f32_f16_sdwa v5, v6 dst_sel:DWORD dst_unused:UNUSED_PAD src0_sel:WORD_1
	v_lshlrev_b64 v[2:3], 3, v[0:1]
	v_mov_b32_e32 v0, s1
	v_add_co_u32_e32 v2, vcc, s0, v2
	v_addc_co_u32_e32 v3, vcc, v0, v3, vcc
	v_lshlrev_b32_e32 v0, 2, v95
	v_pk_add_f32 v[4:5], v[4:5], 0 op_sel_hi:[1,0]
	v_sub_u32_e32 v0, v15, v0
	global_store_dwordx2 v[2:3], v[4:5], off
	v_add_u32_e32 v0, 0x110, v0
	s_waitcnt lgkmcnt(5)
	v_cvt_f32_f16_e32 v4, v7
	v_cvt_f32_f16_sdwa v5, v7 dst_sel:DWORD dst_unused:UNUSED_PAD src0_sel:WORD_1
	v_lshlrev_b64 v[2:3], 3, v[0:1]
	v_mov_b32_e32 v0, s1
	v_add_co_u32_e32 v2, vcc, s0, v2
	v_addc_co_u32_e32 v3, vcc, v0, v3, vcc
	v_add_u32_e32 v15, 0x330, v8
	v_lshlrev_b32_e32 v0, 2, v94
	v_pk_add_f32 v[4:5], v[4:5], 0 op_sel_hi:[1,0]
	v_sub_u32_e32 v0, v15, v0
	global_store_dwordx2 v[2:3], v[4:5], off
	v_lshlrev_b64 v[2:3], 3, v[0:1]
	v_mov_b32_e32 v0, s1
	v_add_co_u32_e32 v2, vcc, s0, v2
	s_movk_i32 s3, 0x7f0
	v_addc_co_u32_e32 v3, vcc, v0, v3, vcc
	v_and_or_b32 v0, v92, s3, v93
	v_mad_u32_u24 v0, v0, s2, v64
	v_lshl_add_u32 v0, v0, 2, 0
	ds_read_b32 v0, v0
	v_and_or_b32 v6, v88, s3, v93
	v_and_or_b32 v7, v81, s3, v93
	v_mad_u32_u24 v6, v6, s2, v64
	v_mad_u32_u24 v7, v7, s2, v64
	s_waitcnt lgkmcnt(5)
	v_cvt_f32_f16_e32 v4, v10
	v_cvt_f32_f16_sdwa v5, v10 dst_sel:DWORD dst_unused:UNUSED_PAD src0_sel:WORD_1
	v_lshl_add_u32 v6, v6, 2, 0
	v_lshl_add_u32 v7, v7, 2, 0
	ds_read_b32 v10, v6
	ds_read_b32 v16, v7
	s_waitcnt lgkmcnt(2)
	v_cvt_f32_f16_e32 v6, v0
	v_cvt_f32_f16_sdwa v7, v0 dst_sel:DWORD dst_unused:UNUSED_PAD src0_sel:WORD_1
	v_pk_add_f32 v[4:5], v[4:5], 0 op_sel_hi:[1,0]
	v_lshlrev_b32_e32 v0, 6, v92
	global_store_dwordx2 v[2:3], v[4:5], off
	v_add_lshl_u32 v0, v0, v64, 3
	v_pk_add_f32 v[2:3], v[6:7], 0 op_sel_hi:[1,0]
	global_store_dwordx2 v0, v[2:3], s[0:1]
	v_lshlrev_b32_e32 v0, 2, v91
	v_sub_u32_e32 v0, v15, v0
	v_cvt_f32_f16_e32 v4, v11
	v_cvt_f32_f16_sdwa v5, v11 dst_sel:DWORD dst_unused:UNUSED_PAD src0_sel:WORD_1
	v_add_u32_e32 v0, 0x220, v0
	v_lshlrev_b64 v[2:3], 3, v[0:1]
	v_mov_b32_e32 v0, s1
	v_add_co_u32_e32 v2, vcc, s0, v2
	v_addc_co_u32_e32 v3, vcc, v0, v3, vcc
	v_pk_add_f32 v[4:5], v[4:5], 0 op_sel_hi:[1,0]
	global_store_dwordx2 v[2:3], v[4:5], off
	v_add_u32_e32 v6, 0x660, v8
	v_lshlrev_b32_e32 v0, 2, v90
	v_cvt_f32_f16_e32 v4, v12
	v_cvt_f32_f16_sdwa v5, v12 dst_sel:DWORD dst_unused:UNUSED_PAD src0_sel:WORD_1
	v_sub_u32_e32 v0, v6, v0
	v_lshlrev_b64 v[2:3], 3, v[0:1]
	v_mov_b32_e32 v0, s1
	v_add_co_u32_e32 v2, vcc, s0, v2
	v_addc_co_u32_e32 v3, vcc, v0, v3, vcc
	v_pk_add_f32 v[4:5], v[4:5], 0 op_sel_hi:[1,0]
	v_lshlrev_b32_e32 v0, 2, v89
	global_store_dwordx2 v[2:3], v[4:5], off
	v_sub_u32_e32 v0, v6, v0
	v_cvt_f32_f16_e32 v4, v13
	v_cvt_f32_f16_sdwa v5, v13 dst_sel:DWORD dst_unused:UNUSED_PAD src0_sel:WORD_1
	v_add_u32_e32 v0, 0x110, v0
	s_waitcnt lgkmcnt(1)
	v_cvt_f32_f16_e32 v6, v10
	v_cvt_f32_f16_sdwa v7, v10 dst_sel:DWORD dst_unused:UNUSED_PAD src0_sel:WORD_1
	v_lshlrev_b64 v[2:3], 3, v[0:1]
	v_mov_b32_e32 v0, s1
	v_add_co_u32_e32 v2, vcc, s0, v2
	v_addc_co_u32_e32 v3, vcc, v0, v3, vcc
	v_pk_add_f32 v[4:5], v[4:5], 0 op_sel_hi:[1,0]
	v_lshlrev_b32_e32 v0, 6, v88
	global_store_dwordx2 v[2:3], v[4:5], off
	v_add_lshl_u32 v0, v0, v64, 3
	v_pk_add_f32 v[2:3], v[6:7], 0 op_sel_hi:[1,0]
	global_store_dwordx2 v0, v[2:3], s[0:1]
	v_add_u32_e32 v6, 0x990, v8
	v_lshlrev_b32_e32 v0, 2, v87
	v_sub_u32_e32 v0, v6, v0
	v_lshlrev_b64 v[2:3], 3, v[0:1]
	v_cvt_f32_f16_e32 v4, v14
	v_cvt_f32_f16_sdwa v5, v14 dst_sel:DWORD dst_unused:UNUSED_PAD src0_sel:WORD_1
	v_mov_b32_e32 v0, s1
	v_add_co_u32_e32 v2, vcc, s0, v2
	v_addc_co_u32_e32 v3, vcc, v0, v3, vcc
	v_lshlrev_b32_e32 v0, 2, v85
	v_sub_u32_e32 v0, v6, v0
	v_pk_add_f32 v[4:5], v[4:5], 0 op_sel_hi:[1,0]
	v_add_u32_e32 v0, 0x110, v0
	global_store_dwordx2 v[2:3], v[4:5], off
	v_lshlrev_b64 v[2:3], 3, v[0:1]
	v_mov_b32_e32 v0, s1
	v_add_co_u32_e32 v2, vcc, s0, v2
	ds_read_b32 v5, v9 offset:10880
	ds_read_b32 v6, v9 offset:11968
	;; [unrolled: 1-line block ×5, first 2 shown]
	v_addc_co_u32_e32 v3, vcc, v0, v3, vcc
	buffer_load_dword v0, off, s[96:99], 0 offset:4 ; 4-byte Folded Reload
	s_waitcnt lgkmcnt(4)
	v_cvt_f32_f16_e32 v4, v5
	v_cvt_f32_f16_sdwa v5, v5 dst_sel:DWORD dst_unused:UNUSED_PAD src0_sel:WORD_1
	v_add_u32_e32 v12, 0xbb0, v8
	v_cvt_f32_f16_sdwa v7, v16 dst_sel:DWORD dst_unused:UNUSED_PAD src0_sel:WORD_1
	v_pk_add_f32 v[4:5], v[4:5], 0 op_sel_hi:[1,0]
	global_store_dwordx2 v[2:3], v[4:5], off
	s_waitcnt lgkmcnt(3)
	v_cvt_f32_f16_e32 v4, v6
	v_cvt_f32_f16_sdwa v5, v6 dst_sel:DWORD dst_unused:UNUSED_PAD src0_sel:WORD_1
	v_cvt_f32_f16_e32 v6, v16
	v_pk_add_f32 v[4:5], v[4:5], 0 op_sel_hi:[1,0]
	s_waitcnt vmcnt(1)
	v_lshlrev_b32_e32 v0, 2, v0
	v_sub_u32_e32 v0, v12, v0
	v_lshlrev_b64 v[2:3], 3, v[0:1]
	v_mov_b32_e32 v0, s1
	v_add_co_u32_e32 v2, vcc, s0, v2
	v_addc_co_u32_e32 v3, vcc, v0, v3, vcc
	v_lshlrev_b32_e32 v0, 6, v81
	global_store_dwordx2 v[2:3], v[4:5], off
	v_add_lshl_u32 v0, v0, v64, 3
	v_pk_add_f32 v[2:3], v[6:7], 0 op_sel_hi:[1,0]
	global_store_dwordx2 v0, v[2:3], s[0:1]
	buffer_load_dword v0, off, s[96:99], 0  ; 4-byte Folded Reload
	s_waitcnt lgkmcnt(2)
	v_cvt_f32_f16_e32 v4, v10
	v_cvt_f32_f16_sdwa v5, v10 dst_sel:DWORD dst_unused:UNUSED_PAD src0_sel:WORD_1
	v_add_u32_e32 v6, 0xee0, v8
	v_pk_add_f32 v[4:5], v[4:5], 0 op_sel_hi:[1,0]
	s_waitcnt vmcnt(0)
	v_lshlrev_b32_e32 v0, 2, v0
	v_sub_u32_e32 v0, v12, v0
	v_add_u32_e32 v0, 0x220, v0
	v_lshlrev_b64 v[2:3], 3, v[0:1]
	v_mov_b32_e32 v0, s1
	v_add_co_u32_e32 v2, vcc, s0, v2
	v_addc_co_u32_e32 v3, vcc, v0, v3, vcc
	global_store_dwordx2 v[2:3], v[4:5], off
	v_lshlrev_b32_e32 v0, 2, v206
	s_waitcnt lgkmcnt(1)
	v_cvt_f32_f16_e32 v4, v11
	v_cvt_f32_f16_sdwa v5, v11 dst_sel:DWORD dst_unused:UNUSED_PAD src0_sel:WORD_1
	v_sub_u32_e32 v0, v6, v0
	v_lshlrev_b64 v[2:3], 3, v[0:1]
	v_mov_b32_e32 v0, s1
	v_add_co_u32_e32 v2, vcc, s0, v2
	v_addc_co_u32_e32 v3, vcc, v0, v3, vcc
	v_pk_add_f32 v[4:5], v[4:5], 0 op_sel_hi:[1,0]
	v_lshlrev_b32_e32 v0, 2, v205
	global_store_dwordx2 v[2:3], v[4:5], off
	v_sub_u32_e32 v0, v6, v0
	s_waitcnt lgkmcnt(0)
	v_cvt_f32_f16_e32 v2, v9
	v_cvt_f32_f16_sdwa v3, v9 dst_sel:DWORD dst_unused:UNUSED_PAD src0_sel:WORD_1
	v_add_u32_e32 v0, 0x110, v0
	v_lshlrev_b64 v[0:1], 3, v[0:1]
	v_mov_b32_e32 v4, s1
	v_add_co_u32_e32 v0, vcc, s0, v0
	v_addc_co_u32_e32 v1, vcc, v4, v1, vcc
	v_pk_add_f32 v[2:3], v[2:3], 0 op_sel_hi:[1,0]
	global_store_dwordx2 v[0:1], v[2:3], off
	s_endpgm
	.section	.rodata,"a",@progbits
	.p2align	6, 0x0
	.amdhsa_kernel _ZL18flash_attn_ext_f16ILi128ELi128ELi16ELi4ELb1ELb0EEvPKcS1_S1_S1_S1_PKiPfP15HIP_vector_typeIfLj2EEffffjfiS5_IjLj3EEiiiiiiiiiiiliiliiiiil
		.amdhsa_group_segment_fixed_size 0
		.amdhsa_private_segment_fixed_size 36
		.amdhsa_kernarg_size 464
		.amdhsa_user_sgpr_count 6
		.amdhsa_user_sgpr_private_segment_buffer 1
		.amdhsa_user_sgpr_dispatch_ptr 0
		.amdhsa_user_sgpr_queue_ptr 0
		.amdhsa_user_sgpr_kernarg_segment_ptr 1
		.amdhsa_user_sgpr_dispatch_id 0
		.amdhsa_user_sgpr_flat_scratch_init 0
		.amdhsa_user_sgpr_kernarg_preload_length 0
		.amdhsa_user_sgpr_kernarg_preload_offset 0
		.amdhsa_user_sgpr_private_segment_size 0
		.amdhsa_uses_dynamic_stack 0
		.amdhsa_system_sgpr_private_segment_wavefront_offset 1
		.amdhsa_system_sgpr_workgroup_id_x 1
		.amdhsa_system_sgpr_workgroup_id_y 0
		.amdhsa_system_sgpr_workgroup_id_z 0
		.amdhsa_system_sgpr_workgroup_info 0
		.amdhsa_system_vgpr_workitem_id 1
		.amdhsa_next_free_vgpr 256
		.amdhsa_next_free_sgpr 100
		.amdhsa_accum_offset 256
		.amdhsa_reserve_vcc 1
		.amdhsa_reserve_flat_scratch 0
		.amdhsa_float_round_mode_32 0
		.amdhsa_float_round_mode_16_64 0
		.amdhsa_float_denorm_mode_32 3
		.amdhsa_float_denorm_mode_16_64 3
		.amdhsa_dx10_clamp 1
		.amdhsa_ieee_mode 1
		.amdhsa_fp16_overflow 0
		.amdhsa_tg_split 0
		.amdhsa_exception_fp_ieee_invalid_op 0
		.amdhsa_exception_fp_denorm_src 0
		.amdhsa_exception_fp_ieee_div_zero 0
		.amdhsa_exception_fp_ieee_overflow 0
		.amdhsa_exception_fp_ieee_underflow 0
		.amdhsa_exception_fp_ieee_inexact 0
		.amdhsa_exception_int_div_zero 0
	.end_amdhsa_kernel
	.section	.text._ZL18flash_attn_ext_f16ILi128ELi128ELi16ELi4ELb1ELb0EEvPKcS1_S1_S1_S1_PKiPfP15HIP_vector_typeIfLj2EEffffjfiS5_IjLj3EEiiiiiiiiiiiliiliiiiil,"axG",@progbits,_ZL18flash_attn_ext_f16ILi128ELi128ELi16ELi4ELb1ELb0EEvPKcS1_S1_S1_S1_PKiPfP15HIP_vector_typeIfLj2EEffffjfiS5_IjLj3EEiiiiiiiiiiiliiliiiiil,comdat
.Lfunc_end25:
	.size	_ZL18flash_attn_ext_f16ILi128ELi128ELi16ELi4ELb1ELb0EEvPKcS1_S1_S1_S1_PKiPfP15HIP_vector_typeIfLj2EEffffjfiS5_IjLj3EEiiiiiiiiiiiliiliiiiil, .Lfunc_end25-_ZL18flash_attn_ext_f16ILi128ELi128ELi16ELi4ELb1ELb0EEvPKcS1_S1_S1_S1_PKiPfP15HIP_vector_typeIfLj2EEffffjfiS5_IjLj3EEiiiiiiiiiiiliiliiiiil
                                        ; -- End function
	.section	.AMDGPU.csdata,"",@progbits
; Kernel info:
; codeLenInByte = 84040
; NumSgprs: 104
; NumVgprs: 256
; NumAgprs: 0
; TotalNumVgprs: 256
; ScratchSize: 36
; MemoryBound: 0
; FloatMode: 240
; IeeeMode: 1
; LDSByteSize: 0 bytes/workgroup (compile time only)
; SGPRBlocks: 12
; VGPRBlocks: 31
; NumSGPRsForWavesPerEU: 104
; NumVGPRsForWavesPerEU: 256
; AccumOffset: 256
; Occupancy: 2
; WaveLimiterHint : 0
; COMPUTE_PGM_RSRC2:SCRATCH_EN: 1
; COMPUTE_PGM_RSRC2:USER_SGPR: 6
; COMPUTE_PGM_RSRC2:TRAP_HANDLER: 0
; COMPUTE_PGM_RSRC2:TGID_X_EN: 1
; COMPUTE_PGM_RSRC2:TGID_Y_EN: 0
; COMPUTE_PGM_RSRC2:TGID_Z_EN: 0
; COMPUTE_PGM_RSRC2:TIDIG_COMP_CNT: 1
; COMPUTE_PGM_RSRC3_GFX90A:ACCUM_OFFSET: 63
; COMPUTE_PGM_RSRC3_GFX90A:TG_SPLIT: 0
	.section	.text._ZL33flash_attn_stream_k_fixup_uniformILi128ELi16ELi4EEvPfPK15HIP_vector_typeIfLj2EEiiiiiiS1_IjLj3EES5_S5_,"axG",@progbits,_ZL33flash_attn_stream_k_fixup_uniformILi128ELi16ELi4EEvPfPK15HIP_vector_typeIfLj2EEiiiiiiS1_IjLj3EES5_S5_,comdat
	.globl	_ZL33flash_attn_stream_k_fixup_uniformILi128ELi16ELi4EEvPfPK15HIP_vector_typeIfLj2EEiiiiiiS1_IjLj3EES5_S5_ ; -- Begin function _ZL33flash_attn_stream_k_fixup_uniformILi128ELi16ELi4EEvPfPK15HIP_vector_typeIfLj2EEiiiiiiS1_IjLj3EES5_S5_
	.p2align	8
	.type	_ZL33flash_attn_stream_k_fixup_uniformILi128ELi16ELi4EEvPfPK15HIP_vector_typeIfLj2EEiiiiiiS1_IjLj3EES5_S5_,@function
_ZL33flash_attn_stream_k_fixup_uniformILi128ELi16ELi4EEvPfPK15HIP_vector_typeIfLj2EEiiiiiiS1_IjLj3EES5_S5_: ; @_ZL33flash_attn_stream_k_fixup_uniformILi128ELi16ELi4EEvPfPK15HIP_vector_typeIfLj2EEiiiiiiS1_IjLj3EES5_S5_
; %bb.0:
	s_load_dwordx8 s[12:19], s[4:5], 0x1c
	s_load_dwordx2 s[10:11], s[4:5], 0x10
	s_load_dwordx4 s[0:3], s[4:5], 0x3c
	s_waitcnt lgkmcnt(0)
	s_mul_hi_u32 s9, s15, s6
	s_add_i32 s9, s6, s9
	s_lshr_b32 s9, s9, s16
	s_mul_i32 s15, s9, s17
	s_sub_i32 s15, s6, s15
	s_mul_hi_u32 s16, s15, s18
	s_add_i32 s16, s15, s16
	s_lshr_b32 s16, s16, s19
	s_mul_i32 s0, s16, s0
	s_sub_i32 s0, s15, s0
	;; [unrolled: 5-line block ×3, first 2 shown]
	s_lshl_b32 s0, s17, 4
	s_lshl_b32 s15, s1, 2
	s_add_i32 s0, s0, s7
	s_cmp_lt_i32 s0, s10
	s_cselect_b64 s[0:1], -1, 0
	s_add_i32 s2, s15, s8
	s_cmp_lt_i32 s2, s13
	s_cselect_b64 s[2:3], -1, 0
	s_and_b64 s[0:1], s[0:1], s[2:3]
	s_andn2_b64 vcc, exec, s[0:1]
	s_cbranch_vccnz .LBB26_6
; %bb.1:
	s_load_dwordx4 s[0:3], s[4:5], 0x0
	s_mul_i32 s4, s9, s10
	s_add_i32 s4, s4, s7
	s_mul_i32 s4, s4, s11
	s_mul_i32 s16, s16, s13
	s_add_i32 s4, s4, s8
	s_add_i32 s4, s4, s16
	s_mul_i32 s5, s11, s17
	s_add_i32 s4, s4, s15
	s_lshl_b32 s5, s5, 11
	s_lshl_b32 s4, s4, 7
	s_add_i32 s5, s5, s4
	v_or_b32_e32 v2, s5, v0
	v_ashrrev_i32_e32 v3, 31, v2
	v_lshlrev_b64 v[2:3], 2, v[2:3]
	s_waitcnt lgkmcnt(0)
	v_mov_b32_e32 v1, s1
	v_add_co_u32_e32 v2, vcc, s0, v2
	v_addc_co_u32_e32 v3, vcc, v1, v3, vcc
	global_load_dword v8, v[2:3], off
	s_mul_i32 s9, s6, s14
	s_lshl_b32 s4, s7, 2
	s_add_i32 s11, s9, s14
	s_add_i32 s0, s4, s8
	s_lshl_b32 s1, s11, 6
	s_add_i32 s0, s0, s1
	s_sub_i32 s0, s0, 64
	s_ashr_i32 s1, s0, 31
	s_lshl_b64 s[0:1], s[0:1], 3
	s_add_u32 s0, s2, s0
	s_addc_u32 s1, s3, s1
	s_load_dword s5, s[0:1], 0x4
	s_add_i32 s10, s11, -2
	s_cmp_lt_i32 s10, s9
	s_cbranch_scc1 .LBB26_4
; %bb.2:
	s_lshl_b32 s16, s12, 8
	s_ashr_i32 s17, s16, 31
	s_lshl_b64 s[16:17], s[16:17], 2
	s_add_u32 s10, s2, s16
	s_addc_u32 s13, s3, s17
	s_add_i32 s6, s6, 1
	s_load_dword s0, s[0:1], 0x0
	s_mul_i32 s1, s14, s6
	s_lshl_b32 s7, s7, 9
	s_lshl_b32 s14, s8, 7
	;; [unrolled: 1-line block ×3, first 2 shown]
	s_add_i32 s7, s14, s7
	s_lshl_b32 s1, s1, 6
	s_add_i32 s7, s7, s6
	s_add_i32 s1, s8, s1
	s_lshl_b32 s6, s12, 6
	s_add_i32 s1, s1, s6
	v_or_b32_e32 v0, s7, v0
	s_add_i32 s1, s1, s4
	s_add_i32 s11, s11, -1
	v_add_u32_e32 v0, 0xffffc000, v0
	s_add_i32 s4, s1, 0xffffff80
	s_waitcnt lgkmcnt(0)
	v_mov_b32_e32 v7, s5
	v_mov_b32_e32 v6, s0
	v_mov_b32_e32 v4, s13
	s_mov_b32 s6, 0x3fb8aa3b
	s_mov_b32 s7, 0xc2ce8ed0
	;; [unrolled: 1-line block ×3, first 2 shown]
	v_mov_b32_e32 v5, 0x7f800000
	s_mov_b32 s12, 0xc1a00000
.LBB26_3:                               ; =>This Inner Loop Header: Depth=1
	v_ashrrev_i32_e32 v1, 31, v0
	v_lshlrev_b64 v[10:11], 2, v[0:1]
	v_add_co_u32_e32 v10, vcc, s10, v10
	v_addc_co_u32_e32 v11, vcc, v4, v11, vcc
	global_load_dword v1, v[10:11], off
	s_ashr_i32 s5, s4, 31
	s_lshl_b64 s[0:1], s[4:5], 3
	s_add_u32 s0, s2, s0
	s_addc_u32 s1, s3, s1
	s_load_dwordx2 s[14:15], s[0:1], 0x0
	s_waitcnt vmcnt(1)
	v_mov_b32_e32 v9, v8
	v_max_f32_e32 v8, v6, v6
	v_mov_b32_e32 v10, v7
	s_add_i32 s11, s11, -1
	s_waitcnt lgkmcnt(0)
	v_max_f32_e64 v7, s14, s14
	v_max_f32_e32 v7, v8, v7
	v_sub_f32_e32 v11, s14, v7
	v_sub_f32_e32 v8, v6, v7
	v_mul_f32_e32 v12, 0x3fb8aa3b, v11
	v_mov_b32_e32 v6, v7
	v_mul_f32_e32 v7, 0x3fb8aa3b, v8
	v_fma_f32 v15, v11, s6, -v12
	v_rndne_f32_e32 v16, v12
	v_fma_f32 v13, v8, s6, -v7
	v_rndne_f32_e32 v14, v7
	v_fmac_f32_e32 v15, 0x32a5705f, v11
	v_sub_f32_e32 v12, v12, v16
	v_fmac_f32_e32 v13, 0x32a5705f, v8
	v_sub_f32_e32 v7, v7, v14
	v_add_f32_e32 v12, v12, v15
	v_cvt_i32_f32_e32 v16, v16
	v_add_f32_e32 v7, v7, v13
	v_exp_f32_e32 v12, v12
	v_cvt_i32_f32_e32 v14, v14
	v_exp_f32_e32 v7, v7
	v_cmp_ngt_f32_e32 vcc, s7, v11
	v_ldexp_f32 v12, v12, v16
	v_cmp_ngt_f32_e64 s[0:1], s7, v8
	v_ldexp_f32 v7, v7, v14
	v_cndmask_b32_e32 v12, 0, v12, vcc
	v_cmp_nlt_f32_e32 vcc, s8, v11
	v_cndmask_b32_e64 v7, 0, v7, s[0:1]
	v_cmp_nlt_f32_e64 s[0:1], s8, v8
	v_cndmask_b32_e32 v12, v5, v12, vcc
	v_cmp_le_f32_e32 vcc, s12, v11
	v_cndmask_b32_e64 v7, v5, v7, s[0:1]
	v_cmp_le_f32_e64 s[0:1], s12, v8
	v_cndmask_b32_e32 v8, 0, v12, vcc
	s_sub_i32 s4, s4, 64
	v_cndmask_b32_e64 v11, 0, v7, s[0:1]
	v_mul_f32_e32 v7, s15, v8
	v_add_u32_e32 v0, 0xffffe000, v0
	s_cmp_le_i32 s11, s9
	v_fmac_f32_e32 v7, v10, v11
	s_waitcnt vmcnt(0)
	v_mul_f32_e32 v8, v1, v8
	v_fmac_f32_e32 v8, v9, v11
	s_cbranch_scc0 .LBB26_3
	s_branch .LBB26_5
.LBB26_4:
	s_waitcnt lgkmcnt(0)
	v_mov_b32_e32 v7, s5
.LBB26_5:
	s_waitcnt vmcnt(0)
	v_div_scale_f32 v0, s[0:1], v7, v7, v8
	v_rcp_f32_e32 v1, v0
	v_div_scale_f32 v4, vcc, v8, v7, v8
	v_fma_f32 v5, -v0, v1, 1.0
	v_fmac_f32_e32 v1, v5, v1
	v_mul_f32_e32 v5, v4, v1
	v_fma_f32 v6, -v0, v5, v4
	v_fmac_f32_e32 v5, v6, v1
	v_fma_f32 v0, -v0, v5, v4
	v_div_fmas_f32 v0, v0, v1, v5
	v_div_fixup_f32 v0, v0, v7, v8
	global_store_dword v[2:3], v0, off
.LBB26_6:
	s_endpgm
	.section	.rodata,"a",@progbits
	.p2align	6, 0x0
	.amdhsa_kernel _ZL33flash_attn_stream_k_fixup_uniformILi128ELi16ELi4EEvPfPK15HIP_vector_typeIfLj2EEiiiiiiS1_IjLj3EES5_S5_
		.amdhsa_group_segment_fixed_size 0
		.amdhsa_private_segment_fixed_size 0
		.amdhsa_kernarg_size 76
		.amdhsa_user_sgpr_count 6
		.amdhsa_user_sgpr_private_segment_buffer 1
		.amdhsa_user_sgpr_dispatch_ptr 0
		.amdhsa_user_sgpr_queue_ptr 0
		.amdhsa_user_sgpr_kernarg_segment_ptr 1
		.amdhsa_user_sgpr_dispatch_id 0
		.amdhsa_user_sgpr_flat_scratch_init 0
		.amdhsa_user_sgpr_kernarg_preload_length 0
		.amdhsa_user_sgpr_kernarg_preload_offset 0
		.amdhsa_user_sgpr_private_segment_size 0
		.amdhsa_uses_dynamic_stack 0
		.amdhsa_system_sgpr_private_segment_wavefront_offset 0
		.amdhsa_system_sgpr_workgroup_id_x 1
		.amdhsa_system_sgpr_workgroup_id_y 1
		.amdhsa_system_sgpr_workgroup_id_z 1
		.amdhsa_system_sgpr_workgroup_info 0
		.amdhsa_system_vgpr_workitem_id 0
		.amdhsa_next_free_vgpr 17
		.amdhsa_next_free_sgpr 20
		.amdhsa_accum_offset 20
		.amdhsa_reserve_vcc 1
		.amdhsa_reserve_flat_scratch 0
		.amdhsa_float_round_mode_32 0
		.amdhsa_float_round_mode_16_64 0
		.amdhsa_float_denorm_mode_32 3
		.amdhsa_float_denorm_mode_16_64 3
		.amdhsa_dx10_clamp 1
		.amdhsa_ieee_mode 1
		.amdhsa_fp16_overflow 0
		.amdhsa_tg_split 0
		.amdhsa_exception_fp_ieee_invalid_op 0
		.amdhsa_exception_fp_denorm_src 0
		.amdhsa_exception_fp_ieee_div_zero 0
		.amdhsa_exception_fp_ieee_overflow 0
		.amdhsa_exception_fp_ieee_underflow 0
		.amdhsa_exception_fp_ieee_inexact 0
		.amdhsa_exception_int_div_zero 0
	.end_amdhsa_kernel
	.section	.text._ZL33flash_attn_stream_k_fixup_uniformILi128ELi16ELi4EEvPfPK15HIP_vector_typeIfLj2EEiiiiiiS1_IjLj3EES5_S5_,"axG",@progbits,_ZL33flash_attn_stream_k_fixup_uniformILi128ELi16ELi4EEvPfPK15HIP_vector_typeIfLj2EEiiiiiiS1_IjLj3EES5_S5_,comdat
.Lfunc_end26:
	.size	_ZL33flash_attn_stream_k_fixup_uniformILi128ELi16ELi4EEvPfPK15HIP_vector_typeIfLj2EEiiiiiiS1_IjLj3EES5_S5_, .Lfunc_end26-_ZL33flash_attn_stream_k_fixup_uniformILi128ELi16ELi4EEvPfPK15HIP_vector_typeIfLj2EEiiiiiiS1_IjLj3EES5_S5_
                                        ; -- End function
	.section	.AMDGPU.csdata,"",@progbits
; Kernel info:
; codeLenInByte = 860
; NumSgprs: 24
; NumVgprs: 17
; NumAgprs: 0
; TotalNumVgprs: 17
; ScratchSize: 0
; MemoryBound: 0
; FloatMode: 240
; IeeeMode: 1
; LDSByteSize: 0 bytes/workgroup (compile time only)
; SGPRBlocks: 2
; VGPRBlocks: 2
; NumSGPRsForWavesPerEU: 24
; NumVGPRsForWavesPerEU: 17
; AccumOffset: 20
; Occupancy: 8
; WaveLimiterHint : 0
; COMPUTE_PGM_RSRC2:SCRATCH_EN: 0
; COMPUTE_PGM_RSRC2:USER_SGPR: 6
; COMPUTE_PGM_RSRC2:TRAP_HANDLER: 0
; COMPUTE_PGM_RSRC2:TGID_X_EN: 1
; COMPUTE_PGM_RSRC2:TGID_Y_EN: 1
; COMPUTE_PGM_RSRC2:TGID_Z_EN: 1
; COMPUTE_PGM_RSRC2:TIDIG_COMP_CNT: 0
; COMPUTE_PGM_RSRC3_GFX90A:ACCUM_OFFSET: 4
; COMPUTE_PGM_RSRC3_GFX90A:TG_SPLIT: 0
	.section	.text._ZL33flash_attn_stream_k_fixup_generalILi128ELi16ELi4EEvPfPK15HIP_vector_typeIfLj2EEiiiiS1_IjLj3EES5_S5_S5_,"axG",@progbits,_ZL33flash_attn_stream_k_fixup_generalILi128ELi16ELi4EEvPfPK15HIP_vector_typeIfLj2EEiiiiS1_IjLj3EES5_S5_S5_,comdat
	.globl	_ZL33flash_attn_stream_k_fixup_generalILi128ELi16ELi4EEvPfPK15HIP_vector_typeIfLj2EEiiiiS1_IjLj3EES5_S5_S5_ ; -- Begin function _ZL33flash_attn_stream_k_fixup_generalILi128ELi16ELi4EEvPfPK15HIP_vector_typeIfLj2EEiiiiS1_IjLj3EES5_S5_S5_
	.p2align	8
	.type	_ZL33flash_attn_stream_k_fixup_generalILi128ELi16ELi4EEvPfPK15HIP_vector_typeIfLj2EEiiiiS1_IjLj3EES5_S5_S5_,@function
_ZL33flash_attn_stream_k_fixup_generalILi128ELi16ELi4EEvPfPK15HIP_vector_typeIfLj2EEiiiiS1_IjLj3EES5_S5_S5_: ; @_ZL33flash_attn_stream_k_fixup_generalILi128ELi16ELi4EEvPfPK15HIP_vector_typeIfLj2EEiiiiS1_IjLj3EES5_S5_S5_
; %bb.0:
	s_load_dwordx4 s[12:15], s[4:5], 0x10
	s_load_dword s9, s[4:5], 0x50
	s_mov_b32 s2, 0
	s_waitcnt lgkmcnt(0)
	s_mul_hi_i32 s3, s15, s6
	s_cmp_lg_u64 s[2:3], 0
	s_mul_i32 s2, s15, s6
	s_cbranch_scc0 .LBB27_21
; %bb.1:
	v_cvt_f32_u32_e32 v1, s9
	v_cvt_f32_ubyte0_e32 v2, 0
	s_sub_u32 s10, 0, s9
	s_subb_u32 s11, 0, 0
	v_madmk_f32 v1, v2, 0x4f800000, v1
	v_rcp_f32_e32 v1, v1
	v_mul_f32_e32 v1, 0x5f7ffffc, v1
	v_mul_f32_e32 v2, 0x2f800000, v1
	v_trunc_f32_e32 v2, v2
	v_madmk_f32 v1, v2, 0xcf800000, v1
	v_cvt_u32_f32_e32 v2, v2
	v_cvt_u32_f32_e32 v1, v1
	v_readfirstlane_b32 s16, v2
	v_readfirstlane_b32 s17, v1
	s_mul_i32 s18, s10, s16
	s_mul_hi_u32 s20, s10, s17
	s_mul_i32 s19, s11, s17
	s_add_i32 s18, s20, s18
	s_add_i32 s18, s18, s19
	s_mul_i32 s21, s10, s17
	s_mul_hi_u32 s19, s17, s18
	s_mul_i32 s20, s17, s18
	s_mul_hi_u32 s17, s17, s21
	s_add_u32 s17, s17, s20
	s_addc_u32 s19, 0, s19
	s_mul_hi_u32 s22, s16, s21
	s_mul_i32 s21, s16, s21
	s_add_u32 s17, s17, s21
	s_mul_hi_u32 s20, s16, s18
	s_addc_u32 s17, s19, s22
	s_addc_u32 s19, s20, 0
	s_mul_i32 s18, s16, s18
	s_add_u32 s17, s17, s18
	s_addc_u32 s18, 0, s19
	v_add_co_u32_e32 v1, vcc, s17, v1
	s_cmp_lg_u64 vcc, 0
	s_addc_u32 s16, s16, s18
	v_readfirstlane_b32 s18, v1
	s_mul_i32 s17, s10, s16
	s_mul_hi_u32 s19, s10, s18
	s_add_i32 s17, s19, s17
	s_mul_i32 s11, s11, s18
	s_add_i32 s17, s17, s11
	s_mul_i32 s10, s10, s18
	s_mul_hi_u32 s19, s16, s10
	s_mul_i32 s20, s16, s10
	s_mul_i32 s22, s18, s17
	s_mul_hi_u32 s10, s18, s10
	s_mul_hi_u32 s21, s18, s17
	s_add_u32 s10, s10, s22
	s_addc_u32 s18, 0, s21
	s_add_u32 s10, s10, s20
	s_mul_hi_u32 s11, s16, s17
	s_addc_u32 s10, s18, s19
	s_addc_u32 s11, s11, 0
	s_mul_i32 s17, s16, s17
	s_add_u32 s10, s10, s17
	s_addc_u32 s11, 0, s11
	v_add_co_u32_e32 v1, vcc, s10, v1
	s_cmp_lg_u64 vcc, 0
	s_addc_u32 s18, s16, s11
	s_ashr_i32 s10, s3, 31
	s_add_u32 s16, s2, s10
	s_mov_b32 s11, s10
	s_addc_u32 s17, s3, s10
	s_xor_b64 s[16:17], s[16:17], s[10:11]
	v_readfirstlane_b32 s20, v1
	s_mul_i32 s19, s16, s18
	s_mul_hi_u32 s21, s16, s20
	s_mul_hi_u32 s3, s16, s18
	s_add_u32 s19, s21, s19
	s_addc_u32 s3, 0, s3
	s_mul_hi_u32 s22, s17, s20
	s_mul_i32 s20, s17, s20
	s_add_u32 s19, s19, s20
	s_mul_hi_u32 s21, s17, s18
	s_addc_u32 s3, s3, s22
	s_addc_u32 s19, s21, 0
	s_mul_i32 s18, s17, s18
	s_add_u32 s3, s3, s18
	s_addc_u32 s18, 0, s19
	s_add_u32 s19, s3, 1
	s_addc_u32 s20, s18, 0
	s_add_u32 s21, s3, 2
	s_mul_i32 s23, s9, s18
	s_mul_hi_u32 s24, s9, s3
	s_addc_u32 s22, s18, 0
	s_add_i32 s24, s24, s23
	s_mul_i32 s23, s9, s3
	v_mov_b32_e32 v1, s23
	v_sub_co_u32_e32 v1, vcc, s16, v1
	s_cmp_lg_u64 vcc, 0
	s_subb_u32 s16, s17, s24
	v_subrev_co_u32_e32 v2, vcc, s9, v1
	s_cmp_lg_u64 vcc, 0
	s_subb_u32 s17, s16, 0
	v_readfirstlane_b32 s23, v2
	s_cmp_ge_u32 s23, s9
	s_cselect_b32 s23, -1, 0
	s_cmp_eq_u32 s17, 0
	s_cselect_b32 s17, s23, -1
	s_cmp_lg_u32 s17, 0
	s_cselect_b32 s17, s22, s20
	v_readfirstlane_b32 s20, v1
	s_cselect_b32 s19, s21, s19
	s_cmp_ge_u32 s20, s9
	s_cselect_b32 s20, -1, 0
	s_cmp_eq_u32 s16, 0
	s_cselect_b32 s16, s20, -1
	s_cmp_lg_u32 s16, 0
	s_cselect_b32 s17, s17, s18
	s_cselect_b32 s16, s19, s3
	s_xor_b64 s[16:17], s[16:17], s[10:11]
	s_sub_u32 s20, s16, s10
	s_load_dwordx4 s[16:19], s[4:5], 0x44
	s_cbranch_execnz .LBB27_3
.LBB27_2:
	v_cvt_f32_u32_e32 v1, s9
	s_sub_i32 s0, 0, s9
	v_rcp_iflag_f32_e32 v1, v1
	v_mul_f32_e32 v1, 0x4f7ffffe, v1
	v_cvt_u32_f32_e32 v1, v1
	v_readfirstlane_b32 s1, v1
	s_mul_i32 s0, s0, s1
	s_mul_hi_u32 s0, s1, s0
	s_add_i32 s1, s1, s0
	s_mul_hi_u32 s0, s2, s1
	s_mul_i32 s3, s0, s9
	s_sub_i32 s2, s2, s3
	s_add_i32 s1, s0, 1
	s_sub_i32 s3, s2, s9
	s_cmp_ge_u32 s2, s9
	s_cselect_b32 s0, s1, s0
	s_cselect_b32 s2, s3, s2
	s_add_i32 s1, s0, 1
	s_cmp_ge_u32 s2, s9
	s_cselect_b32 s20, s1, s0
.LBB27_3:
	s_add_i32 s0, s6, 1
	s_mul_hi_i32 s3, s15, s0
	s_mov_b32 s2, 0
	s_cmp_lg_u64 s[2:3], 0
	s_mul_i32 s2, s15, s0
	s_cbranch_scc0 .LBB27_22
; %bb.4:
	v_cvt_f32_u32_e32 v1, s9
	v_cvt_f32_ubyte0_e32 v2, 0
	s_sub_u32 s10, 0, s9
	s_subb_u32 s11, 0, 0
	v_madmk_f32 v1, v2, 0x4f800000, v1
	v_rcp_f32_e32 v1, v1
	v_mul_f32_e32 v1, 0x5f7ffffc, v1
	v_mul_f32_e32 v2, 0x2f800000, v1
	v_trunc_f32_e32 v2, v2
	v_madmk_f32 v1, v2, 0xcf800000, v1
	v_cvt_u32_f32_e32 v2, v2
	v_cvt_u32_f32_e32 v1, v1
	s_waitcnt lgkmcnt(0)
	v_readfirstlane_b32 s19, v2
	v_readfirstlane_b32 s21, v1
	s_mul_i32 s22, s10, s19
	s_mul_hi_u32 s24, s10, s21
	s_mul_i32 s23, s11, s21
	s_add_i32 s22, s24, s22
	s_add_i32 s22, s22, s23
	s_mul_i32 s25, s10, s21
	s_mul_hi_u32 s23, s21, s22
	s_mul_i32 s24, s21, s22
	s_mul_hi_u32 s21, s21, s25
	s_add_u32 s21, s21, s24
	s_addc_u32 s23, 0, s23
	s_mul_hi_u32 s26, s19, s25
	s_mul_i32 s25, s19, s25
	s_add_u32 s21, s21, s25
	s_mul_hi_u32 s24, s19, s22
	s_addc_u32 s21, s23, s26
	s_addc_u32 s23, s24, 0
	s_mul_i32 s22, s19, s22
	s_add_u32 s21, s21, s22
	s_addc_u32 s22, 0, s23
	v_add_co_u32_e32 v1, vcc, s21, v1
	s_cmp_lg_u64 vcc, 0
	s_addc_u32 s19, s19, s22
	v_readfirstlane_b32 s22, v1
	s_mul_i32 s21, s10, s19
	s_mul_hi_u32 s23, s10, s22
	s_add_i32 s21, s23, s21
	s_mul_i32 s11, s11, s22
	s_add_i32 s21, s21, s11
	s_mul_i32 s10, s10, s22
	s_mul_hi_u32 s23, s19, s10
	s_mul_i32 s24, s19, s10
	s_mul_i32 s26, s22, s21
	s_mul_hi_u32 s10, s22, s10
	s_mul_hi_u32 s25, s22, s21
	s_add_u32 s10, s10, s26
	s_addc_u32 s22, 0, s25
	s_add_u32 s10, s10, s24
	s_mul_hi_u32 s11, s19, s21
	s_addc_u32 s10, s22, s23
	s_addc_u32 s11, s11, 0
	s_mul_i32 s21, s19, s21
	s_add_u32 s10, s10, s21
	s_addc_u32 s11, 0, s11
	v_add_co_u32_e32 v1, vcc, s10, v1
	s_cmp_lg_u64 vcc, 0
	s_addc_u32 s19, s19, s11
	s_ashr_i32 s10, s3, 31
	s_add_u32 s22, s2, s10
	s_mov_b32 s11, s10
	s_addc_u32 s23, s3, s10
	s_xor_b64 s[22:23], s[22:23], s[10:11]
	v_readfirstlane_b32 s21, v1
	s_mul_i32 s11, s22, s19
	s_mul_hi_u32 s24, s22, s21
	s_mul_hi_u32 s3, s22, s19
	s_add_u32 s11, s24, s11
	s_addc_u32 s3, 0, s3
	s_mul_hi_u32 s25, s23, s21
	s_mul_i32 s21, s23, s21
	s_add_u32 s11, s11, s21
	s_mul_hi_u32 s24, s23, s19
	s_addc_u32 s3, s3, s25
	s_addc_u32 s11, s24, 0
	s_mul_i32 s19, s23, s19
	s_add_u32 s3, s3, s19
	s_addc_u32 s11, 0, s11
	s_mul_i32 s11, s9, s11
	s_mul_hi_u32 s24, s9, s3
	s_add_i32 s24, s24, s11
	s_mul_i32 s11, s9, s3
	v_mov_b32_e32 v1, s11
	s_add_u32 s19, s3, 1
	s_add_u32 s21, s3, 2
	v_sub_co_u32_e32 v1, vcc, s22, v1
	s_cmp_lg_u64 vcc, 0
	s_subb_u32 s11, s23, s24
	v_subrev_co_u32_e32 v2, vcc, s9, v1
	s_cmp_lg_u64 vcc, 0
	s_subb_u32 s22, s11, 0
	v_cmp_le_u32_e32 vcc, s9, v2
	s_cmp_eq_u32 s22, 0
	v_cndmask_b32_e64 v2, 0, -1, vcc
	s_cselect_b64 vcc, -1, 0
	v_cndmask_b32_e32 v2, -1, v2, vcc
	v_mov_b32_e32 v3, s19
	v_mov_b32_e32 v4, s21
	v_cmp_ne_u32_e32 vcc, 0, v2
	v_cndmask_b32_e32 v2, v3, v4, vcc
	v_cmp_le_u32_e32 vcc, s9, v1
	s_cmp_eq_u32 s11, 0
	v_cndmask_b32_e64 v1, 0, -1, vcc
	s_cselect_b64 vcc, -1, 0
	v_cndmask_b32_e32 v1, -1, v1, vcc
	v_mov_b32_e32 v3, s3
	v_cmp_ne_u32_e32 vcc, 0, v1
	v_cndmask_b32_e32 v1, v3, v2, vcc
	v_xor_b32_e32 v1, s10, v1
	v_subrev_co_u32_e32 v2, vcc, s10, v1
	s_cbranch_execnz .LBB27_6
.LBB27_5:
	v_cvt_f32_u32_e32 v1, s9
	s_sub_i32 s0, 0, s9
	s_mov_b32 s1, 0
	v_rcp_iflag_f32_e32 v1, v1
	v_mul_f32_e32 v1, 0x4f7ffffe, v1
	v_cvt_u32_f32_e32 v1, v1
	v_readfirstlane_b32 s3, v1
	s_mul_i32 s0, s0, s3
	s_mul_hi_u32 s0, s3, s0
	s_add_i32 s3, s3, s0
	s_mul_hi_u32 s0, s2, s3
	s_mul_i32 s10, s0, s9
	s_sub_i32 s2, s2, s10
	s_add_i32 s3, s0, 1
	s_sub_i32 s10, s2, s9
	s_cmp_ge_u32 s2, s9
	s_cselect_b32 s0, s3, s0
	s_cselect_b32 s2, s10, s2
	s_add_i32 s3, s0, 1
	s_cmp_ge_u32 s2, s9
	s_cselect_b32 s0, s3, s0
	v_pk_mov_b32 v[2:3], s[0:1], s[0:1] op_sel:[0,1]
.LBB27_6:
	s_waitcnt lgkmcnt(0)
	s_mul_hi_u32 s0, s20, s16
	s_add_i32 s0, s0, s20
	v_mul_hi_u32 v1, v2, s16
	s_lshr_b32 s19, s0, s17
	v_add_u32_e32 v1, v1, v2
	s_mul_i32 s0, s19, s18
	v_lshrrev_b32_e32 v1, s17, v1
	s_cmp_eq_u32 s0, s20
	v_cmp_eq_u32_e64 s[0:1], s19, v1
	v_mul_lo_u32 v1, v1, s18
	v_cmp_eq_u32_e32 vcc, s20, v2
	s_cselect_b64 s[10:11], -1, 0
	v_cmp_ne_u32_e64 s[2:3], v1, v2
	s_and_b64 s[0:1], s[0:1], s[2:3]
	s_or_b64 s[2:3], vcc, s[10:11]
	s_or_b64 s[0:1], s[2:3], s[0:1]
	s_and_b64 vcc, exec, s[0:1]
	s_cbranch_vccnz .LBB27_24
; %bb.7:
	s_load_dwordx8 s[24:31], s[4:5], 0x20
	s_load_dword s0, s[4:5], 0x40
	s_mov_b32 s10, 0
	s_waitcnt lgkmcnt(0)
	s_mul_hi_u32 s1, s20, s24
	s_add_i32 s1, s1, s20
	s_lshr_b32 s11, s1, s25
	s_mul_i32 s1, s11, s26
	s_sub_i32 s1, s20, s1
	s_mul_hi_u32 s2, s1, s27
	s_add_i32 s2, s1, s2
	s_lshr_b32 s24, s2, s28
	s_mul_i32 s2, s24, s29
	s_sub_i32 s1, s1, s2
	;; [unrolled: 5-line block ×3, first 2 shown]
	s_mul_hi_u32 s1, s0, s16
	s_add_i32 s0, s0, s1
	s_lshr_b32 s26, s0, s17
	s_lshl_b32 s0, s26, 4
	s_lshl_b32 s25, s2, 2
	s_add_i32 s0, s0, s7
	s_cmp_lt_i32 s0, s12
	s_cselect_b64 s[0:1], -1, 0
	s_add_i32 s2, s25, s8
	s_cmp_lt_i32 s2, s14
	s_cselect_b64 s[2:3], -1, 0
	s_and_b64 s[0:1], s[0:1], s[2:3]
	s_andn2_b64 vcc, exec, s[0:1]
	s_cbranch_vccnz .LBB27_24
; %bb.8:
	s_load_dwordx4 s[0:3], s[4:5], 0x0
	s_lshl_b32 s21, s7, 2
	s_lshl_b32 s4, s9, 8
	s_mov_b32 s5, s10
	s_add_i32 s21, s21, s8
	s_lshl_b64 s[4:5], s[4:5], 2
	s_waitcnt lgkmcnt(0)
	s_add_u32 s22, s2, s4
	s_mul_i32 s4, s11, s12
	s_addc_u32 s23, s3, s5
	s_add_i32 s4, s4, s7
	s_mul_i32 s4, s4, s13
	s_mul_i32 s24, s24, s14
	s_add_i32 s4, s4, s8
	s_add_i32 s4, s4, s24
	s_mul_i32 s5, s13, s26
	s_add_i32 s4, s4, s25
	s_lshl_b32 s5, s5, 11
	s_lshl_b32 s4, s4, 7
	s_add_i32 s5, s5, s4
	v_or_b32_e32 v2, s5, v0
	v_ashrrev_i32_e32 v3, 31, v2
	v_lshlrev_b64 v[2:3], 2, v[2:3]
	v_mov_b32_e32 v1, s1
	v_add_co_u32_e32 v2, vcc, s0, v2
	v_addc_co_u32_e32 v3, vcc, v1, v3, vcc
	global_load_dword v5, v[2:3], off
	v_lshl_or_b32 v4, s21, 7, v0
	v_cvt_f32_u32_e32 v0, s9
	v_cvt_f32_ubyte0_e32 v1, 0
	s_lshl_b32 s0, s6, 6
	s_add_i32 s0, s21, s0
	v_mac_f32_e32 v0, 0x4f800000, v1
	v_rcp_f32_e32 v0, v0
	v_cvt_f32_u32_e32 v1, s9
	s_ashr_i32 s1, s0, 31
	s_lshl_b64 s[0:1], s[0:1], 3
	v_mul_f32_e32 v0, 0x5f7ffffc, v0
	v_rcp_iflag_f32_e32 v1, v1
	s_add_u32 s0, s2, s0
	v_mul_f32_e32 v9, 0x2f800000, v0
	s_addc_u32 s1, s3, s1
	v_trunc_f32_e32 v10, v9
	s_load_dwordx2 s[0:1], s[0:1], 0x0
	v_mac_f32_e32 v0, 0xcf800000, v10
	v_cvt_u32_f32_e32 v9, v0
	v_mul_f32_e32 v0, 0x4f7ffffe, v1
	v_cvt_u32_f32_e32 v10, v10
	v_cvt_u32_f32_e32 v11, v0
	s_add_i32 s8, s6, -1
	s_waitcnt lgkmcnt(0)
	v_mov_b32_e32 v6, s1
	v_mov_b32_e32 v7, s0
	;; [unrolled: 1-line block ×3, first 2 shown]
	s_mov_b32 s6, 0x3fb8aa3b
	s_mov_b32 s7, 0xc2ce8ed0
	;; [unrolled: 1-line block ×4, first 2 shown]
	v_mov_b32_e32 v12, 0x7f800000
	s_mul_hi_i32 s11, s8, s15
	s_cmp_lg_u64 s[10:11], 0
	s_mul_i32 s4, s8, s15
	s_cbranch_scc0 .LBB27_15
.LBB27_9:
	s_sub_u32 s0, 0, s9
	v_readfirstlane_b32 s5, v9
	v_readfirstlane_b32 s24, v10
	s_subb_u32 s1, 0, 0
	s_mul_hi_u32 s20, s0, s5
	s_mul_i32 s25, s0, s24
	s_mul_i32 s14, s1, s5
	s_add_i32 s20, s20, s25
	s_add_i32 s20, s20, s14
	s_mul_i32 s26, s0, s5
	s_mul_hi_u32 s14, s5, s20
	s_mul_i32 s25, s5, s20
	s_mul_hi_u32 s5, s5, s26
	s_add_u32 s5, s5, s25
	s_addc_u32 s14, 0, s14
	s_mul_hi_u32 s27, s24, s26
	s_mul_i32 s26, s24, s26
	s_add_u32 s5, s5, s26
	s_mul_hi_u32 s25, s24, s20
	s_addc_u32 s5, s14, s27
	s_addc_u32 s14, s25, 0
	s_mul_i32 s20, s24, s20
	s_add_u32 s5, s5, s20
	s_addc_u32 s14, 0, s14
	v_add_co_u32_e32 v0, vcc, s5, v9
	s_cmp_lg_u64 vcc, 0
	s_addc_u32 s5, s24, s14
	v_readfirstlane_b32 s20, v0
	s_mul_i32 s14, s0, s5
	s_mul_hi_u32 s24, s0, s20
	s_add_i32 s14, s24, s14
	s_mul_i32 s1, s1, s20
	s_add_i32 s14, s14, s1
	s_mul_i32 s0, s0, s20
	s_mul_hi_u32 s24, s5, s0
	s_mul_i32 s25, s5, s0
	s_mul_i32 s27, s20, s14
	s_mul_hi_u32 s0, s20, s0
	s_mul_hi_u32 s26, s20, s14
	s_add_u32 s0, s0, s27
	s_addc_u32 s20, 0, s26
	s_add_u32 s0, s0, s25
	s_mul_hi_u32 s1, s5, s14
	s_addc_u32 s0, s20, s24
	s_addc_u32 s1, s1, 0
	s_mul_i32 s14, s5, s14
	s_add_u32 s0, s0, s14
	s_addc_u32 s1, 0, s1
	v_add_co_u32_e32 v0, vcc, s0, v0
	s_cmp_lg_u64 vcc, 0
	s_addc_u32 s5, s5, s1
	s_ashr_i32 s0, s11, 31
	s_add_u32 s24, s4, s0
	s_mov_b32 s1, s0
	s_addc_u32 s25, s11, s0
	s_xor_b64 s[24:25], s[24:25], s[0:1]
	v_readfirstlane_b32 s14, v0
	s_mul_i32 s11, s24, s5
	s_mul_hi_u32 s20, s24, s14
	s_mul_hi_u32 s1, s24, s5
	s_add_u32 s11, s20, s11
	s_addc_u32 s1, 0, s1
	s_mul_hi_u32 s26, s25, s14
	s_mul_i32 s14, s25, s14
	s_add_u32 s11, s11, s14
	s_mul_hi_u32 s20, s25, s5
	s_addc_u32 s1, s1, s26
	s_addc_u32 s11, s20, 0
	s_mul_i32 s5, s25, s5
	s_add_u32 s1, s1, s5
	s_addc_u32 s5, 0, s11
	s_mul_i32 s5, s9, s5
	s_mul_hi_u32 s20, s9, s1
	s_add_i32 s20, s20, s5
	s_mul_i32 s5, s9, s1
	v_mov_b32_e32 v0, s5
	s_add_u32 s11, s1, 1
	s_add_u32 s14, s1, 2
	v_sub_co_u32_e32 v0, vcc, s24, v0
	s_cmp_lg_u64 vcc, 0
	s_subb_u32 s5, s25, s20
	v_subrev_co_u32_e32 v1, vcc, s9, v0
	s_cmp_lg_u64 vcc, 0
	s_subb_u32 s20, s5, 0
	v_cmp_le_u32_e32 vcc, s9, v1
	s_cmp_eq_u32 s20, 0
	v_cndmask_b32_e64 v1, 0, -1, vcc
	s_cselect_b64 vcc, -1, 0
	v_cndmask_b32_e32 v1, -1, v1, vcc
	v_mov_b32_e32 v13, s11
	v_mov_b32_e32 v14, s14
	v_cmp_ne_u32_e32 vcc, 0, v1
	v_cndmask_b32_e32 v1, v13, v14, vcc
	v_cmp_le_u32_e32 vcc, s9, v0
	s_cmp_eq_u32 s5, 0
	v_cndmask_b32_e64 v0, 0, -1, vcc
	s_cselect_b64 vcc, -1, 0
	v_cndmask_b32_e32 v0, -1, v0, vcc
	v_mov_b32_e32 v13, s1
	v_cmp_ne_u32_e32 vcc, 0, v0
	v_cndmask_b32_e32 v0, v13, v1, vcc
	v_xor_b32_e32 v0, s0, v0
	v_subrev_co_u32_e32 v0, vcc, s0, v0
	s_cbranch_execnz .LBB27_11
.LBB27_10:
	s_sub_i32 s0, 0, s9
	v_mul_lo_u32 v0, s0, v11
	v_mul_hi_u32 v0, v11, v0
	v_add_u32_e32 v0, v11, v0
	v_mul_hi_u32 v0, s4, v0
	v_mul_lo_u32 v13, v0, s9
	v_sub_u32_e32 v13, s4, v13
	v_add_u32_e32 v1, 1, v0
	v_subrev_u32_e32 v14, s9, v13
	v_cmp_le_u32_e32 vcc, s9, v13
	v_cndmask_b32_e32 v13, v13, v14, vcc
	v_cndmask_b32_e32 v0, v0, v1, vcc
	v_add_u32_e32 v1, 1, v0
	v_cmp_le_u32_e32 vcc, s9, v13
	v_cndmask_b32_e32 v0, v0, v1, vcc
.LBB27_11:
	v_cmp_ne_u32_e32 vcc, v8, v0
	s_cbranch_vccz .LBB27_14
; %bb.12:
	s_add_i32 s0, s8, s9
	s_lshl_b32 s0, s0, 6
	v_mul_hi_u32 v1, v0, s16
	s_add_i32 s0, s0, s21
	s_mov_b32 s1, s10
	v_add_u32_e32 v1, v1, v0
	s_lshl_b64 s[0:1], s[0:1], 3
	v_lshrrev_b32_e32 v1, s17, v1
	s_add_u32 s4, s2, s0
	v_mul_lo_u32 v13, v1, s18
	s_addc_u32 s5, s3, s1
	v_cmp_eq_u32_e32 vcc, v13, v0
	v_cmp_gt_u32_e64 s[0:1], s19, v1
	s_or_b64 s[0:1], s[0:1], vcc
	s_and_b64 vcc, exec, s[0:1]
	s_cbranch_vccnz .LBB27_16
; %bb.13:
	s_add_i32 s11, s8, -1
	s_mov_b64 s[0:1], 0
	s_branch .LBB27_17
.LBB27_14:
                                        ; implicit-def: $sgpr0_sgpr1
                                        ; implicit-def: $vgpr14
                                        ; implicit-def: $vgpr1
                                        ; implicit-def: $vgpr13
                                        ; implicit-def: $sgpr11
                                        ; implicit-def: $vgpr0
	s_branch .LBB27_18
.LBB27_15:
                                        ; implicit-def: $vgpr0_vgpr1
	s_branch .LBB27_10
.LBB27_16:
	s_mov_b64 s[0:1], -1
	s_mov_b32 s11, s8
	v_mov_b32_e32 v0, v8
.LBB27_17:
	v_lshl_add_u32 v14, s8, 13, v4
	v_ashrrev_i32_e32 v15, 31, v14
	v_lshlrev_b64 v[14:15], 2, v[14:15]
	v_mov_b32_e32 v1, s23
	v_add_co_u32_e32 v14, vcc, s22, v14
	v_addc_co_u32_e32 v15, vcc, v1, v15, vcc
	global_load_dword v14, v[14:15], off
	s_load_dwordx2 s[4:5], s[4:5], 0x0
	v_max_f32_e32 v1, v7, v7
	s_waitcnt lgkmcnt(0)
	v_max_f32_e64 v13, s4, s4
	v_max_f32_e32 v1, v1, v13
	v_sub_f32_e32 v13, v7, v1
	v_sub_f32_e32 v15, s4, v1
	v_mul_f32_e32 v16, 0x3fb8aa3b, v13
	v_mul_f32_e32 v17, 0x3fb8aa3b, v15
	v_fma_f32 v18, v13, s6, -v16
	v_rndne_f32_e32 v19, v16
	v_fma_f32 v20, v15, s6, -v17
	v_rndne_f32_e32 v21, v17
	v_fmac_f32_e32 v18, 0x32a5705f, v13
	v_sub_f32_e32 v16, v16, v19
	v_fmac_f32_e32 v20, 0x32a5705f, v15
	v_sub_f32_e32 v17, v17, v21
	v_add_f32_e32 v16, v16, v18
	v_cvt_i32_f32_e32 v19, v19
	v_add_f32_e32 v17, v17, v20
	v_exp_f32_e32 v16, v16
	v_cvt_i32_f32_e32 v21, v21
	v_exp_f32_e32 v17, v17
	v_cmp_ngt_f32_e32 vcc, s7, v13
	v_ldexp_f32 v16, v16, v19
	v_cndmask_b32_e32 v16, 0, v16, vcc
	v_ldexp_f32 v17, v17, v21
	v_cmp_ngt_f32_e32 vcc, s7, v15
	v_cndmask_b32_e32 v17, 0, v17, vcc
	v_cmp_nlt_f32_e32 vcc, s12, v13
	v_cndmask_b32_e32 v16, v12, v16, vcc
	v_cmp_nlt_f32_e32 vcc, s12, v15
	v_cndmask_b32_e32 v17, v12, v17, vcc
	v_cmp_le_f32_e32 vcc, s13, v13
	v_cndmask_b32_e32 v16, 0, v16, vcc
	v_cmp_le_f32_e32 vcc, s13, v15
	v_cndmask_b32_e32 v15, 0, v17, vcc
	v_mul_f32_e32 v13, s5, v15
	v_fmac_f32_e32 v13, v6, v16
	s_waitcnt vmcnt(0)
	v_mul_f32_e32 v14, v14, v15
	v_fmac_f32_e32 v14, v5, v16
	s_cbranch_execnz .LBB27_19
.LBB27_18:
	s_add_i32 s11, s8, -1
	s_mov_b64 s[0:1], 0
	v_mov_b32_e32 v0, v8
	v_mov_b32_e32 v13, v6
	;; [unrolled: 1-line block ×3, first 2 shown]
	s_waitcnt vmcnt(0)
	v_mov_b32_e32 v14, v5
.LBB27_19:
	s_andn2_b64 vcc, exec, s[0:1]
	s_cbranch_vccz .LBB27_23
; %bb.20:
	v_mov_b32_e32 v8, v0
	s_mov_b32 s8, s11
	v_mov_b32_e32 v6, v13
	v_mov_b32_e32 v7, v1
	s_waitcnt vmcnt(0)
	v_mov_b32_e32 v5, v14
	s_mul_hi_i32 s11, s8, s15
	s_cmp_lg_u64 s[10:11], 0
	s_mul_i32 s4, s8, s15
	s_cbranch_scc1 .LBB27_9
	s_branch .LBB27_15
.LBB27_21:
                                        ; implicit-def: $sgpr20_sgpr21
	s_load_dwordx4 s[16:19], s[4:5], 0x44
	s_branch .LBB27_2
.LBB27_22:
                                        ; implicit-def: $vgpr2_vgpr3
	s_branch .LBB27_5
.LBB27_23:
	v_div_scale_f32 v0, s[0:1], v13, v13, v14
	v_rcp_f32_e32 v1, v0
	v_div_scale_f32 v4, vcc, v14, v13, v14
	s_waitcnt vmcnt(0)
	v_fma_f32 v5, -v0, v1, 1.0
	v_fmac_f32_e32 v1, v5, v1
	v_mul_f32_e32 v5, v4, v1
	v_fma_f32 v6, -v0, v5, v4
	v_fmac_f32_e32 v5, v6, v1
	v_fma_f32 v0, -v0, v5, v4
	v_div_fmas_f32 v0, v0, v1, v5
	v_div_fixup_f32 v0, v0, v13, v14
	global_store_dword v[2:3], v0, off
.LBB27_24:
	s_endpgm
	.section	.rodata,"a",@progbits
	.p2align	6, 0x0
	.amdhsa_kernel _ZL33flash_attn_stream_k_fixup_generalILi128ELi16ELi4EEvPfPK15HIP_vector_typeIfLj2EEiiiiS1_IjLj3EES5_S5_S5_
		.amdhsa_group_segment_fixed_size 0
		.amdhsa_private_segment_fixed_size 0
		.amdhsa_kernarg_size 336
		.amdhsa_user_sgpr_count 6
		.amdhsa_user_sgpr_private_segment_buffer 1
		.amdhsa_user_sgpr_dispatch_ptr 0
		.amdhsa_user_sgpr_queue_ptr 0
		.amdhsa_user_sgpr_kernarg_segment_ptr 1
		.amdhsa_user_sgpr_dispatch_id 0
		.amdhsa_user_sgpr_flat_scratch_init 0
		.amdhsa_user_sgpr_kernarg_preload_length 0
		.amdhsa_user_sgpr_kernarg_preload_offset 0
		.amdhsa_user_sgpr_private_segment_size 0
		.amdhsa_uses_dynamic_stack 0
		.amdhsa_system_sgpr_private_segment_wavefront_offset 0
		.amdhsa_system_sgpr_workgroup_id_x 1
		.amdhsa_system_sgpr_workgroup_id_y 1
		.amdhsa_system_sgpr_workgroup_id_z 1
		.amdhsa_system_sgpr_workgroup_info 0
		.amdhsa_system_vgpr_workitem_id 0
		.amdhsa_next_free_vgpr 22
		.amdhsa_next_free_sgpr 32
		.amdhsa_accum_offset 24
		.amdhsa_reserve_vcc 1
		.amdhsa_reserve_flat_scratch 0
		.amdhsa_float_round_mode_32 0
		.amdhsa_float_round_mode_16_64 0
		.amdhsa_float_denorm_mode_32 3
		.amdhsa_float_denorm_mode_16_64 3
		.amdhsa_dx10_clamp 1
		.amdhsa_ieee_mode 1
		.amdhsa_fp16_overflow 0
		.amdhsa_tg_split 0
		.amdhsa_exception_fp_ieee_invalid_op 0
		.amdhsa_exception_fp_denorm_src 0
		.amdhsa_exception_fp_ieee_div_zero 0
		.amdhsa_exception_fp_ieee_overflow 0
		.amdhsa_exception_fp_ieee_underflow 0
		.amdhsa_exception_fp_ieee_inexact 0
		.amdhsa_exception_int_div_zero 0
	.end_amdhsa_kernel
	.section	.text._ZL33flash_attn_stream_k_fixup_generalILi128ELi16ELi4EEvPfPK15HIP_vector_typeIfLj2EEiiiiS1_IjLj3EES5_S5_S5_,"axG",@progbits,_ZL33flash_attn_stream_k_fixup_generalILi128ELi16ELi4EEvPfPK15HIP_vector_typeIfLj2EEiiiiS1_IjLj3EES5_S5_S5_,comdat
.Lfunc_end27:
	.size	_ZL33flash_attn_stream_k_fixup_generalILi128ELi16ELi4EEvPfPK15HIP_vector_typeIfLj2EEiiiiS1_IjLj3EES5_S5_S5_, .Lfunc_end27-_ZL33flash_attn_stream_k_fixup_generalILi128ELi16ELi4EEvPfPK15HIP_vector_typeIfLj2EEiiiiS1_IjLj3EES5_S5_S5_
                                        ; -- End function
	.section	.AMDGPU.csdata,"",@progbits
; Kernel info:
; codeLenInByte = 2824
; NumSgprs: 36
; NumVgprs: 22
; NumAgprs: 0
; TotalNumVgprs: 22
; ScratchSize: 0
; MemoryBound: 0
; FloatMode: 240
; IeeeMode: 1
; LDSByteSize: 0 bytes/workgroup (compile time only)
; SGPRBlocks: 4
; VGPRBlocks: 2
; NumSGPRsForWavesPerEU: 36
; NumVGPRsForWavesPerEU: 22
; AccumOffset: 24
; Occupancy: 8
; WaveLimiterHint : 0
; COMPUTE_PGM_RSRC2:SCRATCH_EN: 0
; COMPUTE_PGM_RSRC2:USER_SGPR: 6
; COMPUTE_PGM_RSRC2:TRAP_HANDLER: 0
; COMPUTE_PGM_RSRC2:TGID_X_EN: 1
; COMPUTE_PGM_RSRC2:TGID_Y_EN: 1
; COMPUTE_PGM_RSRC2:TGID_Z_EN: 1
; COMPUTE_PGM_RSRC2:TIDIG_COMP_CNT: 0
; COMPUTE_PGM_RSRC3_GFX90A:ACCUM_OFFSET: 5
; COMPUTE_PGM_RSRC3_GFX90A:TG_SPLIT: 0
	.section	.text._ZL26flash_attn_combine_resultsILi128EEvPKfPK15HIP_vector_typeIfLj2EEPfi,"axG",@progbits,_ZL26flash_attn_combine_resultsILi128EEvPKfPK15HIP_vector_typeIfLj2EEPfi,comdat
	.globl	_ZL26flash_attn_combine_resultsILi128EEvPKfPK15HIP_vector_typeIfLj2EEPfi ; -- Begin function _ZL26flash_attn_combine_resultsILi128EEvPKfPK15HIP_vector_typeIfLj2EEPfi
	.p2align	8
	.type	_ZL26flash_attn_combine_resultsILi128EEvPKfPK15HIP_vector_typeIfLj2EEPfi,@function
_ZL26flash_attn_combine_resultsILi128EEvPKfPK15HIP_vector_typeIfLj2EEPfi: ; @_ZL26flash_attn_combine_resultsILi128EEvPKfPK15HIP_vector_typeIfLj2EEPfi
; %bb.0:
	s_load_dwordx2 s[10:11], s[4:5], 0x20
	s_load_dword s17, s[4:5], 0x18
	s_load_dwordx4 s[0:3], s[4:5], 0x0
	s_load_dwordx2 s[14:15], s[4:5], 0x10
	s_waitcnt lgkmcnt(0)
	s_mul_i32 s4, s10, s8
	s_add_i32 s4, s4, s6
	s_mul_i32 s16, s4, s11
	s_add_i32 s16, s16, s7
	s_lshl_b32 s18, s17, 1
	s_mul_i32 s4, s16, s17
	v_cmp_gt_i32_e32 vcc, s18, v0
	s_and_saveexec_b64 s[6:7], vcc
	s_cbranch_execz .LBB28_13
; %bb.1:
	v_xad_u32 v1, v0, -1, s18
	s_movk_i32 s8, 0x7f
	s_ashr_i32 s5, s4, 31
	v_cmp_lt_u32_e32 vcc, s8, v1
	s_mov_b64 s[10:11], -1
	v_mov_b32_e32 v2, v0
	s_and_saveexec_b64 s[8:9], vcc
	s_cbranch_execz .LBB28_10
; %bb.2:
	v_lshrrev_b32_e32 v6, 7, v1
	s_lshl_b64 s[10:11], s[4:5], 3
	v_add_u32_e32 v2, -1, v6
	s_add_u32 s19, s2, s10
	v_or_b32_e32 v1, 0x80, v0
	v_lshrrev_b32_e32 v3, 1, v2
	s_addc_u32 s20, s3, s11
	v_add_u32_e32 v7, 1, v3
	v_cmp_lt_u32_e32 vcc, 13, v2
	v_mov_b32_e32 v4, 0
	v_pk_mov_b32 v[2:3], v[0:1], v[0:1] op_sel:[0,1]
	s_and_saveexec_b64 s[10:11], vcc
	s_cbranch_execz .LBB28_6
; %bb.3:
	v_and_b32_e32 v8, -8, v7
	s_mov_b32 s21, 0
	v_lshl_add_u32 v9, v0, 2, 0
	s_mov_b64 s[12:13], 0
	v_mov_b32_e32 v10, s20
	v_mov_b32_e32 v5, 0
	v_pk_mov_b32 v[2:3], v[0:1], v[0:1] op_sel:[0,1]
.LBB28_4:                               ; =>This Inner Loop Header: Depth=1
	v_mov_b32_e32 v4, v2
	v_lshlrev_b64 v[26:27], 2, v[4:5]
	v_add_u32_e32 v12, 0x100, v3
	v_mov_b32_e32 v13, v5
	v_add_co_u32_e32 v26, vcc, s19, v26
	v_lshlrev_b64 v[12:13], 2, v[12:13]
	v_addc_co_u32_e32 v27, vcc, v10, v27, vcc
	v_add_u32_e32 v14, 0x200, v3
	v_mov_b32_e32 v15, v5
	v_add_co_u32_e32 v12, vcc, s19, v12
	v_lshlrev_b64 v[14:15], 2, v[14:15]
	v_addc_co_u32_e32 v13, vcc, v10, v13, vcc
	;; [unrolled: 5-line block ×7, first 2 shown]
	v_mov_b32_e32 v4, v3
	v_add_co_u32_e32 v24, vcc, s19, v24
	v_lshlrev_b64 v[28:29], 2, v[4:5]
	v_addc_co_u32_e32 v25, vcc, v10, v25, vcc
	v_add_u32_e32 v4, 0x100, v2
	v_add_co_u32_e32 v28, vcc, s19, v28
	v_addc_co_u32_e32 v29, vcc, v10, v29, vcc
	global_load_dword v1, v[26:27], off
	v_lshlrev_b64 v[26:27], 2, v[4:5]
	v_add_u32_e32 v4, 0x200, v2
	v_add_co_u32_e32 v26, vcc, s19, v26
	v_addc_co_u32_e32 v27, vcc, v10, v27, vcc
	v_lshlrev_b64 v[30:31], 2, v[4:5]
	v_add_u32_e32 v4, 0x300, v2
	global_load_dword v11, v[28:29], off
	global_load_dword v32, v[26:27], off
	;; [unrolled: 1-line block ×3, first 2 shown]
	v_add_co_u32_e32 v12, vcc, s19, v30
	v_addc_co_u32_e32 v13, vcc, v10, v31, vcc
	v_lshlrev_b64 v[26:27], 2, v[4:5]
	v_add_u32_e32 v4, 0x400, v2
	v_add_co_u32_e32 v26, vcc, s19, v26
	v_addc_co_u32_e32 v27, vcc, v10, v27, vcc
	v_lshlrev_b64 v[28:29], 2, v[4:5]
	v_add_u32_e32 v4, 0x500, v2
	global_load_dword v30, v[12:13], off
	global_load_dword v31, v[14:15], off
	;; [unrolled: 1-line block ×4, first 2 shown]
	v_add_co_u32_e32 v12, vcc, s19, v28
	v_addc_co_u32_e32 v13, vcc, v10, v29, vcc
	v_lshlrev_b64 v[14:15], 2, v[4:5]
	v_add_u32_e32 v4, 0x600, v2
	v_add_co_u32_e32 v14, vcc, s19, v14
	v_addc_co_u32_e32 v15, vcc, v10, v15, vcc
	v_lshlrev_b64 v[16:17], 2, v[4:5]
	v_add_u32_e32 v4, 0x700, v2
	global_load_dword v26, v[12:13], off
	global_load_dword v27, v[18:19], off
	;; [unrolled: 1-line block ×4, first 2 shown]
	v_add_co_u32_e32 v12, vcc, s19, v16
	v_addc_co_u32_e32 v13, vcc, v10, v17, vcc
	v_lshlrev_b64 v[14:15], 2, v[4:5]
	v_add_co_u32_e32 v14, vcc, s19, v14
	v_addc_co_u32_e32 v15, vcc, v10, v15, vcc
	global_load_dword v16, v[12:13], off
	global_load_dword v17, v[22:23], off
	;; [unrolled: 1-line block ×4, first 2 shown]
	v_add_u32_e32 v8, -8, v8
	s_add_i32 s21, s21, 16
	v_cmp_eq_u32_e32 vcc, 0, v8
	v_add_u32_e32 v3, 0x800, v3
	v_mov_b32_e32 v4, s21
	s_or_b64 s[12:13], vcc, s[12:13]
	v_add_u32_e32 v2, 0x800, v2
	s_waitcnt vmcnt(14)
	ds_write2st64_b32 v9, v1, v11 offset1:2
	s_waitcnt vmcnt(12)
	ds_write2st64_b32 v9, v32, v33 offset0:4 offset1:6
	s_waitcnt vmcnt(10)
	ds_write2st64_b32 v9, v30, v31 offset0:8 offset1:10
	;; [unrolled: 2-line block ×7, first 2 shown]
	v_add_u32_e32 v9, 0x2000, v9
	s_andn2_b64 exec, exec, s[12:13]
	s_cbranch_execnz .LBB28_4
; %bb.5:
	s_or_b64 exec, exec, s[12:13]
.LBB28_6:
	s_or_b64 exec, exec, s[10:11]
	v_and_b32_e32 v1, 7, v7
	v_cmp_ne_u32_e32 vcc, 0, v1
	s_and_saveexec_b64 s[10:11], vcc
	s_cbranch_execz .LBB28_9
; %bb.7:
	v_lshlrev_b32_e32 v5, 2, v0
	v_lshl_or_b32 v4, v4, 9, v5
	v_add_u32_e32 v7, 0, v4
	s_mov_b64 s[12:13], 0
	v_mov_b32_e32 v8, s20
	v_mov_b32_e32 v5, 0
.LBB28_8:                               ; =>This Inner Loop Header: Depth=1
	v_mov_b32_e32 v4, v2
	v_lshlrev_b64 v[10:11], 2, v[4:5]
	v_mov_b32_e32 v4, v3
	v_add_co_u32_e32 v10, vcc, s19, v10
	v_addc_co_u32_e32 v11, vcc, v8, v11, vcc
	v_lshlrev_b64 v[12:13], 2, v[4:5]
	v_add_co_u32_e32 v12, vcc, s19, v12
	v_addc_co_u32_e32 v13, vcc, v8, v13, vcc
	global_load_dword v4, v[10:11], off
	global_load_dword v9, v[12:13], off
	v_add_u32_e32 v1, -1, v1
	v_cmp_eq_u32_e32 vcc, 0, v1
	v_add_u32_e32 v2, 0x100, v2
	v_add_u32_e32 v3, 0x100, v3
	s_or_b64 s[12:13], vcc, s[12:13]
	s_waitcnt vmcnt(0)
	ds_write2st64_b32 v7, v4, v9 offset1:2
	v_add_u32_e32 v7, 0x400, v7
	s_andn2_b64 exec, exec, s[12:13]
	s_cbranch_execnz .LBB28_8
.LBB28_9:
	s_or_b64 exec, exec, s[10:11]
	v_add_u32_e32 v1, 1, v6
	v_and_b32_e32 v3, 0x3fffffe, v1
	v_cmp_ne_u32_e32 vcc, v1, v3
	v_lshl_or_b32 v2, v3, 7, v0
	s_orn2_b64 s[10:11], vcc, exec
.LBB28_10:
	s_or_b64 exec, exec, s[8:9]
	s_and_b64 exec, exec, s[10:11]
	s_cbranch_execz .LBB28_13
; %bb.11:
	s_lshl_b64 s[8:9], s[4:5], 3
	v_mov_b32_e32 v3, 0
	s_add_u32 s2, s2, s8
	v_lshlrev_b64 v[4:5], 2, v[2:3]
	s_addc_u32 s3, s3, s9
	v_mov_b32_e32 v1, s3
	v_add_co_u32_e32 v4, vcc, s2, v4
	v_addc_co_u32_e32 v5, vcc, v1, v5, vcc
	v_lshl_add_u32 v1, v2, 2, 0
	s_mov_b64 s[2:3], 0
.LBB28_12:                              ; =>This Inner Loop Header: Depth=1
	global_load_dword v3, v[4:5], off
	v_add_co_u32_e32 v4, vcc, 0x200, v4
	v_add_u32_e32 v2, 0x80, v2
	v_addc_co_u32_e32 v5, vcc, 0, v5, vcc
	v_cmp_le_i32_e32 vcc, s18, v2
	s_or_b64 s[2:3], vcc, s[2:3]
	s_waitcnt vmcnt(0)
	ds_write_b32 v1, v3
	v_add_u32_e32 v1, 0x200, v1
	s_andn2_b64 exec, exec, s[2:3]
	s_cbranch_execnz .LBB28_12
.LBB28_13:
	s_or_b64 exec, exec, s[6:7]
	v_mov_b32_e32 v1, 0
	s_waitcnt lgkmcnt(0)
	s_barrier
	ds_read_b32 v1, v1
	s_cmp_lt_i32 s17, 2
	s_cbranch_scc1 .LBB28_21
; %bb.14:
	s_add_i32 s2, s17, -1
	s_add_i32 s3, s17, -2
	s_cmp_lt_u32 s3, 7
	s_cbranch_scc1 .LBB28_18
; %bb.15:
	s_mov_b32 s6, 0
	s_add_i32 s3, 0, 8
	s_and_b32 s5, s2, -8
.LBB28_16:                              ; =>This Inner Loop Header: Depth=1
	v_mov_b32_e32 v8, s3
	ds_read2_b32 v[2:3], v8 offset1:2
	ds_read2_b32 v[4:5], v8 offset0:4 offset1:6
	ds_read2_b32 v[6:7], v8 offset0:8 offset1:10
	;; [unrolled: 1-line block ×3, first 2 shown]
	s_mov_b32 s7, s6
	s_waitcnt lgkmcnt(3)
	v_max3_f32 v1, v1, v2, v3
	s_waitcnt lgkmcnt(2)
	v_max3_f32 v1, v1, v4, v5
	s_add_i32 s3, s3, 64
	s_add_i32 s6, s6, 8
	s_waitcnt lgkmcnt(1)
	v_max3_f32 v1, v1, v6, v7
	s_cmp_eq_u32 s5, s6
	s_waitcnt lgkmcnt(0)
	v_max3_f32 v1, v1, v8, v9
	s_cbranch_scc0 .LBB28_16
; %bb.17:
	s_add_i32 s3, s7, 9
	s_and_b32 s2, s2, 7
	s_cmp_eq_u32 s2, 0
	s_cbranch_scc0 .LBB28_19
	s_branch .LBB28_21
.LBB28_18:
	s_mov_b32 s3, 1
	s_and_b32 s2, s2, 7
	s_cmp_eq_u32 s2, 0
	s_cbranch_scc1 .LBB28_21
.LBB28_19:
	s_lshl_b32 s3, s3, 3
	s_add_i32 s3, s3, 0
.LBB28_20:                              ; =>This Inner Loop Header: Depth=1
	v_mov_b32_e32 v2, s3
	ds_read_b32 v2, v2
	s_waitcnt lgkmcnt(1)
	v_max_f32_e32 v1, v1, v1
	s_add_i32 s3, s3, 8
	s_add_i32 s2, s2, -1
	s_cmp_lg_u32 s2, 0
	s_waitcnt lgkmcnt(0)
	v_max_f32_e32 v2, v2, v2
	v_max_f32_e32 v1, v1, v2
	s_cbranch_scc1 .LBB28_20
.LBB28_21:
	s_cmp_lt_i32 s17, 1
	s_cbranch_scc1 .LBB28_26
; %bb.22:
	s_lshl_b32 s2, s4, 7
	s_ashr_i32 s3, s2, 31
	s_lshl_b64 s[2:3], s[2:3], 2
	s_add_u32 s18, s0, s2
	s_addc_u32 s19, s1, s3
	s_cmp_lt_u32 s17, 8
	v_mov_b32_e32 v6, 0
	s_cbranch_scc1 .LBB28_27
; %bb.23:
	s_and_b32 s20, s17, 0x7ffffff8
	v_or_b32_e32 v2, 0x380, v0
	s_mov_b32 s21, 0
	v_mov_b32_e32 v5, 0
	s_mov_b32 s22, 0x3fb8aa3b
	s_mov_b32 s23, 0xc2ce8ed0
	;; [unrolled: 1-line block ×3, first 2 shown]
	v_mov_b32_e32 v8, 0x7f800000
	v_mov_b32_e32 v9, s19
	s_mov_b32 s25, 0
	v_mov_b32_e32 v7, 0
	v_mov_b32_e32 v6, 0
.LBB28_24:                              ; =>This Inner Loop Header: Depth=1
	v_add_u32_e32 v4, 0xfffffc80, v2
	v_lshlrev_b64 v[26:27], 2, v[4:5]
	v_mov_b32_e32 v3, v5
	v_add_co_u32_e32 v26, vcc, s18, v26
	v_lshlrev_b64 v[28:29], 2, v[2:3]
	v_addc_co_u32_e32 v27, vcc, v9, v27, vcc
	v_add_u32_e32 v4, 0xfffffd00, v2
	v_add_co_u32_e32 v28, vcc, s18, v28
	v_mov_b32_e32 v22, s21
	v_lshlrev_b64 v[30:31], 2, v[4:5]
	v_addc_co_u32_e32 v29, vcc, v9, v29, vcc
	ds_read2_b64 v[10:13], v22 offset1:1
	ds_read2_b64 v[14:17], v22 offset0:2 offset1:3
	ds_read2_b64 v[18:21], v22 offset0:4 offset1:5
	;; [unrolled: 1-line block ×3, first 2 shown]
	v_add_u32_e32 v4, 0xfffffd80, v2
	global_load_dword v3, v[26:27], off
	v_add_co_u32_e32 v26, vcc, s18, v30
	v_addc_co_u32_e32 v27, vcc, v9, v31, vcc
	v_lshlrev_b64 v[30:31], 2, v[4:5]
	v_add_u32_e32 v4, 0xfffffe00, v2
	v_add_co_u32_e32 v30, vcc, s18, v30
	v_addc_co_u32_e32 v31, vcc, v9, v31, vcc
	v_lshlrev_b64 v[32:33], 2, v[4:5]
	v_add_u32_e32 v4, 0xfffffe80, v2
	global_load_dword v34, v[26:27], off
	global_load_dword v35, v[30:31], off
	v_add_co_u32_e32 v26, vcc, s18, v32
	v_addc_co_u32_e32 v27, vcc, v9, v33, vcc
	v_lshlrev_b64 v[30:31], 2, v[4:5]
	v_add_u32_e32 v4, 0xffffff00, v2
	v_add_co_u32_e32 v30, vcc, s18, v30
	v_addc_co_u32_e32 v31, vcc, v9, v31, vcc
	v_lshlrev_b64 v[32:33], 2, v[4:5]
	global_load_dword v36, v[26:27], off
	v_add_u32_e32 v4, 0xffffff80, v2
	global_load_dword v28, v[28:29], off
	v_add_co_u32_e32 v26, vcc, s18, v32
	v_addc_co_u32_e32 v27, vcc, v9, v33, vcc
	global_load_dword v42, v[30:31], off
	s_waitcnt lgkmcnt(3)
	v_sub_f32_e32 v12, v12, v1
	global_load_dword v26, v[26:27], off
	v_lshlrev_b64 v[30:31], 2, v[4:5]
	v_add_co_u32_e32 v30, vcc, s18, v30
	v_addc_co_u32_e32 v31, vcc, v9, v31, vcc
	global_load_dword v30, v[30:31], off
	s_waitcnt lgkmcnt(2)
	v_sub_f32_e32 v14, v14, v1
	v_sub_f32_e32 v10, v10, v1
	v_mul_f32_e32 v38, 0x3fb8aa3b, v12
	v_mul_f32_e32 v39, 0x3fb8aa3b, v14
	s_waitcnt lgkmcnt(1)
	v_sub_f32_e32 v18, v18, v1
	s_waitcnt lgkmcnt(0)
	v_sub_f32_e32 v22, v22, v1
	v_mul_f32_e32 v37, 0x3fb8aa3b, v10
	v_fma_f32 v45, v12, s22, -v38
	v_rndne_f32_e32 v46, v38
	v_fma_f32 v47, v14, s22, -v39
	v_rndne_f32_e32 v48, v39
	v_sub_f32_e32 v16, v16, v1
	v_sub_f32_e32 v20, v20, v1
	v_mul_f32_e32 v41, 0x3fb8aa3b, v18
	v_mul_f32_e32 v32, 0x3fb8aa3b, v22
	v_fma_f32 v33, v10, s22, -v37
	v_rndne_f32_e32 v44, v37
	v_fmac_f32_e32 v45, 0x32a5705f, v12
	v_sub_f32_e32 v38, v38, v46
	v_fmac_f32_e32 v47, 0x32a5705f, v14
	v_sub_f32_e32 v39, v39, v48
	v_mul_f32_e32 v40, 0x3fb8aa3b, v16
	v_mul_f32_e32 v43, 0x3fb8aa3b, v20
	v_fma_f32 v27, v18, s22, -v41
	v_rndne_f32_e32 v31, v41
	v_fmac_f32_e32 v33, 0x32a5705f, v10
	v_sub_f32_e32 v37, v37, v44
	v_add_f32_e32 v38, v38, v45
	v_fma_f32 v45, v22, s22, -v32
	v_add_f32_e32 v39, v39, v47
	v_rndne_f32_e32 v47, v32
	v_fma_f32 v49, v16, s22, -v40
	v_rndne_f32_e32 v50, v40
	v_fma_f32 v29, v20, s22, -v43
	v_add_f32_e32 v33, v37, v33
	v_rndne_f32_e32 v37, v43
	v_fmac_f32_e32 v27, 0x32a5705f, v18
	v_sub_f32_e32 v41, v41, v31
	v_fmac_f32_e32 v45, 0x32a5705f, v22
	v_sub_f32_e32 v32, v32, v47
	v_fmac_f32_e32 v49, 0x32a5705f, v16
	v_sub_f32_e32 v40, v40, v50
	v_add_f32_e32 v27, v41, v27
	v_cvt_i32_f32_e32 v44, v44
	v_fmac_f32_e32 v29, 0x32a5705f, v20
	v_sub_f32_e32 v43, v43, v37
	v_add_f32_e32 v32, v32, v45
	v_exp_f32_e32 v33, v33
	v_add_f32_e32 v40, v40, v49
	v_cvt_i32_f32_e32 v46, v46
	v_cvt_i32_f32_e32 v31, v31
	;; [unrolled: 1-line block ×3, first 2 shown]
	v_add_f32_e32 v29, v43, v29
	v_exp_f32_e32 v38, v38
	v_exp_f32_e32 v27, v27
	;; [unrolled: 1-line block ×3, first 2 shown]
	v_sub_f32_e32 v24, v24, v1
	v_cvt_i32_f32_e32 v48, v48
	v_cvt_i32_f32_e32 v50, v50
	v_cvt_i32_f32_e32 v37, v37
	v_exp_f32_e32 v39, v39
	v_exp_f32_e32 v40, v40
	;; [unrolled: 1-line block ×3, first 2 shown]
	v_mul_f32_e32 v4, 0x3fb8aa3b, v24
	v_fma_f32 v49, v24, s22, -v4
	v_rndne_f32_e32 v41, v4
	v_ldexp_f32 v33, v33, v44
	v_cmp_ngt_f32_e64 s[12:13], s23, v10
	v_fmac_f32_e32 v49, 0x32a5705f, v24
	v_sub_f32_e32 v4, v4, v41
	v_ldexp_f32 v38, v38, v46
	v_cmp_ngt_f32_e32 vcc, s23, v12
	v_ldexp_f32 v27, v27, v31
	v_ldexp_f32 v31, v32, v47
	v_cndmask_b32_e64 v32, 0, v33, s[12:13]
	v_cmp_nlt_f32_e64 s[12:13], s24, v10
	v_add_f32_e32 v4, v4, v49
	v_ldexp_f32 v39, v39, v48
	v_cmp_ngt_f32_e64 s[0:1], s23, v14
	v_ldexp_f32 v40, v40, v50
	v_cmp_ngt_f32_e64 s[2:3], s23, v16
	v_cmp_ngt_f32_e64 s[4:5], s23, v18
	v_ldexp_f32 v29, v29, v37
	v_cmp_ngt_f32_e64 s[6:7], s23, v20
	v_cmp_ngt_f32_e64 s[8:9], s23, v22
	v_cndmask_b32_e32 v33, 0, v38, vcc
	v_cmp_nlt_f32_e32 vcc, s24, v12
	v_cndmask_b32_e64 v10, v8, v32, s[12:13]
	v_cvt_i32_f32_e32 v41, v41
	v_exp_f32_e32 v4, v4
	v_cndmask_b32_e64 v12, 0, v39, s[0:1]
	v_cmp_nlt_f32_e64 s[0:1], s24, v14
	v_cndmask_b32_e64 v14, 0, v40, s[2:3]
	v_cmp_nlt_f32_e64 s[2:3], s24, v16
	;; [unrolled: 2-line block ×5, first 2 shown]
	v_cndmask_b32_e32 v22, v8, v33, vcc
	v_fmac_f32_e32 v7, v10, v11
	s_waitcnt vmcnt(7)
	v_fmac_f32_e32 v6, v3, v10
	v_cndmask_b32_e64 v12, v8, v12, s[0:1]
	v_fmac_f32_e32 v7, v22, v13
	s_waitcnt vmcnt(6)
	v_fmac_f32_e32 v6, v34, v22
	v_cndmask_b32_e64 v14, v8, v14, s[2:3]
	;; [unrolled: 4-line block ×3, first 2 shown]
	v_fmac_f32_e32 v7, v14, v17
	s_waitcnt vmcnt(4)
	v_fmac_f32_e32 v6, v36, v14
	v_ldexp_f32 v4, v4, v41
	v_cmp_ngt_f32_e64 s[10:11], s23, v24
	v_cndmask_b32_e64 v18, v8, v18, s[6:7]
	v_fmac_f32_e32 v7, v16, v19
	s_waitcnt vmcnt(2)
	v_fmac_f32_e32 v6, v42, v16
	v_cndmask_b32_e64 v4, 0, v4, s[10:11]
	v_cmp_nlt_f32_e64 s[10:11], s24, v24
	v_cndmask_b32_e64 v20, v8, v20, s[8:9]
	v_fmac_f32_e32 v7, v18, v21
	s_waitcnt vmcnt(1)
	v_fmac_f32_e32 v6, v26, v18
	s_add_i32 s25, s25, 8
	s_add_i32 s21, s21, 64
	v_cndmask_b32_e64 v4, v8, v4, s[10:11]
	v_fmac_f32_e32 v7, v20, v23
	s_waitcnt vmcnt(0)
	v_fmac_f32_e32 v6, v30, v20
	s_cmp_eq_u32 s20, s25
	v_add_u32_e32 v2, 0x400, v2
	v_fmac_f32_e32 v7, v4, v25
	v_fmac_f32_e32 v6, v28, v4
	s_cbranch_scc0 .LBB28_24
; %bb.25:
	s_and_b32 s0, s17, 7
	s_cmp_eq_u32 s0, 0
	s_cbranch_scc0 .LBB28_28
	s_branch .LBB28_30
.LBB28_26:
	s_waitcnt lgkmcnt(0)
	v_mov_b32_e32 v1, 0x7fc00000
	s_branch .LBB28_31
.LBB28_27:
	s_mov_b32 s20, 0
	v_mov_b32_e32 v7, 0
	s_and_b32 s0, s17, 7
	s_cmp_eq_u32 s0, 0
	s_cbranch_scc1 .LBB28_30
.LBB28_28:
	s_lshl_b32 s1, s20, 3
	v_lshl_or_b32 v2, s20, 7, v0
	s_add_i32 s1, s1, 0
	s_mov_b32 s2, 0x3fb8aa3b
	s_mov_b32 s3, 0xc2ce8ed0
	s_mov_b32 s4, 0x42b17218
	v_mov_b32_e32 v4, 0x7f800000
	v_mov_b32_e32 v3, 0
	;; [unrolled: 1-line block ×3, first 2 shown]
.LBB28_29:                              ; =>This Inner Loop Header: Depth=1
	v_lshlrev_b64 v[8:9], 2, v[2:3]
	v_add_co_u32_e32 v8, vcc, s18, v8
	v_addc_co_u32_e32 v9, vcc, v5, v9, vcc
	global_load_dword v10, v[8:9], off
	v_mov_b32_e32 v8, s1
	ds_read_b64 v[8:9], v8
	s_add_i32 s1, s1, 8
	s_add_i32 s0, s0, -1
	v_add_u32_e32 v2, 0x80, v2
	s_cmp_lg_u32 s0, 0
	s_waitcnt lgkmcnt(0)
	v_sub_f32_e32 v8, v8, v1
	v_mul_f32_e32 v11, 0x3fb8aa3b, v8
	v_fma_f32 v12, v8, s2, -v11
	v_rndne_f32_e32 v13, v11
	v_fmac_f32_e32 v12, 0x32a5705f, v8
	v_sub_f32_e32 v11, v11, v13
	v_add_f32_e32 v11, v11, v12
	v_cvt_i32_f32_e32 v13, v13
	v_exp_f32_e32 v11, v11
	v_cmp_ngt_f32_e32 vcc, s3, v8
	v_ldexp_f32 v11, v11, v13
	v_cndmask_b32_e32 v11, 0, v11, vcc
	v_cmp_nlt_f32_e32 vcc, s4, v8
	v_cndmask_b32_e32 v8, v4, v11, vcc
	v_fmac_f32_e32 v7, v8, v9
	s_waitcnt vmcnt(0)
	v_fmac_f32_e32 v6, v10, v8
	s_cbranch_scc1 .LBB28_29
.LBB28_30:
	s_waitcnt lgkmcnt(0)
	v_div_scale_f32 v1, s[0:1], v7, v7, v6
	v_rcp_f32_e32 v2, v1
	v_div_scale_f32 v3, vcc, v6, v7, v6
	v_fma_f32 v4, -v1, v2, 1.0
	v_fmac_f32_e32 v2, v4, v2
	v_mul_f32_e32 v4, v3, v2
	v_fma_f32 v5, -v1, v4, v3
	v_fmac_f32_e32 v4, v5, v2
	v_fma_f32 v1, -v1, v4, v3
	v_div_fmas_f32 v1, v1, v2, v4
	v_div_fixup_f32 v1, v1, v7, v6
.LBB28_31:
	s_lshl_b32 s0, s16, 7
	s_ashr_i32 s1, s0, 31
	s_lshl_b64 s[0:1], s[0:1], 2
	s_add_u32 s0, s14, s0
	s_addc_u32 s1, s15, s1
	v_lshlrev_b32_e32 v0, 2, v0
	global_store_dword v0, v1, s[0:1]
	s_endpgm
	.section	.rodata,"a",@progbits
	.p2align	6, 0x0
	.amdhsa_kernel _ZL26flash_attn_combine_resultsILi128EEvPKfPK15HIP_vector_typeIfLj2EEPfi
		.amdhsa_group_segment_fixed_size 0
		.amdhsa_private_segment_fixed_size 0
		.amdhsa_kernarg_size 288
		.amdhsa_user_sgpr_count 6
		.amdhsa_user_sgpr_private_segment_buffer 1
		.amdhsa_user_sgpr_dispatch_ptr 0
		.amdhsa_user_sgpr_queue_ptr 0
		.amdhsa_user_sgpr_kernarg_segment_ptr 1
		.amdhsa_user_sgpr_dispatch_id 0
		.amdhsa_user_sgpr_flat_scratch_init 0
		.amdhsa_user_sgpr_kernarg_preload_length 0
		.amdhsa_user_sgpr_kernarg_preload_offset 0
		.amdhsa_user_sgpr_private_segment_size 0
		.amdhsa_uses_dynamic_stack 0
		.amdhsa_system_sgpr_private_segment_wavefront_offset 0
		.amdhsa_system_sgpr_workgroup_id_x 1
		.amdhsa_system_sgpr_workgroup_id_y 1
		.amdhsa_system_sgpr_workgroup_id_z 1
		.amdhsa_system_sgpr_workgroup_info 0
		.amdhsa_system_vgpr_workitem_id 0
		.amdhsa_next_free_vgpr 51
		.amdhsa_next_free_sgpr 26
		.amdhsa_accum_offset 52
		.amdhsa_reserve_vcc 1
		.amdhsa_reserve_flat_scratch 0
		.amdhsa_float_round_mode_32 0
		.amdhsa_float_round_mode_16_64 0
		.amdhsa_float_denorm_mode_32 3
		.amdhsa_float_denorm_mode_16_64 3
		.amdhsa_dx10_clamp 1
		.amdhsa_ieee_mode 1
		.amdhsa_fp16_overflow 0
		.amdhsa_tg_split 0
		.amdhsa_exception_fp_ieee_invalid_op 0
		.amdhsa_exception_fp_denorm_src 0
		.amdhsa_exception_fp_ieee_div_zero 0
		.amdhsa_exception_fp_ieee_overflow 0
		.amdhsa_exception_fp_ieee_underflow 0
		.amdhsa_exception_fp_ieee_inexact 0
		.amdhsa_exception_int_div_zero 0
	.end_amdhsa_kernel
	.section	.text._ZL26flash_attn_combine_resultsILi128EEvPKfPK15HIP_vector_typeIfLj2EEPfi,"axG",@progbits,_ZL26flash_attn_combine_resultsILi128EEvPKfPK15HIP_vector_typeIfLj2EEPfi,comdat
.Lfunc_end28:
	.size	_ZL26flash_attn_combine_resultsILi128EEvPKfPK15HIP_vector_typeIfLj2EEPfi, .Lfunc_end28-_ZL26flash_attn_combine_resultsILi128EEvPKfPK15HIP_vector_typeIfLj2EEPfi
                                        ; -- End function
	.section	.AMDGPU.csdata,"",@progbits
; Kernel info:
; codeLenInByte = 3048
; NumSgprs: 30
; NumVgprs: 51
; NumAgprs: 0
; TotalNumVgprs: 51
; ScratchSize: 0
; MemoryBound: 0
; FloatMode: 240
; IeeeMode: 1
; LDSByteSize: 0 bytes/workgroup (compile time only)
; SGPRBlocks: 3
; VGPRBlocks: 6
; NumSGPRsForWavesPerEU: 30
; NumVGPRsForWavesPerEU: 51
; AccumOffset: 52
; Occupancy: 8
; WaveLimiterHint : 0
; COMPUTE_PGM_RSRC2:SCRATCH_EN: 0
; COMPUTE_PGM_RSRC2:USER_SGPR: 6
; COMPUTE_PGM_RSRC2:TRAP_HANDLER: 0
; COMPUTE_PGM_RSRC2:TGID_X_EN: 1
; COMPUTE_PGM_RSRC2:TGID_Y_EN: 1
; COMPUTE_PGM_RSRC2:TGID_Z_EN: 1
; COMPUTE_PGM_RSRC2:TIDIG_COMP_CNT: 0
; COMPUTE_PGM_RSRC3_GFX90A:ACCUM_OFFSET: 12
; COMPUTE_PGM_RSRC3_GFX90A:TG_SPLIT: 0
	.section	.text._ZL18flash_attn_ext_f16ILi256ELi256ELi16ELi4ELb0ELb0EEvPKcS1_S1_S1_S1_PKiPfP15HIP_vector_typeIfLj2EEffffjfiS5_IjLj3EEiiiiiiiiiiiliiliiiiil,"axG",@progbits,_ZL18flash_attn_ext_f16ILi256ELi256ELi16ELi4ELb0ELb0EEvPKcS1_S1_S1_S1_PKiPfP15HIP_vector_typeIfLj2EEffffjfiS5_IjLj3EEiiiiiiiiiiiliiliiiiil,comdat
	.globl	_ZL18flash_attn_ext_f16ILi256ELi256ELi16ELi4ELb0ELb0EEvPKcS1_S1_S1_S1_PKiPfP15HIP_vector_typeIfLj2EEffffjfiS5_IjLj3EEiiiiiiiiiiiliiliiiiil ; -- Begin function _ZL18flash_attn_ext_f16ILi256ELi256ELi16ELi4ELb0ELb0EEvPKcS1_S1_S1_S1_PKiPfP15HIP_vector_typeIfLj2EEffffjfiS5_IjLj3EEiiiiiiiiiiiliiliiiiil
	.p2align	8
	.type	_ZL18flash_attn_ext_f16ILi256ELi256ELi16ELi4ELb0ELb0EEvPKcS1_S1_S1_S1_PKiPfP15HIP_vector_typeIfLj2EEffffjfiS5_IjLj3EEiiiiiiiiiiiliiliiiiil,@function
_ZL18flash_attn_ext_f16ILi256ELi256ELi16ELi4ELb0ELb0EEvPKcS1_S1_S1_S1_PKiPfP15HIP_vector_typeIfLj2EEffffjfiS5_IjLj3EEiiiiiiiiiiiliiliiiiil: ; @_ZL18flash_attn_ext_f16ILi256ELi256ELi16ELi4ELb0ELb0EEvPKcS1_S1_S1_S1_PKiPfP15HIP_vector_typeIfLj2EEffffjfiS5_IjLj3EEiiiiiiiiiiiliiliiiiil
; %bb.0:
	s_mov_b64 s[98:99], s[2:3]
	s_mov_b64 s[96:97], s[0:1]
	s_load_dwordx2 s[2:3], s[4:5], 0x80
	s_load_dwordx4 s[28:31], s[4:5], 0x64
	s_add_u32 s96, s96, s7
	s_addc_u32 s97, s97, 0
	v_mov_b32_e32 v4, v0
	s_waitcnt lgkmcnt(0)
	s_abs_i32 s1, s3
	v_cvt_f32_u32_e32 v0, s1
	s_sub_i32 s8, 0, s1
	s_abs_i32 s7, s29
	s_mov_b32 s35, s6
	v_rcp_iflag_f32_e32 v0, v0
	s_xor_b32 s6, s29, s3
	s_ashr_i32 s6, s6, 31
                                        ; implicit-def: $vgpr255 : SGPR spill to VGPR lane
	s_load_dword s34, s[4:5], 0xd0
	v_mul_f32_e32 v0, 0x4f7ffffe, v0
	v_cvt_u32_f32_e32 v0, v0
	s_mov_b32 s0, 0
	v_cvt_f32_ubyte0_e32 v2, 0
	v_readfirstlane_b32 s9, v0
	s_mul_i32 s8, s8, s9
	s_mul_hi_u32 s8, s9, s8
	s_add_i32 s9, s9, s8
	s_mul_hi_u32 s8, s7, s9
	s_mul_i32 s9, s8, s1
	s_sub_i32 s7, s7, s9
	s_add_i32 s10, s8, 1
	s_sub_i32 s9, s7, s1
	s_cmp_ge_u32 s7, s1
	s_cselect_b32 s8, s10, s8
	s_cselect_b32 s7, s9, s7
	s_add_i32 s9, s8, 1
	s_cmp_ge_u32 s7, s1
	s_cselect_b32 s1, s9, s8
	s_add_i32 s2, s2, 63
	s_xor_b32 s1, s1, s6
	s_ashr_i32 s7, s2, 31
	s_sub_i32 s80, s1, s6
	s_lshr_b32 s1, s7, 26
	s_add_i32 s2, s2, s1
	s_add_i32 s1, s28, 15
	s_lshr_b32 s6, s1, 4
	s_add_i32 s1, s80, 3
	s_ashr_i32 s85, s2, 6
	s_ashr_i32 s2, s1, 31
	s_lshr_b32 s2, s2, 30
	s_add_i32 s1, s1, s2
	s_ashr_i32 s1, s1, 2
	v_writelane_b32 v255, s6, 0
	s_mul_i32 s2, s6, s85
	v_writelane_b32 v255, s2, 1
	s_mul_i32 s1, s2, s1
	;; [unrolled: 2-line block ×3, first 2 shown]
	s_mul_i32 s6, s1, s30
	s_ashr_i32 s7, s6, 31
	v_writelane_b32 v255, s1, 3
	s_mul_i32 s1, s7, s35
	s_mul_hi_u32 s2, s6, s35
	s_add_i32 s1, s2, s1
	s_waitcnt lgkmcnt(0)
	v_cvt_f32_u32_e32 v0, s34
	s_add_u32 s56, s4, 0xd0
	s_addc_u32 s57, s5, 0
	s_mul_i32 s8, s6, s35
	s_cmp_lg_u64 s[0:1], 0
	s_cbranch_scc0 .LBB29_2
; %bb.1:
	v_madmk_f32 v1, v2, 0x4f800000, v0
	v_rcp_f32_e32 v1, v1
	s_sub_u32 s0, 0, s34
	s_subb_u32 s9, 0, 0
	s_mov_b64 s[2:3], 0
	v_mul_f32_e32 v1, 0x5f7ffffc, v1
	v_mul_f32_e32 v3, 0x2f800000, v1
	v_trunc_f32_e32 v3, v3
	v_madmk_f32 v1, v3, 0xcf800000, v1
	v_cvt_u32_f32_e32 v3, v3
	v_cvt_u32_f32_e32 v1, v1
	v_readfirstlane_b32 s10, v3
	v_readfirstlane_b32 s11, v1
	s_mul_hi_u32 s13, s0, s11
	s_mul_i32 s14, s0, s10
	s_mul_i32 s12, s9, s11
	s_add_i32 s13, s13, s14
	s_add_i32 s13, s13, s12
	s_mul_i32 s15, s0, s11
	s_mul_hi_u32 s12, s11, s13
	s_mul_i32 s14, s11, s13
	s_mul_hi_u32 s11, s11, s15
	s_add_u32 s11, s11, s14
	s_addc_u32 s12, 0, s12
	s_mul_hi_u32 s16, s10, s15
	s_mul_i32 s15, s10, s15
	s_add_u32 s11, s11, s15
	s_mul_hi_u32 s14, s10, s13
	s_addc_u32 s11, s12, s16
	s_addc_u32 s12, s14, 0
	s_mul_i32 s13, s10, s13
	s_add_u32 s11, s11, s13
	s_addc_u32 s12, 0, s12
	v_add_co_u32_e32 v1, vcc, s11, v1
	s_cmp_lg_u64 vcc, 0
	s_addc_u32 s10, s10, s12
	v_readfirstlane_b32 s12, v1
	s_mul_i32 s11, s0, s10
	s_mul_hi_u32 s13, s0, s12
	s_add_i32 s11, s13, s11
	s_mul_i32 s9, s9, s12
	s_add_i32 s11, s11, s9
	s_mul_i32 s0, s0, s12
	s_mul_hi_u32 s13, s10, s0
	s_mul_i32 s14, s10, s0
	s_mul_i32 s16, s12, s11
	s_mul_hi_u32 s0, s12, s0
	s_mul_hi_u32 s15, s12, s11
	s_add_u32 s0, s0, s16
	s_addc_u32 s12, 0, s15
	s_add_u32 s0, s0, s14
	s_mul_hi_u32 s9, s10, s11
	s_addc_u32 s0, s12, s13
	s_addc_u32 s9, s9, 0
	s_mul_i32 s11, s10, s11
	s_add_u32 s0, s0, s11
	s_addc_u32 s9, 0, s9
	v_add_co_u32_e32 v1, vcc, s0, v1
	s_cmp_lg_u64 vcc, 0
	s_addc_u32 s9, s10, s9
	s_ashr_i32 s10, s1, 31
	s_add_u32 s0, s8, s10
	s_mov_b32 s11, s10
	s_addc_u32 s1, s1, s10
	s_xor_b64 s[0:1], s[0:1], s[10:11]
	v_readfirstlane_b32 s14, v1
	s_mul_i32 s13, s0, s9
	s_mul_hi_u32 s15, s0, s14
	s_mul_hi_u32 s12, s0, s9
	s_add_u32 s13, s15, s13
	s_addc_u32 s12, 0, s12
	s_mul_hi_u32 s16, s1, s14
	s_mul_i32 s14, s1, s14
	s_add_u32 s13, s13, s14
	s_mul_hi_u32 s15, s1, s9
	s_addc_u32 s12, s12, s16
	s_addc_u32 s13, s15, 0
	s_mul_i32 s9, s1, s9
	s_add_u32 s9, s12, s9
	s_addc_u32 s12, 0, s13
	s_add_u32 s13, s9, 1
	s_addc_u32 s14, s12, 0
	s_add_u32 s15, s9, 2
	s_mul_i32 s17, s34, s12
	s_mul_hi_u32 s18, s34, s9
	s_addc_u32 s16, s12, 0
	s_add_i32 s18, s18, s17
	s_mul_i32 s17, s34, s9
	v_mov_b32_e32 v1, s17
	v_sub_co_u32_e32 v1, vcc, s0, v1
	s_cmp_lg_u64 vcc, 0
	s_subb_u32 s0, s1, s18
	v_subrev_co_u32_e32 v3, vcc, s34, v1
	s_cmp_lg_u64 vcc, 0
	s_subb_u32 s1, s0, 0
	v_readfirstlane_b32 s17, v3
	s_cmp_ge_u32 s17, s34
	s_cselect_b32 s17, -1, 0
	s_cmp_eq_u32 s1, 0
	s_cselect_b32 s1, s17, -1
	s_cmp_lg_u32 s1, 0
	s_cselect_b32 s1, s16, s14
	v_readfirstlane_b32 s14, v1
	s_cselect_b32 s13, s15, s13
	s_cmp_ge_u32 s14, s34
	s_cselect_b32 s14, -1, 0
	s_cmp_eq_u32 s0, 0
	s_cselect_b32 s0, s14, -1
	s_cmp_lg_u32 s0, 0
	s_cselect_b32 s1, s1, s12
	s_cselect_b32 s0, s13, s9
	s_xor_b64 s[0:1], s[0:1], s[10:11]
	s_sub_u32 s54, s0, s10
	s_branch .LBB29_3
.LBB29_2:
	s_mov_b64 s[2:3], -1
                                        ; implicit-def: $sgpr54_sgpr55
.LBB29_3:
	s_load_dwordx2 s[0:1], s[4:5], 0x74
	v_cvt_f32_u32_e32 v1, s34
	s_andn2_b64 vcc, exec, s[2:3]
	s_waitcnt lgkmcnt(0)
	v_writelane_b32 v255, s0, 4
	v_writelane_b32 v255, s1, 5
	s_cbranch_vccnz .LBB29_5
; %bb.4:
	v_rcp_iflag_f32_e32 v3, v1
	s_sub_i32 s0, 0, s34
	v_mul_f32_e32 v3, 0x4f7ffffe, v3
	v_cvt_u32_f32_e32 v3, v3
	v_readfirstlane_b32 s1, v3
	s_mul_i32 s0, s0, s1
	s_mul_hi_u32 s0, s1, s0
	s_add_i32 s1, s1, s0
	s_mul_hi_u32 s0, s8, s1
	s_mul_i32 s2, s0, s34
	s_sub_i32 s2, s8, s2
	s_add_i32 s1, s0, 1
	s_sub_i32 s3, s2, s34
	s_cmp_ge_u32 s2, s34
	s_cselect_b32 s0, s1, s0
	s_cselect_b32 s2, s3, s2
	s_add_i32 s1, s0, 1
	s_cmp_ge_u32 s2, s34
	s_cselect_b32 s54, s1, s0
.LBB29_5:
	s_add_i32 s0, s35, 1
	s_mul_i32 s1, s7, s0
	s_mul_hi_u32 s2, s6, s0
	s_add_i32 s3, s2, s1
	s_mov_b32 s2, 0
	s_cmp_lg_u64 s[2:3], 0
	s_mul_i32 s2, s6, s0
	s_cbranch_scc0 .LBB29_466
; %bb.6:
	v_madmk_f32 v0, v2, 0x4f800000, v0
	v_rcp_f32_e32 v0, v0
	s_sub_u32 s6, 0, s34
	s_subb_u32 s7, 0, 0
	v_mul_f32_e32 v0, 0x5f7ffffc, v0
	v_mul_f32_e32 v2, 0x2f800000, v0
	v_trunc_f32_e32 v2, v2
	v_madmk_f32 v0, v2, 0xcf800000, v0
	v_cvt_u32_f32_e32 v2, v2
	v_cvt_u32_f32_e32 v0, v0
	v_readfirstlane_b32 s8, v2
	v_readfirstlane_b32 s9, v0
	s_mul_hi_u32 s11, s6, s9
	s_mul_i32 s12, s6, s8
	s_mul_i32 s10, s7, s9
	s_add_i32 s11, s11, s12
	s_add_i32 s11, s11, s10
	s_mul_i32 s13, s6, s9
	s_mul_hi_u32 s10, s9, s11
	s_mul_i32 s12, s9, s11
	s_mul_hi_u32 s9, s9, s13
	s_add_u32 s9, s9, s12
	s_addc_u32 s10, 0, s10
	s_mul_hi_u32 s14, s8, s13
	s_mul_i32 s13, s8, s13
	s_add_u32 s9, s9, s13
	s_mul_hi_u32 s12, s8, s11
	s_addc_u32 s9, s10, s14
	s_addc_u32 s10, s12, 0
	s_mul_i32 s11, s8, s11
	s_add_u32 s9, s9, s11
	s_addc_u32 s10, 0, s10
	v_add_co_u32_e32 v0, vcc, s9, v0
	s_cmp_lg_u64 vcc, 0
	s_addc_u32 s8, s8, s10
	v_readfirstlane_b32 s10, v0
	s_mul_i32 s9, s6, s8
	s_mul_hi_u32 s11, s6, s10
	s_add_i32 s9, s11, s9
	s_mul_i32 s7, s7, s10
	s_add_i32 s9, s9, s7
	s_mul_i32 s6, s6, s10
	s_mul_hi_u32 s11, s8, s6
	s_mul_i32 s12, s8, s6
	s_mul_i32 s14, s10, s9
	s_mul_hi_u32 s6, s10, s6
	s_mul_hi_u32 s13, s10, s9
	s_add_u32 s6, s6, s14
	s_addc_u32 s10, 0, s13
	s_add_u32 s6, s6, s12
	s_mul_hi_u32 s7, s8, s9
	s_addc_u32 s6, s10, s11
	s_addc_u32 s7, s7, 0
	s_mul_i32 s9, s8, s9
	s_add_u32 s6, s6, s9
	s_addc_u32 s7, 0, s7
	v_add_co_u32_e32 v0, vcc, s6, v0
	s_cmp_lg_u64 vcc, 0
	s_addc_u32 s10, s8, s7
	s_ashr_i32 s6, s3, 31
	s_add_u32 s8, s2, s6
	s_mov_b32 s7, s6
	s_addc_u32 s9, s3, s6
	s_xor_b64 s[8:9], s[8:9], s[6:7]
	v_readfirstlane_b32 s12, v0
	s_mul_i32 s11, s8, s10
	s_mul_hi_u32 s13, s8, s12
	s_mul_hi_u32 s3, s8, s10
	s_add_u32 s11, s13, s11
	s_addc_u32 s3, 0, s3
	s_mul_hi_u32 s14, s9, s12
	s_mul_i32 s12, s9, s12
	s_add_u32 s11, s11, s12
	s_mul_hi_u32 s13, s9, s10
	s_addc_u32 s3, s3, s14
	s_addc_u32 s11, s13, 0
	s_mul_i32 s10, s9, s10
	s_add_u32 s3, s3, s10
	s_addc_u32 s10, 0, s11
	s_add_u32 s11, s3, 1
	s_addc_u32 s12, s10, 0
	s_add_u32 s13, s3, 2
	s_mul_i32 s15, s34, s10
	s_mul_hi_u32 s16, s34, s3
	s_addc_u32 s14, s10, 0
	s_add_i32 s16, s16, s15
	s_mul_i32 s15, s34, s3
	v_mov_b32_e32 v0, s15
	v_sub_co_u32_e32 v0, vcc, s8, v0
	s_cmp_lg_u64 vcc, 0
	s_subb_u32 s8, s9, s16
	v_subrev_co_u32_e32 v2, vcc, s34, v0
	s_cmp_lg_u64 vcc, 0
	s_subb_u32 s9, s8, 0
	v_readfirstlane_b32 s15, v2
	s_cmp_ge_u32 s15, s34
	s_cselect_b32 s15, -1, 0
	s_cmp_eq_u32 s9, 0
	s_cselect_b32 s9, s15, -1
	s_cmp_lg_u32 s9, 0
	s_cselect_b32 s9, s14, s12
	v_readfirstlane_b32 s12, v0
	s_cselect_b32 s11, s13, s11
	s_cmp_ge_u32 s12, s34
	s_cselect_b32 s12, -1, 0
	s_cmp_eq_u32 s8, 0
	s_cselect_b32 s8, s12, -1
	s_cmp_lg_u32 s8, 0
	s_cselect_b32 s9, s9, s10
	s_cselect_b32 s8, s11, s3
	s_xor_b64 s[8:9], s[8:9], s[6:7]
	s_sub_u32 s58, s8, s6
	s_load_dwordx2 s[44:45], s[4:5], 0x5c
	s_cbranch_execnz .LBB29_8
.LBB29_7:
	v_rcp_iflag_f32_e32 v0, v1
	s_sub_i32 s0, 0, s34
	v_mul_f32_e32 v0, 0x4f7ffffe, v0
	v_cvt_u32_f32_e32 v0, v0
	v_readfirstlane_b32 s1, v0
	s_mul_i32 s0, s0, s1
	s_mul_hi_u32 s0, s1, s0
	s_add_i32 s1, s1, s0
	s_mul_hi_u32 s0, s2, s1
	s_mul_i32 s3, s0, s34
	s_sub_i32 s2, s2, s3
	s_add_i32 s1, s0, 1
	s_sub_i32 s3, s2, s34
	s_cmp_ge_u32 s2, s34
	s_cselect_b32 s0, s1, s0
	s_cselect_b32 s2, s3, s2
	s_add_i32 s1, s0, 1
	s_cmp_ge_u32 s2, s34
	s_cselect_b32 s58, s1, s0
.LBB29_8:
	s_abs_i32 s59, s85
	v_cvt_f32_u32_e32 v0, s59
	s_sub_i32 s2, 0, s59
	v_readlane_b32 s0, v255, 4
	v_readlane_b32 s1, v255, 5
	v_rcp_iflag_f32_e32 v0, v0
	s_load_dwordx16 s[12:27], s[4:5], 0x0
	s_load_dword s6, s[4:5], 0x40
	s_load_dwordx2 s[52:53], s[4:5], 0x8c
	s_load_dwordx4 s[36:39], s[4:5], 0x98
	s_load_dwordx2 s[46:47], s[4:5], 0xa8
	s_load_dwordx2 s[10:11], s[4:5], 0xb8
	;; [unrolled: 1-line block ×3, first 2 shown]
	s_abs_i32 s1, s54
	s_ashr_i32 s33, s31, 3
	v_mul_f32_e32 v0, 0x4f7ffffe, v0
	v_cvt_u32_f32_e32 v0, v0
	s_ashr_i32 s51, s0, 3
	s_waitcnt lgkmcnt(0)
	s_ashr_i32 s40, s52, 2
	s_ashr_i32 s42, s11, 1
	v_readfirstlane_b32 s50, v0
	s_mul_i32 s2, s2, s50
	s_mul_hi_u32 s2, s50, s2
	s_add_i32 s50, s50, s2
	s_mul_hi_u32 s2, s1, s50
	s_mul_i32 s2, s2, s59
	s_sub_i32 s1, s1, s2
	s_ashr_i32 s30, s38, 2
	s_ashr_i32 s0, s54, 31
	;; [unrolled: 1-line block ×3, first 2 shown]
	s_sub_i32 s2, s1, s59
	s_cmp_ge_u32 s1, s59
	s_cselect_b32 s1, s2, s1
	s_sub_i32 s2, s1, s59
	s_cmp_ge_u32 s1, s59
	s_cselect_b32 s1, s2, s1
	s_xor_b32 s1, s1, s0
	s_sub_i32 s76, s1, s0
	s_sub_i32 s0, s58, s54
	s_add_i32 s2, s0, s76
	s_min_i32 s83, s85, s2
	s_cmp_gt_i32 s58, s54
	s_cselect_b64 s[8:9], -1, 0
	s_cmp_le_i32 s58, s54
	v_cvt_f16_f32_e32 v0, s6
	s_cselect_b64 s[0:1], -1, 0
	s_cmp_gt_i32 s85, s2
	s_cselect_b64 s[2:3], -1, 0
	s_or_b64 s[0:1], s[2:3], s[0:1]
	v_bfe_u32 v75, v4, 10, 10
	s_mov_b32 s61, 0
	s_and_b64 vcc, exec, s[0:1]
	v_pack_b32_f16 v81, v0, v0
	v_lshlrev_b32_e32 v230, 3, v75
	v_and_b32_e32 v231, 1, v75
	v_lshrrev_b32_e32 v73, 1, v75
	v_and_b32_e32 v84, 3, v75
	v_lshrrev_b32_e32 v91, 2, v75
	v_add_u32_e32 v64, 8, v75
	v_add_u32_e32 v63, 16, v75
	;; [unrolled: 1-line block ×7, first 2 shown]
	s_cbranch_vccz .LBB29_11
; %bb.9:
	s_andn2_b64 vcc, exec, s[8:9]
	s_cbranch_vccz .LBB29_430
.LBB29_10:
	s_endpgm
.LBB29_11:
	v_writelane_b32 v255, s56, 6
	v_and_b32_e32 v92, 0x3ff, v4
	v_writelane_b32 v255, s57, 7
	s_cmp_eq_u64 s[20:21], 0
	v_lshrrev_b32_e32 v2, 3, v92
	v_writelane_b32 v255, s34, 8
	s_cselect_b64 s[0:1], -1, 0
	buffer_store_dword v4, off, s[96:99], 0 offset:120 ; 4-byte Folded Spill
	v_and_b32_e32 v3, 15, v92
	v_and_b32_e32 v4, 62, v2
	v_writelane_b32 v255, s0, 9
	s_cmp_lg_u64 s[22:23], 0
	v_mul_u32_u24_e32 v0, 0x210, v3
	v_lshlrev_b32_e32 v2, 2, v4
	v_writelane_b32 v255, s1, 10
	s_cselect_b64 s[0:1], -1, 0
	v_add3_u32 v5, 0, v0, v2
	v_lshrrev_b32_e32 v0, 5, v92
	v_writelane_b32 v255, s0, 11
	v_lshl_add_u32 v94, v75, 1, v0
	v_lshlrev_b32_e32 v0, 2, v92
	v_writelane_b32 v255, s1, 12
	v_and_b32_e32 v1, 0xff0, v230
	s_movk_i32 s0, 0x210
	v_and_b32_e32 v2, 0x7c, v0
	v_lshlrev_b32_e32 v0, 4, v75
	v_lshrrev_b32_e32 v7, 2, v92
	v_mad_u32_u24 v93, v1, s0, v5
	v_and_b32_e32 v6, 16, v0
	v_and_b32_e32 v8, 0x7c, v7
	v_and_or_b32 v1, v92, 12, v1
	v_lshrrev_b32_e32 v1, 2, v1
	v_add_u16_e32 v10, v8, v6
	v_mul_u32_u24_e32 v12, 0x108, v8
	s_movk_i32 s2, 0x90
	v_add_u32_e32 v9, v8, v6
	v_lshrrev_b16_e32 v10, 1, v10
	v_and_b32_e32 v11, 8, v230
	v_or_b32_e32 v12, v12, v3
	v_or_b32_e32 v7, 3, v7
	s_movk_i32 s1, 0x420
	v_mad_u32_u24 v1, v1, s2, 0
	v_mul_u32_u24_e32 v13, 0x210, v8
	v_mul_u32_u24_e32 v7, 0x210, v7
	;; [unrolled: 1-line block ×3, first 2 shown]
	v_mad_u32_u24 v96, v6, s0, v5
	v_lshl_add_u32 v97, v10, 2, v1
	v_lshl_add_u32 v1, v9, 1, v1
	v_mad_u32_u24 v5, v11, s1, 0
	v_lshlrev_b32_e32 v6, 1, v12
	v_lshlrev_b32_e32 v9, 1, v3
	v_add_u32_e32 v98, v5, v6
	v_add3_u32 v99, v5, v13, v9
	v_add3_u32 v100, v5, v7, v9
	;; [unrolled: 1-line block ×3, first 2 shown]
	v_mad_u32_u24 v20, v94, s2, 0
	v_add_u32_e32 v101, v5, v6
	v_mad_u32_u24 v10, v8, s0, v5
	v_add3_u32 v102, v5, v7, v9
	v_add3_u32 v5, 0, 64, v14
	s_add_i32 s2, 0, 0x60
	v_add_u32_e32 v103, v5, v6
	v_mad_u32_u24 v12, v8, s0, v5
	v_add3_u32 v104, v5, v7, v9
	v_mov_b32_e32 v5, s2
	v_mad_u32_u24 v5, v11, s1, v5
	s_add_i32 s2, 0, 0x80
	v_add_u32_e32 v105, v5, v6
	v_mad_u32_u24 v13, v8, s0, v5
	v_add3_u32 v106, v5, v7, v9
	v_mov_b32_e32 v5, s2
	v_mad_u32_u24 v5, v11, s1, v5
	s_add_i32 s2, 0, 0xa0
	v_add_u32_e32 v107, v5, v6
	v_mad_u32_u24 v14, v8, s0, v5
	v_add3_u32 v108, v5, v7, v9
	v_mov_b32_e32 v5, s2
	v_mul_u32_u24_e32 v15, 0x180, v94
	v_lshlrev_b32_e32 v16, 2, v2
	v_mad_u32_u24 v5, v11, s1, v5
	s_add_i32 s2, 0, 0xc0
	v_add3_u32 v95, v20, v15, v16
	v_add_u32_e32 v109, v5, v6
	v_mad_u32_u24 v15, v8, s0, v5
	v_add3_u32 v110, v5, v7, v9
	v_mov_b32_e32 v5, s2
	s_add_i32 s2, 0, 0xe0
	v_mov_b32_e32 v16, s2
	s_add_i32 s2, 0, 0x100
	;; [unrolled: 2-line block ×9, first 2 shown]
	s_movk_i32 s34, 0x84
	v_mov_b32_e32 v25, s2
	v_add_u32_e32 v149, 64, v1
	v_add_u32_e32 v150, 0x44, v1
	v_mad_u32_u24 v1, v75, s34, v92
	v_mad_u32_u24 v5, v11, s1, v5
	;; [unrolled: 1-line block ×11, first 2 shown]
	s_movk_i32 s6, 0x44
	v_or_b32_e32 v3, v0, v3
	v_lshl_add_u32 v151, v1, 2, 0
	v_or_b32_e32 v1, v0, v92
	v_add_u32_e32 v111, v5, v6
	v_mad_u32_u24 v25, v8, s0, v5
	v_add3_u32 v112, v5, v7, v9
	v_add_u32_e32 v113, v16, v6
	v_mad_u32_u24 v5, v8, s0, v16
	v_add3_u32 v114, v16, v7, v9
	;; [unrolled: 3-line block ×8, first 2 shown]
	v_add_u32_e32 v127, v24, v6
	v_mad_u32_u24 v23, v8, s0, v24
	v_add_u32_e32 v129, v11, v6
	v_mad_u32_u24 v6, v8, s0, v11
	s_movk_i32 s0, 0x4200
	s_lshl_b32 s60, s35, 6
	v_mad_u32_u24 v3, v3, s6, v4
	v_lshlrev_b32_e32 v40, 1, v92
	v_mul_u32_u24_e32 v152, 0x110, v1
	v_and_b32_e32 v1, 31, v92
	v_add3_u32 v131, v10, v9, s0
	v_add3_u32 v132, v12, v9, s0
	;; [unrolled: 1-line block ×15, first 2 shown]
	s_ashr_i32 s43, s42, 31
	s_ashr_i32 s41, s40, 31
	s_lshl_b32 s1, s40, 4
	s_ashr_i32 s31, s30, 31
	s_lshl_b32 s0, s30, 4
	s_lshl_b64 s[2:3], s[60:61], 3
	v_or_b32_e32 v5, v230, v92
	v_and_b32_e32 v40, 62, v40
	v_or_b32_e32 v0, v0, v1
	v_lshl_add_u32 v154, v3, 2, 0
	v_add_u32_e32 v3, 16, v73
	v_add_u32_e32 v47, 32, v73
	;; [unrolled: 1-line block ×3, first 2 shown]
	s_add_u32 s2, s26, s2
	v_lshlrev_b32_e32 v5, 3, v5
	s_movk_i32 s7, 0x3e0
	v_add_u32_e32 v21, 4, v73
	v_lshl_add_u32 v148, v40, 1, v20
	s_movk_i32 s11, 0x1e0
	v_mul_u32_u24_e32 v153, 0x110, v0
	v_bfe_u32 v0, v75, 1, 4
	v_lshlrev_b32_e32 v20, 1, v3
	v_lshlrev_b32_e32 v48, 1, v47
	;; [unrolled: 1-line block ×3, first 2 shown]
	s_addc_u32 s3, s27, s3
	v_add_co_u32_e32 v8, vcc, s2, v5
	v_lshlrev_b32_e32 v4, 1, v21
	v_and_b32_e32 v5, 15, v21
	v_and_or_b32 v20, v20, s7, v0
	v_and_or_b32 v48, v48, s7, v0
	v_and_or_b32 v50, v50, s7, v0
	v_and_or_b32 v0, v75, s11, v0
	v_mov_b32_e32 v6, s3
	v_and_or_b32 v22, v4, s7, v5
	v_mul_u32_u24_e32 v155, 0x110, v0
	v_mad_u32_u24 v0, v0, s6, v92
	v_add3_u32 v128, v24, v7, v9
	v_add3_u32 v130, v11, v7, v9
	v_addc_co_u32_e32 v9, vcc, 0, v6, vcc
	v_lshl_add_u32 v156, v0, 2, 0
	v_mul_u32_u24_e32 v0, 0x110, v22
	buffer_store_dword v8, off, s[96:99], 0 offset:76 ; 4-byte Folded Spill
	s_nop 0
	buffer_store_dword v9, off, s[96:99], 0 offset:80 ; 4-byte Folded Spill
	v_add_u32_e32 v23, 8, v73
	buffer_store_dword v0, off, s[96:99], 0 ; 4-byte Folded Spill
	v_mad_u32_u24 v0, v22, s6, v92
	v_lshlrev_b32_e32 v4, 1, v23
	v_and_b32_e32 v5, 15, v23
	v_lshl_add_u32 v0, v0, 2, 0
	v_and_or_b32 v24, v4, s7, v5
	buffer_store_dword v0, off, s[96:99], 0 offset:4 ; 4-byte Folded Spill
	v_lshrrev_b32_e32 v0, 2, v23
	buffer_store_dword v0, off, s[96:99], 0 offset:8 ; 4-byte Folded Spill
	v_mul_u32_u24_e32 v0, 0x110, v24
	v_add_u32_e32 v25, 12, v73
	buffer_store_dword v0, off, s[96:99], 0 offset:84 ; 4-byte Folded Spill
	v_mad_u32_u24 v0, v24, s6, v92
	v_lshlrev_b32_e32 v4, 1, v25
	v_and_b32_e32 v5, 15, v25
	v_lshl_add_u32 v0, v0, 2, 0
	v_and_or_b32 v26, v4, s7, v5
	buffer_store_dword v0, off, s[96:99], 0 offset:88 ; 4-byte Folded Spill
	v_lshrrev_b32_e32 v0, 2, v25
	buffer_store_dword v0, off, s[96:99], 0 offset:92 ; 4-byte Folded Spill
	v_mul_u32_u24_e32 v0, 0x110, v26
	buffer_store_dword v0, off, s[96:99], 0 offset:96 ; 4-byte Folded Spill
	v_mad_u32_u24 v0, v26, s6, v92
	v_lshl_add_u32 v0, v0, 2, 0
	buffer_store_dword v0, off, s[96:99], 0 offset:100 ; 4-byte Folded Spill
	v_lshrrev_b32_e32 v0, 2, v3
	buffer_store_dword v0, off, s[96:99], 0 offset:104 ; 4-byte Folded Spill
	v_mul_u32_u24_e32 v0, 0x110, v20
	v_add_u32_e32 v27, 20, v73
	buffer_store_dword v0, off, s[96:99], 0 offset:108 ; 4-byte Folded Spill
	v_mad_u32_u24 v0, v20, s6, v92
	v_lshlrev_b32_e32 v4, 1, v27
	v_and_b32_e32 v5, 15, v27
	v_lshl_add_u32 v0, v0, 2, 0
	v_and_or_b32 v28, v4, s7, v5
	buffer_store_dword v0, off, s[96:99], 0 offset:112 ; 4-byte Folded Spill
	v_lshrrev_b32_e32 v0, 2, v27
	buffer_store_dword v0, off, s[96:99], 0 offset:116 ; 4-byte Folded Spill
	v_mul_u32_u24_e32 v0, 0x110, v28
	v_add_u32_e32 v29, 24, v73
	buffer_store_dword v0, off, s[96:99], 0 offset:124 ; 4-byte Folded Spill
	v_mad_u32_u24 v0, v28, s6, v92
	v_lshlrev_b32_e32 v4, 1, v29
	v_and_b32_e32 v5, 15, v29
	v_lshl_add_u32 v0, v0, 2, 0
	v_and_or_b32 v30, v4, s7, v5
	;; [unrolled: 11-line block ×3, first 2 shown]
	buffer_store_dword v0, off, s[96:99], 0 offset:140 ; 4-byte Folded Spill
	v_lshrrev_b32_e32 v0, 2, v31
	buffer_store_dword v0, off, s[96:99], 0 offset:144 ; 4-byte Folded Spill
	v_mul_u32_u24_e32 v0, 0x110, v32
	buffer_store_dword v0, off, s[96:99], 0 offset:148 ; 4-byte Folded Spill
	v_mad_u32_u24 v0, v32, s6, v92
	v_lshl_add_u32 v0, v0, 2, 0
	buffer_store_dword v0, off, s[96:99], 0 offset:152 ; 4-byte Folded Spill
	v_lshrrev_b32_e32 v0, 2, v47
	buffer_store_dword v0, off, s[96:99], 0 offset:156 ; 4-byte Folded Spill
	v_mul_u32_u24_e32 v0, 0x110, v48
	v_add_u32_e32 v33, 36, v73
	buffer_store_dword v0, off, s[96:99], 0 offset:160 ; 4-byte Folded Spill
	v_mad_u32_u24 v0, v48, s6, v92
	v_lshlrev_b32_e32 v4, 1, v33
	v_and_b32_e32 v5, 15, v33
	v_lshl_add_u32 v0, v0, 2, 0
	v_and_or_b32 v34, v4, s7, v5
	buffer_store_dword v0, off, s[96:99], 0 offset:164 ; 4-byte Folded Spill
	v_lshrrev_b32_e32 v0, 2, v33
	buffer_store_dword v0, off, s[96:99], 0 offset:168 ; 4-byte Folded Spill
	v_mul_u32_u24_e32 v0, 0x110, v34
	v_add_u32_e32 v35, 40, v73
	buffer_store_dword v0, off, s[96:99], 0 offset:172 ; 4-byte Folded Spill
	v_mad_u32_u24 v0, v34, s6, v92
	v_lshlrev_b32_e32 v4, 1, v35
	v_and_b32_e32 v5, 15, v35
	v_lshl_add_u32 v0, v0, 2, 0
	v_and_or_b32 v36, v4, s7, v5
	buffer_store_dword v0, off, s[96:99], 0 offset:176 ; 4-byte Folded Spill
	v_lshrrev_b32_e32 v0, 2, v35
	buffer_store_dword v0, off, s[96:99], 0 offset:180 ; 4-byte Folded Spill
	v_mul_u32_u24_e32 v0, 0x110, v36
	v_add_u32_e32 v37, 44, v73
	buffer_store_dword v0, off, s[96:99], 0 offset:184 ; 4-byte Folded Spill
	v_mad_u32_u24 v0, v36, s6, v92
	v_lshlrev_b32_e32 v4, 1, v37
	v_and_b32_e32 v5, 15, v37
	v_lshl_add_u32 v0, v0, 2, 0
	v_writelane_b32 v255, s35, 13
	v_and_or_b32 v38, v4, s7, v5
	v_add_u32_e32 v39, 52, v73
	buffer_store_dword v0, off, s[96:99], 0 offset:188 ; 4-byte Folded Spill
	v_lshrrev_b32_e32 v0, 2, v37
	v_lshlrev_b32_e32 v4, 1, v39
	v_and_b32_e32 v5, 15, v39
	v_add_u32_e32 v42, 56, v73
	v_readlane_b32 s55, v255, 3
	buffer_store_dword v0, off, s[96:99], 0 offset:192 ; 4-byte Folded Spill
	v_mul_u32_u24_e32 v0, 0x110, v38
	v_and_or_b32 v41, v4, s7, v5
	v_lshlrev_b32_e32 v4, 1, v42
	v_and_b32_e32 v5, 15, v42
	s_abs_i32 s57, s55
	buffer_store_dword v0, off, s[96:99], 0 offset:196 ; 4-byte Folded Spill
	v_mad_u32_u24 v0, v38, s6, v92
	v_and_or_b32 v43, v4, s7, v5
	v_cvt_f32_u32_e32 v4, s57
	v_lshl_add_u32 v0, v0, 2, 0
	buffer_store_dword v0, off, s[96:99], 0 offset:200 ; 4-byte Folded Spill
	v_lshrrev_b32_e32 v0, 2, v49
	buffer_store_dword v0, off, s[96:99], 0 offset:204 ; 4-byte Folded Spill
	v_mul_u32_u24_e32 v0, 0x110, v50
	v_readlane_b32 s52, v255, 2
	buffer_store_dword v0, off, s[96:99], 0 offset:208 ; 4-byte Folded Spill
	v_mad_u32_u24 v0, v50, s6, v92
	v_rcp_iflag_f32_e32 v4, v4
	s_abs_i32 s86, s52
	v_lshl_add_u32 v0, v0, 2, 0
	v_cvt_f32_u32_e32 v7, s86
	buffer_store_dword v0, off, s[96:99], 0 offset:212 ; 4-byte Folded Spill
	v_lshrrev_b32_e32 v0, 2, v39
	buffer_store_dword v0, off, s[96:99], 0 offset:216 ; 4-byte Folded Spill
	v_mul_u32_u24_e32 v0, 0x110, v41
	v_add_u32_e32 v44, 60, v73
	v_readlane_b32 s35, v255, 1
	buffer_store_dword v0, off, s[96:99], 0 offset:220 ; 4-byte Folded Spill
	v_mad_u32_u24 v0, v41, s6, v92
	v_lshlrev_b32_e32 v5, 1, v44
	v_and_b32_e32 v6, 15, v44
	v_mul_f32_e32 v4, 0x4f7ffffe, v4
	s_abs_i32 s87, s35
	s_abs_i32 s88, s10
	v_lshl_add_u32 v0, v0, 2, 0
	v_and_or_b32 v45, v5, s7, v6
	v_cvt_u32_f32_e32 v4, v4
	v_rcp_iflag_f32_e32 v5, v7
	v_cvt_f32_u32_e32 v6, s87
	v_cvt_f32_u32_e32 v7, s88
	buffer_store_dword v0, off, s[96:99], 0 offset:224 ; 4-byte Folded Spill
	v_lshrrev_b32_e32 v0, 2, v42
	buffer_store_dword v0, off, s[96:99], 0 offset:228 ; 4-byte Folded Spill
	v_mul_u32_u24_e32 v0, 0x110, v43
	buffer_store_dword v0, off, s[96:99], 0 offset:232 ; 4-byte Folded Spill
	v_mad_u32_u24 v0, v43, s6, v92
	v_lshl_add_u32 v0, v0, 2, 0
	v_readfirstlane_b32 s8, v4
	v_rcp_iflag_f32_e32 v4, v6
	v_rcp_iflag_f32_e32 v6, v7
	buffer_store_dword v0, off, s[96:99], 0 offset:236 ; 4-byte Folded Spill
	v_lshrrev_b32_e32 v0, 2, v44
	s_mov_b32 s2, s10
	buffer_store_dword v0, off, s[96:99], 0 offset:240 ; 4-byte Folded Spill
	v_mul_u32_u24_e32 v0, 0x110, v45
	v_writelane_b32 v255, s2, 14
	buffer_store_dword v0, off, s[96:99], 0 offset:244 ; 4-byte Folded Spill
	v_mad_u32_u24 v0, v45, s6, v92
	v_writelane_b32 v255, s3, 15
	v_mul_lo_u32 v12, s30, v94
	v_cmp_gt_u32_e64 s[62:63], 32, v92
	v_lshl_add_u32 v0, v0, 2, 0
	v_mul_f32_e32 v4, 0x4f7ffffe, v4
	v_mul_f32_e32 v6, 0x4f7ffffe, v6
	v_mov_b32_e32 v46, s19
	v_ashrrev_i32_e32 v13, 31, v12
	v_writelane_b32 v255, s62, 16
	buffer_store_dword v0, off, s[96:99], 0 offset:248 ; 4-byte Folded Spill
	v_add_co_u32_e32 v0, vcc, s18, v2
	v_cvt_u32_f32_e32 v4, v4
	v_cvt_u32_f32_e32 v6, v6
	v_add_u32_e32 v14, s0, v12
	v_writelane_b32 v255, s63, 17
	s_ashr_i32 s6, s55, 31
	buffer_store_dword v0, off, s[96:99], 0 offset:12 ; 4-byte Folded Spill
	v_addc_co_u32_e32 v0, vcc, 0, v46, vcc
	v_lshlrev_b64 v[42:43], 2, v[12:13]
	v_mul_f32_e32 v5, 0x4f7ffffe, v5
	v_lshlrev_b32_e32 v147, 2, v2
	v_ashrrev_i32_e32 v15, 31, v14
	v_writelane_b32 v255, s6, 18
	s_sub_i32 s6, 0, s57
	buffer_store_dword v0, off, s[96:99], 0 offset:16 ; 4-byte Folded Spill
	v_mov_b32_e32 v0, s17
	v_add_co_u32_e32 v2, vcc, s16, v42
	v_cvt_u32_f32_e32 v5, v5
	v_add_u32_e32 v16, s0, v14
	s_mul_i32 s6, s6, s8
	v_addc_co_u32_e32 v0, vcc, v0, v43, vcc
	v_lshlrev_b64 v[44:45], 2, v[14:15]
	s_sub_i32 s2, 0, s88
	v_ashrrev_i32_e32 v17, 31, v16
	s_mul_hi_u32 s6, s8, s6
	buffer_store_dword v2, off, s[96:99], 0 offset:20 ; 4-byte Folded Spill
	buffer_store_dword v0, off, s[96:99], 0 offset:24 ; 4-byte Folded Spill
	v_mov_b32_e32 v0, s17
	v_add_co_u32_e32 v2, vcc, s16, v44
	v_readfirstlane_b32 s10, v4
	v_mul_lo_u32 v4, s2, v6
	v_add_u32_e32 v18, s0, v16
	s_add_i32 s6, s8, s6
	v_addc_co_u32_e32 v0, vcc, v0, v45, vcc
	v_lshlrev_b64 v[46:47], 2, v[16:17]
	v_mul_hi_u32 v4, v6, v4
	v_ashrrev_i32_e32 v19, 31, v18
	v_writelane_b32 v255, s6, 19
	s_ashr_i32 s6, s52, 31
	buffer_store_dword v2, off, s[96:99], 0 offset:28 ; 4-byte Folded Spill
	buffer_store_dword v0, off, s[96:99], 0 offset:32 ; 4-byte Folded Spill
	v_mov_b32_e32 v0, s17
	v_add_co_u32_e32 v2, vcc, s16, v46
	v_readfirstlane_b32 s9, v5
	v_add_u32_e32 v146, v6, v4
	v_mul_lo_u32 v4, s40, v94
	v_writelane_b32 v255, s6, 20
	s_sub_i32 s6, 0, s86
	v_addc_co_u32_e32 v0, vcc, v0, v47, vcc
	v_lshlrev_b64 v[48:49], 2, v[18:19]
	v_ashrrev_i32_e32 v5, 31, v4
	s_mul_i32 s6, s6, s9
	buffer_store_dword v2, off, s[96:99], 0 offset:36 ; 4-byte Folded Spill
	buffer_store_dword v0, off, s[96:99], 0 offset:40 ; 4-byte Folded Spill
	v_mov_b32_e32 v0, s17
	v_add_co_u32_e32 v2, vcc, s16, v48
	v_add_u32_e32 v6, s1, v4
	s_mul_hi_u32 s6, s9, s6
	v_addc_co_u32_e32 v0, vcc, v0, v49, vcc
	v_lshlrev_b64 v[50:51], 2, v[4:5]
	v_ashrrev_i32_e32 v7, 31, v6
	s_add_i32 s6, s9, s6
	buffer_store_dword v2, off, s[96:99], 0 offset:44 ; 4-byte Folded Spill
	buffer_store_dword v0, off, s[96:99], 0 offset:48 ; 4-byte Folded Spill
	v_mov_b32_e32 v0, s15
	v_add_co_u32_e32 v2, vcc, s14, v50
	v_add_u32_e32 v8, s1, v6
	v_writelane_b32 v255, s6, 21
	s_ashr_i32 s6, s35, 31
	v_addc_co_u32_e32 v0, vcc, v0, v51, vcc
	v_lshlrev_b64 v[52:53], 2, v[6:7]
	v_ashrrev_i32_e32 v9, 31, v8
	v_writelane_b32 v255, s6, 22
	s_sub_i32 s6, 0, s87
	buffer_store_dword v2, off, s[96:99], 0 offset:52 ; 4-byte Folded Spill
	buffer_store_dword v0, off, s[96:99], 0 offset:56 ; 4-byte Folded Spill
	v_mov_b32_e32 v0, s15
	v_add_co_u32_e32 v2, vcc, s14, v52
	v_add_u32_e32 v10, s1, v8
	s_mul_i32 s6, s6, s10
	v_addc_co_u32_e32 v0, vcc, v0, v53, vcc
	v_lshlrev_b64 v[54:55], 2, v[8:9]
	v_ashrrev_i32_e32 v11, 31, v10
	s_mul_hi_u32 s6, s10, s6
	buffer_store_dword v2, off, s[96:99], 0 offset:60 ; 4-byte Folded Spill
	buffer_store_dword v0, off, s[96:99], 0 offset:64 ; 4-byte Folded Spill
	v_mov_b32_e32 v0, s15
	v_add_co_u32_e32 v2, vcc, s14, v54
	s_add_i32 s56, s10, s6
	s_lshl_b64 s[6:7], s[42:43], 1
	v_addc_co_u32_e32 v0, vcc, v0, v55, vcc
	v_lshlrev_b64 v[56:57], 2, v[10:11]
	v_writelane_b32 v255, s6, 23
	buffer_store_dword v0, off, s[96:99], 0 offset:72 ; 4-byte Folded Spill
	v_mov_b32_e32 v0, s15
	v_add_co_u32_e32 v218, vcc, s14, v56
	v_mbcnt_lo_u32_b32 v188, -1, 0
	s_movk_i32 s90, 0x80
	v_cmp_eq_u32_e64 s[0:1], 0, v231
	v_cmp_eq_u32_e64 s[2:3], 1, v231
	v_cmp_gt_u32_e64 s[4:5], 16, v92
	v_lshrrev_b32_e32 v157, 2, v21
	v_writelane_b32 v255, s7, 24
	s_lshl_b64 s[68:69], s[30:31], 8
	s_lshl_b64 s[70:71], s[40:41], 8
	v_addc_co_u32_e32 v219, vcc, v0, v57, vcc
	s_mov_b32 s43, 0x3fb8aa3b
	s_mov_b32 s67, 0xc2ce8ed0
	;; [unrolled: 1-line block ×5, first 2 shown]
	s_movk_i32 s66, 0x47
	v_add_u32_e32 v220, 64, v92
	v_mov_b32_e32 v221, 0
	v_add_u32_e32 v222, 0x2100, v95
	v_add_u32_e32 v223, 0x4200, v95
	;; [unrolled: 1-line block ×34, first 2 shown]
	s_mov_b32 s52, s51
	v_mul_lo_u32 v201, v84, s51
	v_lshrrev_b32_e32 v197, 2, v64
	v_add_u32_e32 v198, 0x1080, v151
	v_lshrrev_b32_e32 v199, 2, v63
	v_lshrrev_b32_e32 v194, 2, v62
	;; [unrolled: 1-line block ×7, first 2 shown]
	v_lshlrev_b32_e32 v58, 4, v1
	v_mbcnt_hi_u32_b32 v189, -1, v188
	v_mov_b32_e32 v190, 0x7f800000
	v_and_b32_e32 v60, 3, v92
	v_bfe_u32 v62, v75, 1, 2
	buffer_store_dword v2, off, s[96:99], 0 offset:68 ; 4-byte Folded Spill
	s_branch .LBB29_14
.LBB29_12:                              ;   in Loop: Header=BB29_14 Depth=1
	s_or_b64 exec, exec, s[72:73]
	s_barrier
.LBB29_13:                              ;   in Loop: Header=BB29_14 Depth=1
	s_add_i32 s6, s54, s85
	s_abs_i32 s8, s6
	s_mul_hi_u32 s9, s8, s50
	s_mul_i32 s9, s9, s59
	s_sub_i32 s8, s8, s9
	s_ashr_i32 s7, s6, 31
	s_sub_i32 s9, s8, s59
	s_cmp_ge_u32 s8, s59
	s_cselect_b32 s8, s9, s8
	s_sub_i32 s9, s8, s59
	s_cmp_ge_u32 s8, s59
	s_cselect_b32 s8, s9, s8
	s_xor_b32 s8, s8, s7
	s_sub_i32 s7, s7, s8
	s_add_i32 s54, s6, s7
	s_sub_i32 s6, s58, s54
	s_min_i32 s83, s85, s6
	s_cmp_gt_i32 s58, s54
	s_cselect_b64 s[8:9], -1, 0
	s_cmp_le_i32 s85, s6
	s_cselect_b64 s[6:7], -1, 0
	s_and_b64 s[6:7], s[6:7], s[8:9]
	s_mov_b32 s76, 0
	s_and_b64 vcc, exec, s[6:7]
	s_cbranch_vccz .LBB29_429
.LBB29_14:                              ; =>This Loop Header: Depth=1
                                        ;     Child Loop BB29_262 Depth 2
                                        ;     Child Loop BB29_55 Depth 2
	s_ashr_i32 s6, s54, 31
	v_readlane_b32 s7, v255, 18
	s_xor_b32 s6, s6, s7
	s_abs_i32 s7, s54
	v_readlane_b32 s8, v255, 19
	s_mul_hi_u32 s8, s7, s8
	s_mul_i32 s9, s8, s57
	s_sub_i32 s7, s7, s9
	s_add_i32 s9, s8, 1
	s_sub_i32 s10, s7, s57
	s_cmp_ge_u32 s7, s57
	s_cselect_b32 s8, s9, s8
	s_cselect_b32 s7, s10, s7
	s_add_i32 s9, s8, 1
	s_cmp_ge_u32 s7, s57
	s_cselect_b32 s7, s9, s8
	s_xor_b32 s7, s7, s6
	s_sub_i32 s8, s7, s6
	v_readlane_b32 s6, v255, 3
	s_mul_i32 s6, s8, s6
	s_sub_i32 s6, s54, s6
	s_ashr_i32 s7, s6, 31
	v_readlane_b32 s9, v255, 20
	s_xor_b32 s7, s7, s9
	s_abs_i32 s9, s6
	v_readlane_b32 s10, v255, 21
	s_mul_hi_u32 s10, s9, s10
	s_mul_i32 s11, s10, s86
	s_sub_i32 s9, s9, s11
	s_add_i32 s11, s10, 1
	s_sub_i32 s51, s9, s86
	s_cmp_ge_u32 s9, s86
	s_cselect_b32 s10, s11, s10
	s_cselect_b32 s9, s51, s9
	s_add_i32 s11, s10, 1
	s_cmp_ge_u32 s9, s86
	s_cselect_b32 s9, s11, s10
	s_xor_b32 s9, s9, s7
	s_sub_i32 s9, s9, s7
	v_readlane_b32 s7, v255, 2
	s_mul_i32 s7, s9, s7
	s_sub_i32 s7, s6, s7
	s_ashr_i32 s6, s7, 31
	v_readlane_b32 s10, v255, 22
	s_xor_b32 s6, s6, s10
	s_abs_i32 s10, s7
	s_mul_hi_u32 s11, s10, s56
	s_mul_i32 s51, s11, s87
	s_sub_i32 s10, s10, s51
	s_add_i32 s51, s11, 1
	s_sub_i32 s60, s10, s87
	s_cmp_ge_u32 s10, s87
	s_cselect_b32 s11, s51, s11
	s_cselect_b32 s10, s60, s10
	s_add_i32 s51, s11, 1
	s_cmp_ge_u32 s10, s87
	s_cselect_b32 s10, s51, s11
	s_xor_b32 s10, s10, s6
	s_sub_i32 s6, s10, s6
	v_readlane_b32 s10, v255, 1
	s_mul_i32 s10, s6, s10
	s_sub_i32 s7, s7, s10
	s_ashr_i32 s10, s7, 31
	s_abs_i32 s7, s7
	s_mul_hi_u32 s11, s7, s50
	s_mul_i32 s51, s11, s59
	s_sub_i32 s7, s7, s51
	s_xor_b32 s10, s10, s38
	s_add_i32 s51, s11, 1
	s_sub_i32 s60, s7, s59
	s_cmp_ge_u32 s7, s59
	s_cselect_b32 s11, s51, s11
	s_cselect_b32 s7, s60, s7
	s_add_i32 s51, s11, 1
	s_cmp_ge_u32 s7, s59
	s_cselect_b32 s7, s51, s11
	v_readlane_b32 s62, v255, 11
	s_xor_b32 s7, s7, s10
	v_readlane_b32 s63, v255, 12
	s_andn2_b64 vcc, exec, s[62:63]
	s_sub_i32 s94, s7, s10
	s_cbranch_vccnz .LBB29_16
; %bb.15:                               ;   in Loop: Header=BB29_14 Depth=1
	v_readlane_b32 s7, v255, 0
	s_mul_i32 s7, s8, s7
	s_add_i32 s10, s94, s7
	s_ashr_i32 s11, s10, 31
	s_lshl_b64 s[10:11], s[10:11], 2
	s_add_u32 s10, s22, s10
	s_addc_u32 s11, s23, s11
	global_load_dword v0, v221, s[10:11]
	s_waitcnt vmcnt(0)
	v_readfirstlane_b32 s7, v0
	s_ashr_i32 s10, s7, 31
	s_lshr_b32 s10, s10, 26
	s_add_i32 s7, s7, s10
	s_ashr_i32 s7, s7, 6
	s_min_i32 s83, s83, s7
.LBB29_16:                              ;   in Loop: Header=BB29_14 Depth=1
	v_readlane_b32 s10, v255, 4
	v_readlane_b32 s11, v255, 5
	s_mul_i32 s7, s9, s80
	s_lshl_b32 s89, s6, 2
	s_mul_i32 s6, s8, s11
	s_add_i32 s72, s89, s7
	s_ashr_i32 s7, s6, 31
	s_add_u32 s6, s12, s6
	s_mul_i32 s10, s72, s10
	s_addc_u32 s7, s13, s7
	s_ashr_i32 s11, s10, 31
	s_add_u32 s93, s6, s10
	s_addc_u32 s92, s7, s11
	s_ashr_i32 s10, s8, 31
	s_mul_i32 s6, s8, s37
	s_mul_hi_u32 s7, s8, s36
	s_add_i32 s6, s7, s6
	s_mul_i32 s7, s10, s36
	s_add_i32 s84, s6, s7
	s_mul_i32 s81, s8, s36
	s_add_u32 s6, s14, s81
	s_mul_i32 s62, s9, s53
	s_addc_u32 s7, s15, s84
	s_ashr_i32 s63, s62, 31
	s_add_u32 s11, s6, s62
	s_addc_u32 s82, s7, s63
	s_abs_i32 s6, s8
	v_mul_hi_u32 v0, s6, v146
	v_mul_lo_u32 v0, v0, s88
	v_sub_u32_e32 v0, s6, v0
	s_mul_i32 s6, s28, s29
	v_subrev_u32_e32 v1, s88, v0
	v_cmp_le_u32_e32 vcc, s88, v0
	s_mul_i32 s6, s6, s8
	v_cndmask_b32_e32 v0, v0, v1, vcc
	s_add_i32 s6, s72, s6
	v_subrev_u32_e32 v1, s88, v0
	v_cmp_le_u32_e32 vcc, s88, v0
	s_lshl_b32 s60, s6, 7
	v_cndmask_b32_e32 v0, v0, v1, vcc
	s_lshl_b64 s[64:65], s[60:61], 3
	v_xor_b32_e32 v0, s10, v0
	s_add_u32 s7, s24, s64
	s_mul_i32 s51, s8, s47
	s_mul_hi_u32 s60, s8, s46
	v_subrev_u32_e32 v0, s10, v0
	s_addc_u32 s6, s25, s65
	s_add_i32 s51, s60, s51
	s_mul_i32 s10, s10, s46
	s_add_i32 s60, s51, s10
	s_mul_i32 s64, s8, s46
	s_add_u32 s8, s16, s64
	s_mul_i32 s65, s9, s39
	s_addc_u32 s10, s17, s60
	s_ashr_i32 s91, s65, 31
	s_add_u32 s51, s8, s65
	s_addc_u32 s10, s10, s91
	s_ashr_i32 s73, s72, 31
	s_lshl_b64 s[8:9], s[72:73], 2
	v_ashrrev_i32_e32 v1, 31, v0
	v_mul_lo_u32 v2, v0, s49
	v_mul_hi_u32 v3, v0, s48
	s_add_u32 s72, s20, s8
	v_add_u32_e32 v2, v3, v2
	v_mul_lo_u32 v1, v1, s48
	v_mul_lo_u32 v64, v0, s48
	s_addc_u32 s73, s21, s9
	v_readlane_b32 s8, v255, 9
	v_add_u32_e32 v65, v2, v1
	v_mov_b32_e32 v0, s19
	v_add_co_u32_e32 v186, vcc, s18, v64
	v_readlane_b32 s9, v255, 10
	v_addc_co_u32_e32 v185, vcc, v0, v65, vcc
	s_and_b64 s[8:9], s[8:9], exec
	v_or_b32_e32 v41, s89, v84
	s_cselect_b32 s73, 0, s73
	s_cselect_b32 s72, 0, s72
	s_cmp_lg_u32 s76, 0
	v_cmp_gt_i32_e32 vcc, s80, v41
	s_cbranch_scc0 .LBB29_51
; %bb.17:                               ;   in Loop: Header=BB29_14 Depth=1
	s_lshl_b32 s95, s94, 4
	v_add_u32_e32 v0, s95, v91
	v_cmp_le_i32_e64 s[8:9], s28, v0
	s_xor_b64 s[74:75], vcc, -1
	s_or_b64 s[8:9], s[8:9], s[74:75]
	s_and_saveexec_b64 s[78:79], s[8:9]
	s_xor_b64 s[8:9], exec, s[78:79]
	s_cbranch_execz .LBB29_19
; %bb.18:                               ;   in Loop: Header=BB29_14 Depth=1
	ds_write2st64_b32 v151, v221, v221 offset1:1
                                        ; implicit-def: $vgpr0
.LBB29_19:                              ;   in Loop: Header=BB29_14 Depth=1
	s_andn2_saveexec_b64 s[8:9], s[8:9]
	s_cbranch_execz .LBB29_21
; %bb.20:                               ;   in Loop: Header=BB29_14 Depth=1
	v_mul_lo_u32 v0, v0, s33
	v_add3_u32 v0, v0, v201, v92
	v_ashrrev_i32_e32 v1, 31, v0
	v_lshlrev_b64 v[0:1], 3, v[0:1]
	v_add_co_u32_e32 v0, vcc, s93, v0
	v_mov_b32_e32 v2, s92
	v_addc_co_u32_e32 v1, vcc, v2, v1, vcc
	global_load_dwordx2 v[2:3], v[0:1], off
	s_waitcnt vmcnt(0)
	v_cvt_f16_f32_e32 v2, v2
	global_load_dwordx2 v[0:1], v[0:1], off offset:512
	v_cvt_f16_f32_e32 v3, v3
	v_pack_b32_f16 v2, v2, v3
	v_pk_mul_f16 v2, v81, v2
	s_waitcnt vmcnt(0)
	v_cvt_f16_f32_e32 v0, v0
	v_cvt_f16_f32_e32 v1, v1
	v_pack_b32_f16 v0, v0, v1
	v_pk_mul_f16 v0, v81, v0
	ds_write2st64_b32 v151, v2, v0 offset1:1
.LBB29_21:                              ;   in Loop: Header=BB29_14 Depth=1
	s_or_b64 exec, exec, s[8:9]
	v_add_u32_e32 v0, s95, v197
	v_cmp_le_i32_e32 vcc, s28, v0
	s_or_b64 s[8:9], vcc, s[74:75]
	s_and_saveexec_b64 s[78:79], s[8:9]
	s_xor_b64 s[8:9], exec, s[78:79]
	s_cbranch_execz .LBB29_23
; %bb.22:                               ;   in Loop: Header=BB29_14 Depth=1
	ds_write2st64_b32 v198, v221, v221 offset1:1
                                        ; implicit-def: $vgpr0
.LBB29_23:                              ;   in Loop: Header=BB29_14 Depth=1
	s_andn2_saveexec_b64 s[8:9], s[8:9]
	s_cbranch_execz .LBB29_25
; %bb.24:                               ;   in Loop: Header=BB29_14 Depth=1
	v_mul_lo_u32 v0, v0, s33
	v_add3_u32 v0, v0, v201, v92
	v_ashrrev_i32_e32 v1, 31, v0
	v_lshlrev_b64 v[0:1], 3, v[0:1]
	v_add_co_u32_e32 v0, vcc, s93, v0
	v_mov_b32_e32 v2, s92
	v_addc_co_u32_e32 v1, vcc, v2, v1, vcc
	global_load_dwordx2 v[2:3], v[0:1], off
	s_waitcnt vmcnt(0)
	v_cvt_f16_f32_e32 v2, v2
	global_load_dwordx2 v[0:1], v[0:1], off offset:512
	v_cvt_f16_f32_e32 v3, v3
	v_pack_b32_f16 v2, v2, v3
	v_pk_mul_f16 v2, v81, v2
	s_waitcnt vmcnt(0)
	v_cvt_f16_f32_e32 v0, v0
	v_cvt_f16_f32_e32 v1, v1
	v_pack_b32_f16 v0, v0, v1
	v_pk_mul_f16 v0, v81, v0
	ds_write2st64_b32 v198, v2, v0 offset1:1
.LBB29_25:                              ;   in Loop: Header=BB29_14 Depth=1
	s_or_b64 exec, exec, s[8:9]
	v_add_u32_e32 v0, s95, v199
	v_cmp_le_i32_e32 vcc, s28, v0
	s_or_b64 s[8:9], vcc, s[74:75]
	s_and_saveexec_b64 s[78:79], s[8:9]
	s_xor_b64 s[8:9], exec, s[78:79]
	s_cbranch_execz .LBB29_27
; %bb.26:                               ;   in Loop: Header=BB29_14 Depth=1
	v_add_u32_e32 v0, 0x80, v198
	ds_write2st64_b32 v0, v221, v221 offset0:16 offset1:17
                                        ; implicit-def: $vgpr0
.LBB29_27:                              ;   in Loop: Header=BB29_14 Depth=1
	s_andn2_saveexec_b64 s[8:9], s[8:9]
	s_cbranch_execz .LBB29_29
; %bb.28:                               ;   in Loop: Header=BB29_14 Depth=1
	v_mul_lo_u32 v0, v0, s33
	v_add3_u32 v0, v0, v201, v92
	v_ashrrev_i32_e32 v1, 31, v0
	v_lshlrev_b64 v[0:1], 3, v[0:1]
	v_add_co_u32_e32 v0, vcc, s93, v0
	v_mov_b32_e32 v2, s92
	v_addc_co_u32_e32 v1, vcc, v2, v1, vcc
	global_load_dwordx2 v[2:3], v[0:1], off
	s_waitcnt vmcnt(0)
	v_cvt_f16_f32_e32 v2, v2
	global_load_dwordx2 v[0:1], v[0:1], off offset:512
	v_cvt_f16_f32_e32 v3, v3
	v_pack_b32_f16 v2, v2, v3
	v_pk_mul_f16 v2, v81, v2
	s_waitcnt vmcnt(0)
	v_cvt_f16_f32_e32 v0, v0
	v_cvt_f16_f32_e32 v1, v1
	v_pack_b32_f16 v0, v0, v1
	v_pk_mul_f16 v0, v81, v0
	v_add_u32_e32 v1, 0x80, v198
	ds_write2st64_b32 v1, v2, v0 offset0:16 offset1:17
.LBB29_29:                              ;   in Loop: Header=BB29_14 Depth=1
	s_or_b64 exec, exec, s[8:9]
	v_add_u32_e32 v0, s95, v194
	v_cmp_le_i32_e32 vcc, s28, v0
	s_or_b64 s[8:9], vcc, s[74:75]
	s_and_saveexec_b64 s[78:79], s[8:9]
	s_xor_b64 s[8:9], exec, s[78:79]
	s_cbranch_execz .LBB29_31
; %bb.30:                               ;   in Loop: Header=BB29_14 Depth=1
	ds_write2st64_b32 v198, v221, v221 offset0:33 offset1:34
                                        ; implicit-def: $vgpr0
.LBB29_31:                              ;   in Loop: Header=BB29_14 Depth=1
	s_andn2_saveexec_b64 s[8:9], s[8:9]
	s_cbranch_execz .LBB29_33
; %bb.32:                               ;   in Loop: Header=BB29_14 Depth=1
	v_mul_lo_u32 v0, v0, s33
	v_add3_u32 v0, v0, v201, v92
	v_ashrrev_i32_e32 v1, 31, v0
	v_lshlrev_b64 v[0:1], 3, v[0:1]
	v_add_co_u32_e32 v0, vcc, s93, v0
	v_mov_b32_e32 v2, s92
	v_addc_co_u32_e32 v1, vcc, v2, v1, vcc
	global_load_dwordx2 v[2:3], v[0:1], off
	s_waitcnt vmcnt(0)
	v_cvt_f16_f32_e32 v2, v2
	global_load_dwordx2 v[0:1], v[0:1], off offset:512
	v_cvt_f16_f32_e32 v3, v3
	v_pack_b32_f16 v2, v2, v3
	v_pk_mul_f16 v2, v81, v2
	s_waitcnt vmcnt(0)
	v_cvt_f16_f32_e32 v0, v0
	v_cvt_f16_f32_e32 v1, v1
	v_pack_b32_f16 v0, v0, v1
	v_pk_mul_f16 v0, v81, v0
	ds_write2st64_b32 v198, v2, v0 offset0:33 offset1:34
.LBB29_33:                              ;   in Loop: Header=BB29_14 Depth=1
	s_or_b64 exec, exec, s[8:9]
	v_add_u32_e32 v0, s95, v195
	v_cmp_le_i32_e32 vcc, s28, v0
	s_or_b64 s[8:9], vcc, s[74:75]
	s_and_saveexec_b64 s[78:79], s[8:9]
	s_xor_b64 s[8:9], exec, s[78:79]
	s_cbranch_execz .LBB29_35
; %bb.34:                               ;   in Loop: Header=BB29_14 Depth=1
	v_add_u32_e32 v0, 0x80, v198
	ds_write2st64_b32 v0, v221, v221 offset0:49 offset1:50
                                        ; implicit-def: $vgpr0
.LBB29_35:                              ;   in Loop: Header=BB29_14 Depth=1
	s_andn2_saveexec_b64 s[8:9], s[8:9]
	s_cbranch_execz .LBB29_37
; %bb.36:                               ;   in Loop: Header=BB29_14 Depth=1
	v_mul_lo_u32 v0, v0, s33
	v_add3_u32 v0, v0, v201, v92
	v_ashrrev_i32_e32 v1, 31, v0
	v_lshlrev_b64 v[0:1], 3, v[0:1]
	v_add_co_u32_e32 v0, vcc, s93, v0
	v_mov_b32_e32 v2, s92
	v_addc_co_u32_e32 v1, vcc, v2, v1, vcc
	global_load_dwordx2 v[2:3], v[0:1], off
	s_waitcnt vmcnt(0)
	v_cvt_f16_f32_e32 v2, v2
	global_load_dwordx2 v[0:1], v[0:1], off offset:512
	v_cvt_f16_f32_e32 v3, v3
	v_pack_b32_f16 v2, v2, v3
	v_pk_mul_f16 v2, v81, v2
	s_waitcnt vmcnt(0)
	v_cvt_f16_f32_e32 v0, v0
	v_cvt_f16_f32_e32 v1, v1
	v_pack_b32_f16 v0, v0, v1
	v_pk_mul_f16 v0, v81, v0
	v_add_u32_e32 v1, 0x80, v198
	ds_write2st64_b32 v1, v2, v0 offset0:49 offset1:50
.LBB29_37:                              ;   in Loop: Header=BB29_14 Depth=1
	s_or_b64 exec, exec, s[8:9]
	v_add_u32_e32 v0, s95, v196
	v_cmp_le_i32_e32 vcc, s28, v0
	s_or_b64 s[8:9], vcc, s[74:75]
	s_and_saveexec_b64 s[78:79], s[8:9]
	s_xor_b64 s[8:9], exec, s[78:79]
	s_cbranch_execz .LBB29_39
; %bb.38:                               ;   in Loop: Header=BB29_14 Depth=1
	ds_write2st64_b32 v198, v221, v221 offset0:66 offset1:67
                                        ; implicit-def: $vgpr0
.LBB29_39:                              ;   in Loop: Header=BB29_14 Depth=1
	s_andn2_saveexec_b64 s[8:9], s[8:9]
	s_cbranch_execz .LBB29_41
; %bb.40:                               ;   in Loop: Header=BB29_14 Depth=1
	v_mul_lo_u32 v0, v0, s33
	v_add3_u32 v0, v0, v201, v92
	v_ashrrev_i32_e32 v1, 31, v0
	v_lshlrev_b64 v[0:1], 3, v[0:1]
	v_add_co_u32_e32 v0, vcc, s93, v0
	v_mov_b32_e32 v2, s92
	v_addc_co_u32_e32 v1, vcc, v2, v1, vcc
	global_load_dwordx2 v[2:3], v[0:1], off
	s_waitcnt vmcnt(0)
	v_cvt_f16_f32_e32 v2, v2
	global_load_dwordx2 v[0:1], v[0:1], off offset:512
	v_cvt_f16_f32_e32 v3, v3
	v_pack_b32_f16 v2, v2, v3
	v_pk_mul_f16 v2, v81, v2
	s_waitcnt vmcnt(0)
	v_cvt_f16_f32_e32 v0, v0
	v_cvt_f16_f32_e32 v1, v1
	v_pack_b32_f16 v0, v0, v1
	v_pk_mul_f16 v0, v81, v0
	ds_write2st64_b32 v198, v2, v0 offset0:66 offset1:67
.LBB29_41:                              ;   in Loop: Header=BB29_14 Depth=1
	s_or_b64 exec, exec, s[8:9]
	v_add_u32_e32 v0, s95, v191
	v_cmp_le_i32_e32 vcc, s28, v0
	s_or_b64 s[8:9], vcc, s[74:75]
	s_and_saveexec_b64 s[78:79], s[8:9]
	s_xor_b64 s[8:9], exec, s[78:79]
	s_cbranch_execz .LBB29_43
; %bb.42:                               ;   in Loop: Header=BB29_14 Depth=1
	v_add_u32_e32 v0, 0x80, v198
	ds_write2st64_b32 v0, v221, v221 offset0:82 offset1:83
                                        ; implicit-def: $vgpr0
.LBB29_43:                              ;   in Loop: Header=BB29_14 Depth=1
	s_andn2_saveexec_b64 s[8:9], s[8:9]
	s_cbranch_execz .LBB29_45
; %bb.44:                               ;   in Loop: Header=BB29_14 Depth=1
	v_mul_lo_u32 v0, v0, s33
	v_add3_u32 v0, v0, v201, v92
	v_ashrrev_i32_e32 v1, 31, v0
	v_lshlrev_b64 v[0:1], 3, v[0:1]
	v_add_co_u32_e32 v0, vcc, s93, v0
	v_mov_b32_e32 v2, s92
	v_addc_co_u32_e32 v1, vcc, v2, v1, vcc
	global_load_dwordx2 v[2:3], v[0:1], off
	s_waitcnt vmcnt(0)
	v_cvt_f16_f32_e32 v2, v2
	global_load_dwordx2 v[0:1], v[0:1], off offset:512
	v_cvt_f16_f32_e32 v3, v3
	v_pack_b32_f16 v2, v2, v3
	v_pk_mul_f16 v2, v81, v2
	s_waitcnt vmcnt(0)
	v_cvt_f16_f32_e32 v0, v0
	v_cvt_f16_f32_e32 v1, v1
	v_pack_b32_f16 v0, v0, v1
	v_pk_mul_f16 v0, v81, v0
	v_add_u32_e32 v1, 0x80, v198
	ds_write2st64_b32 v1, v2, v0 offset0:82 offset1:83
.LBB29_45:                              ;   in Loop: Header=BB29_14 Depth=1
	s_or_b64 exec, exec, s[8:9]
	v_add_u32_e32 v0, s95, v192
	v_cmp_le_i32_e32 vcc, s28, v0
	s_or_b64 s[8:9], vcc, s[74:75]
	s_and_saveexec_b64 s[74:75], s[8:9]
	s_xor_b64 s[8:9], exec, s[74:75]
	s_cbranch_execz .LBB29_47
; %bb.46:                               ;   in Loop: Header=BB29_14 Depth=1
	ds_write2st64_b32 v198, v221, v221 offset0:99 offset1:100
                                        ; implicit-def: $vgpr0
.LBB29_47:                              ;   in Loop: Header=BB29_14 Depth=1
	s_andn2_saveexec_b64 s[8:9], s[8:9]
	s_cbranch_execz .LBB29_49
; %bb.48:                               ;   in Loop: Header=BB29_14 Depth=1
	v_mul_lo_u32 v0, v0, s33
	v_add3_u32 v0, v0, v201, v92
	v_ashrrev_i32_e32 v1, 31, v0
	v_lshlrev_b64 v[0:1], 3, v[0:1]
	v_add_co_u32_e32 v0, vcc, s93, v0
	v_mov_b32_e32 v2, s92
	v_addc_co_u32_e32 v1, vcc, v2, v1, vcc
	global_load_dwordx2 v[2:3], v[0:1], off
	s_waitcnt vmcnt(0)
	v_cvt_f16_f32_e32 v2, v2
	global_load_dwordx2 v[0:1], v[0:1], off offset:512
	v_cvt_f16_f32_e32 v3, v3
	v_pack_b32_f16 v2, v2, v3
	v_pk_mul_f16 v2, v81, v2
	s_waitcnt vmcnt(0)
	v_cvt_f16_f32_e32 v0, v0
	v_cvt_f16_f32_e32 v1, v1
	v_pack_b32_f16 v0, v0, v1
	v_pk_mul_f16 v0, v81, v0
	ds_write2st64_b32 v198, v2, v0 offset0:99 offset1:100
.LBB29_49:                              ;   in Loop: Header=BB29_14 Depth=1
	s_or_b64 exec, exec, s[8:9]
	s_waitcnt lgkmcnt(0)
	s_barrier
	ds_read2_b64 v[30:33], v93 offset1:4
	ds_read2_b64 v[26:29], v93 offset0:8 offset1:12
	ds_read2_b64 v[22:25], v93 offset0:16 offset1:20
	;; [unrolled: 1-line block ×7, first 2 shown]
	v_add_u32_e32 v0, s95, v94
	v_mul_hi_u32 v1, s44, v0
	v_add_u32_e32 v1, v0, v1
	v_lshrrev_b32_e32 v1, s45, v1
	v_mul_lo_u32 v1, v1, s28
	s_add_i32 s74, s83, -1
	v_sub_u32_e32 v0, v0, v1
	s_cmp_gt_i32 s74, s76
	v_mad_i64_i32 v[34:35], s[8:9], v0, s42, 0
	s_waitcnt lgkmcnt(0)
	s_barrier
	s_cbranch_scc1 .LBB29_52
; %bb.50:                               ;   in Loop: Header=BB29_14 Depth=1
	v_and_b32_e32 v0, 64, v189
	s_mov_b32 s75, 0
	v_add_u32_e32 v1, 64, v0
	v_xor_b32_e32 v59, 32, v189
	v_xor_b32_e32 v61, 16, v189
	s_mov_b64 s[8:9], 0
	s_mov_b32 s77, 0xfeffffff
	s_branch .LBB29_53
.LBB29_51:                              ;   in Loop: Header=BB29_14 Depth=1
	s_cbranch_execz .LBB29_13
	s_branch .LBB29_225
.LBB29_52:                              ;   in Loop: Header=BB29_14 Depth=1
	s_mov_b64 s[8:9], -1
                                        ; implicit-def: $sgpr75
                                        ; implicit-def: $sgpr77
                                        ; implicit-def: $vgpr1
                                        ; implicit-def: $vgpr59
                                        ; implicit-def: $vgpr61
.LBB29_53:                              ;   in Loop: Header=BB29_14 Depth=1
	s_andn2_b64 vcc, exec, s[8:9]
	v_mov_b32_e32 v72, s75
	v_mov_b32_e32 v67, s75
	;; [unrolled: 1-line block ×3, first 2 shown]
	v_lshlrev_b64 v[68:69], 1, v[34:35]
	v_mov_b32_e32 v76, s75
	v_mov_b32_e32 v80, s75
	;; [unrolled: 1-line block ×32, first 2 shown]
	s_cbranch_vccnz .LBB29_56
; %bb.54:                               ;   in Loop: Header=BB29_14 Depth=1
	v_add_co_u32_e32 v0, vcc, v186, v68
	v_addc_co_u32_e32 v1, vcc, v185, v69, vcc
	v_lshlrev_b32_e32 v34, 1, v40
	v_mbcnt_hi_u32_b32 v63, -1, v188
	v_add_co_u32_e32 v70, vcc, v0, v34
	v_and_b32_e32 v0, 64, v63
	v_addc_co_u32_e32 v71, vcc, 0, v1, vcc
	v_add_u32_e32 v1, 64, v0
	v_xor_b32_e32 v59, 32, v63
	v_cmp_lt_i32_e32 vcc, v59, v1
	v_xor_b32_e32 v61, 16, v63
	v_cndmask_b32_e32 v0, v63, v59, vcc
	v_cmp_lt_i32_e32 vcc, v61, v1
	v_lshlrev_b32_e32 v74, 2, v0
	v_cndmask_b32_e32 v0, v63, v61, vcc
	v_mov_b32_e32 v86, 0
	v_lshlrev_b32_e32 v78, 2, v0
	s_lshl_b32 s8, s76, 6
	v_mov_b32_e32 v67, 0
	v_mov_b32_e32 v66, 0xfeffffff
	;; [unrolled: 1-line block ×33, first 2 shown]
.LBB29_55:                              ;   Parent Loop BB29_14 Depth=1
                                        ; =>  This Inner Loop Header: Depth=2
	s_ashr_i32 s9, s8, 31
	s_lshl_b64 s[78:79], s[8:9], 1
	s_nop 1
	v_add_co_u32_e32 v34, vcc, s78, v70
	v_mov_b32_e32 v35, s79
	v_addc_co_u32_e32 v35, vcc, v71, v35, vcc
	global_load_dword v34, v[34:35], off
	s_mul_hi_i32 s79, s8, s40
	s_mul_i32 s78, s8, s40
	s_lshl_b64 s[78:79], s[78:79], 2
	s_add_u32 s9, s11, s78
	s_addc_u32 s75, s82, s79
	v_mov_b32_e32 v35, s75
	v_add_u32_e32 v39, 0x4000, v96
	v_mov_b32_e32 v38, v66
	v_mov_b32_e32 v0, v67
	s_mul_hi_i32 s79, s8, s30
	s_mul_i32 s78, s8, s30
	s_lshl_b64 s[78:79], s[78:79], 2
	s_waitcnt vmcnt(0)
	ds_write_b32 v148, v34 offset:33792
	v_add_co_u32_e32 v34, vcc, s9, v50
	v_addc_co_u32_e32 v35, vcc, v35, v51, vcc
	v_add_co_u32_e32 v34, vcc, v34, v147
	v_addc_co_u32_e32 v35, vcc, 0, v35, vcc
	global_load_dwordx4 v[34:37], v[34:35], off
	s_waitcnt vmcnt(0)
	ds_write_b128 v95, v[34:37]
	v_add_co_u32_e32 v34, vcc, s9, v52
	v_mov_b32_e32 v35, s75
	v_addc_co_u32_e32 v35, vcc, v35, v53, vcc
	v_add_co_u32_e32 v34, vcc, v34, v147
	v_addc_co_u32_e32 v35, vcc, 0, v35, vcc
	global_load_dwordx4 v[34:37], v[34:35], off
	s_waitcnt vmcnt(0)
	ds_write_b128 v222, v[34:37]
	v_add_co_u32_e32 v34, vcc, s9, v54
	v_mov_b32_e32 v35, s75
	;; [unrolled: 8-line block ×3, first 2 shown]
	v_addc_co_u32_e32 v35, vcc, v35, v57, vcc
	v_add_co_u32_e32 v34, vcc, v34, v147
	v_addc_co_u32_e32 v35, vcc, 0, v35, vcc
	global_load_dwordx4 v[34:37], v[34:35], off
	s_add_u32 s9, s51, s78
	s_addc_u32 s75, s10, s79
	s_add_i32 s76, s76, 1
	s_add_i32 s8, s8, 64
	s_cmp_lt_i32 s76, s74
	s_waitcnt vmcnt(0)
	ds_write_b128 v224, v[34:37]
	s_waitcnt lgkmcnt(0)
	s_barrier
	ds_read2_b64 v[34:37], v96 offset1:4
	s_waitcnt lgkmcnt(0)
	v_mfma_f32_16x16x16f16 v[202:205], v[34:35], v[30:31], 0
	v_mfma_f32_16x16x16f16 v[34:37], v[36:37], v[32:33], v[202:205]
	s_nop 7
	s_nop 1
	ds_read2_b64 v[202:205], v96 offset0:8 offset1:12
	s_waitcnt lgkmcnt(0)
	v_mfma_f32_16x16x16f16 v[34:37], v[202:203], v[26:27], v[34:37]
	v_mfma_f32_16x16x16f16 v[34:37], v[204:205], v[28:29], v[34:37]
	ds_read2_b64 v[202:205], v96 offset0:16 offset1:20
	s_waitcnt lgkmcnt(0)
	v_mfma_f32_16x16x16f16 v[34:37], v[202:203], v[22:23], v[34:37]
	v_mfma_f32_16x16x16f16 v[34:37], v[204:205], v[24:25], v[34:37]
	;; [unrolled: 4-line block ×8, first 2 shown]
	s_nop 7
	s_nop 1
	ds_read2_b64 v[206:209], v39 offset0:72 offset1:76
	s_waitcnt lgkmcnt(0)
	v_mfma_f32_16x16x16f16 v[202:205], v[206:207], v[26:27], v[202:205]
	v_mfma_f32_16x16x16f16 v[202:205], v[208:209], v[28:29], v[202:205]
	ds_read2_b64 v[206:209], v39 offset0:80 offset1:84
	s_waitcnt lgkmcnt(0)
	v_mfma_f32_16x16x16f16 v[202:205], v[206:207], v[22:23], v[202:205]
	v_mfma_f32_16x16x16f16 v[202:205], v[208:209], v[24:25], v[202:205]
	;; [unrolled: 4-line block ×6, first 2 shown]
	ds_read2_b64 v[206:209], v39 offset0:120 offset1:124
	v_add_u32_e32 v39, 0x8400, v97
	s_waitcnt lgkmcnt(0)
	s_barrier
	ds_read2_b32 v[66:67], v39 offset1:1
	ds_read_b32 v39, v149 offset:33792
	ds_read_b32 v77, v150 offset:33792
	s_waitcnt lgkmcnt(2)
	v_cvt_f32_f16_e32 v158, v66
	v_mfma_f32_16x16x16f16 v[202:205], v[206:207], v[2:3], v[202:205]
	v_cvt_f32_f16_sdwa v159, v66 dst_sel:DWORD dst_unused:UNUSED_PAD src0_sel:WORD_1
	v_pk_add_f32 v[34:35], v[34:35], v[158:159]
	s_waitcnt lgkmcnt(0)
	v_cvt_f32_f16_sdwa v159, v77 dst_sel:DWORD dst_unused:UNUSED_PAD src0_sel:WORD_1
	v_cvt_f32_f16_e32 v158, v77
	v_mfma_f32_16x16x16f16 v[202:205], v[208:209], v[4:5], v[202:205]
	v_add_f32_e32 v66, 0x40051340, v34
	v_add_f32_e32 v89, 0x40051340, v35
	v_max3_f32 v89, v38, v66, v89
	v_cvt_f32_f16_e32 v66, v67
	v_cvt_f32_f16_sdwa v67, v67 dst_sel:DWORD dst_unused:UNUSED_PAD src0_sel:WORD_1
	s_nop 5
	v_pk_add_f32 v[158:159], v[204:205], v[158:159]
	v_cvt_f32_f16_sdwa v205, v39 dst_sel:DWORD dst_unused:UNUSED_PAD src0_sel:WORD_1
	v_cvt_f32_f16_e32 v204, v39
	v_pk_add_f32 v[36:37], v[36:37], v[66:67]
	v_add_f32_e32 v66, 0x40051340, v36
	v_add_f32_e32 v67, 0x40051340, v37
	v_pk_add_f32 v[202:203], v[202:203], v[204:205]
	v_add_f32_e32 v39, 0x40051340, v202
	v_add_f32_e32 v160, 0x40051340, v203
	v_max3_f32 v66, v89, v66, v67
	v_add_f32_e32 v77, 0x40051340, v158
	v_add_f32_e32 v90, 0x40051340, v159
	v_max3_f32 v39, v66, v39, v160
	v_max3_f32 v39, v39, v77, v90
	ds_bpermute_b32 v66, v74, v39
	s_waitcnt lgkmcnt(0)
	v_max_f32_e32 v66, v66, v66
	v_max_f32_e32 v39, v39, v66
	ds_bpermute_b32 v66, v78, v39
	s_waitcnt lgkmcnt(0)
	v_max_f32_e32 v66, v66, v66
	v_max_f32_e32 v66, v39, v66
	v_pk_add_f32 v[34:35], v[34:35], v[66:67] op_sel_hi:[1,0] neg_lo:[0,1] neg_hi:[0,1]
	v_mul_f32_e32 v39, 0x3fb8aa3b, v35
	v_fma_f32 v67, v35, s43, -v39
	v_rndne_f32_e32 v77, v39
	v_fmac_f32_e32 v67, 0x32a5705f, v35
	v_sub_f32_e32 v39, v39, v77
	v_add_f32_e32 v39, v39, v67
	v_exp_f32_e32 v39, v39
	v_cvt_i32_f32_e32 v67, v77
	v_cmp_ngt_f32_e32 vcc, s67, v35
	v_ldexp_f32 v39, v39, v67
	v_cndmask_b32_e32 v39, 0, v39, vcc
	v_cmp_nlt_f32_e32 vcc, s34, v35
	v_mul_f32_e32 v35, 0x3fb8aa3b, v34
	v_cndmask_b32_e32 v184, v190, v39, vcc
	v_fma_f32 v39, v34, s43, -v35
	v_rndne_f32_e32 v67, v35
	v_fmac_f32_e32 v39, 0x32a5705f, v34
	v_sub_f32_e32 v35, v35, v67
	v_add_f32_e32 v35, v35, v39
	v_exp_f32_e32 v35, v35
	v_cvt_i32_f32_e32 v39, v67
	v_cmp_ngt_f32_e32 vcc, s67, v34
	v_ldexp_f32 v35, v35, v39
	v_cndmask_b32_e32 v35, 0, v35, vcc
	v_cmp_nlt_f32_e32 vcc, s34, v34
	v_cndmask_b32_e32 v187, v190, v35, vcc
	v_pk_add_f32 v[34:35], v[36:37], v[66:67] op_sel_hi:[1,0] neg_lo:[0,1] neg_hi:[0,1]
	v_mul_f32_e32 v36, 0x3fb8aa3b, v35
	v_fma_f32 v37, v35, s43, -v36
	v_rndne_f32_e32 v39, v36
	v_fmac_f32_e32 v37, 0x32a5705f, v35
	v_sub_f32_e32 v36, v36, v39
	v_add_f32_e32 v36, v36, v37
	v_exp_f32_e32 v36, v36
	v_cvt_i32_f32_e32 v37, v39
	v_cmp_ngt_f32_e32 vcc, s67, v35
	v_ldexp_f32 v36, v36, v37
	v_cndmask_b32_e32 v36, 0, v36, vcc
	v_cmp_nlt_f32_e32 vcc, s34, v35
	v_mul_f32_e32 v35, 0x3fb8aa3b, v34
	v_cndmask_b32_e32 v37, v190, v36, vcc
	v_fma_f32 v36, v34, s43, -v35
	v_rndne_f32_e32 v39, v35
	v_fmac_f32_e32 v36, 0x32a5705f, v34
	v_sub_f32_e32 v35, v35, v39
	v_add_f32_e32 v35, v35, v36
	v_exp_f32_e32 v35, v35
	v_cvt_i32_f32_e32 v36, v39
	v_cmp_ngt_f32_e32 vcc, s67, v34
	v_ldexp_f32 v35, v35, v36
	v_cndmask_b32_e32 v35, 0, v35, vcc
	v_cmp_nlt_f32_e32 vcc, s34, v34
	v_cndmask_b32_e32 v204, v190, v35, vcc
	;; [unrolled: 27-line block ×3, first 2 shown]
	v_pk_add_f32 v[34:35], v[158:159], v[66:67] op_sel_hi:[1,0] neg_lo:[0,1] neg_hi:[0,1]
	v_mul_f32_e32 v36, 0x3fb8aa3b, v35
	v_fma_f32 v39, v35, s43, -v36
	v_rndne_f32_e32 v67, v36
	v_fmac_f32_e32 v39, 0x32a5705f, v35
	v_sub_f32_e32 v36, v36, v67
	v_add_f32_e32 v36, v36, v39
	v_exp_f32_e32 v36, v36
	v_cvt_i32_f32_e32 v39, v67
	v_cmp_ngt_f32_e32 vcc, s67, v35
	v_ldexp_f32 v36, v36, v39
	v_cndmask_b32_e32 v36, 0, v36, vcc
	v_cmp_nlt_f32_e32 vcc, s34, v35
	v_cndmask_b32_e32 v35, v190, v36, vcc
	v_mul_f32_e32 v36, 0x3fb8aa3b, v34
	v_fma_f32 v39, v34, s43, -v36
	v_rndne_f32_e32 v67, v36
	v_fmac_f32_e32 v39, 0x32a5705f, v34
	v_sub_f32_e32 v36, v36, v67
	v_add_f32_e32 v36, v36, v39
	v_exp_f32_e32 v36, v36
	v_cvt_i32_f32_e32 v39, v67
	v_cmp_ngt_f32_e32 vcc, s67, v34
	v_ldexp_f32 v36, v36, v39
	v_cndmask_b32_e32 v36, 0, v36, vcc
	v_cmp_nlt_f32_e32 vcc, s34, v34
	v_add_f32_e32 v34, v187, v184
	v_add_f32_e32 v34, v204, v34
	v_add_f32_e32 v34, v37, v34
	v_add_f32_e32 v34, v203, v34
	v_cndmask_b32_e32 v205, v190, v36, vcc
	v_add_f32_e32 v34, v202, v34
	v_add_f32_e32 v34, v205, v34
	v_add_f32_e32 v67, v35, v34
	v_sub_f32_e32 v34, v38, v66
	v_mul_f32_e32 v36, 0x3fb8aa3b, v34
	v_fma_f32 v38, v34, s43, -v36
	v_rndne_f32_e32 v39, v36
	v_fmac_f32_e32 v38, 0x32a5705f, v34
	v_sub_f32_e32 v36, v36, v39
	v_add_f32_e32 v36, v36, v38
	v_exp_f32_e32 v36, v36
	v_cvt_i32_f32_e32 v38, v39
	v_cmp_ngt_f32_e32 vcc, s67, v34
	v_cvt_f16_f32_e32 v35, v35
	v_ldexp_f32 v36, v36, v38
	v_cndmask_b32_e32 v36, 0, v36, vcc
	v_cmp_nlt_f32_e32 vcc, s34, v34
	v_cndmask_b32_e32 v36, v190, v36, vcc
	v_cmp_le_f32_e32 vcc, s35, v34
	v_cndmask_b32_e32 v34, 0, v36, vcc
	v_fmac_f32_e32 v67, v0, v34
	v_cvt_f16_f32_e32 v34, v34
	v_cvt_f16_f32_e32 v36, v184
	v_pk_mul_f16 v76, v34, v76 op_sel_hi:[0,1]
	v_pk_mul_f16 v72, v34, v72 op_sel_hi:[0,1]
	;; [unrolled: 1-line block ×32, first 2 shown]
	v_cvt_f16_f32_e32 v34, v187
	v_cvt_f16_f32_e32 v83, v203
	v_mov_b32_e32 v86, s75
	v_mov_b32_e32 v88, s75
	v_pack_b32_f16 v36, v34, v36
	v_cvt_f16_f32_e32 v34, v37
	v_cvt_f16_f32_e32 v37, v204
	v_pack_b32_f16 v37, v37, v34
	v_cvt_f16_f32_e32 v34, v202
	v_pack_b32_f16 v34, v83, v34
	;; [unrolled: 2-line block ×3, first 2 shown]
	v_add_co_u32_e32 v83, vcc, s9, v42
	v_addc_co_u32_e32 v87, vcc, v86, v43, vcc
	v_add_co_u32_e32 v86, vcc, v83, v147
	v_addc_co_u32_e32 v87, vcc, 0, v87, vcc
	global_load_dwordx4 v[202:205], v[86:87], off
	v_add_co_u32_e32 v83, vcc, s9, v44
	v_addc_co_u32_e32 v88, vcc, v88, v45, vcc
	v_add_co_u32_e32 v162, vcc, v83, v147
	v_addc_co_u32_e32 v163, vcc, 0, v88, vcc
	v_add_co_u32_e32 v83, vcc, s9, v46
	v_mov_b32_e32 v88, s75
	v_addc_co_u32_e32 v88, vcc, v88, v47, vcc
	v_add_co_u32_e32 v206, vcc, v83, v147
	v_addc_co_u32_e32 v207, vcc, 0, v88, vcc
	v_add_co_u32_e32 v83, vcc, s9, v48
	v_mov_b32_e32 v88, s75
	v_addc_co_u32_e32 v88, vcc, v88, v49, vcc
	v_add_co_u32_e32 v208, vcc, v83, v147
	v_addc_co_u32_e32 v209, vcc, 0, v88, vcc
	s_waitcnt vmcnt(0)
	ds_write_b128 v95, v[202:205]
	global_load_dwordx4 v[202:205], v[162:163], off
	s_waitcnt vmcnt(0)
	ds_write_b128 v222, v[202:205]
	global_load_dwordx4 v[202:205], v[206:207], off
	;; [unrolled: 3-line block ×3, first 2 shown]
	s_waitcnt vmcnt(0)
	ds_write_b128 v224, v[202:205]
	s_waitcnt lgkmcnt(0)
	s_barrier
	ds_read_u16 v83, v99 offset:528
	ds_read_u16 v86, v99 offset:1056
	v_cvt_f32_f16_e32 v204, v72
	v_cvt_f32_f16_sdwa v205, v72 dst_sel:DWORD dst_unused:UNUSED_PAD src0_sel:WORD_1
	ds_read_u16 v72, v100
	ds_read_u16 v88, v100 offset:32
	v_cvt_f32_f16_e32 v202, v76
	v_cvt_f32_f16_sdwa v203, v76 dst_sel:DWORD dst_unused:UNUSED_PAD src0_sel:WORD_1
	s_waitcnt lgkmcnt(1)
	v_perm_b32 v87, v72, v86, s55
	ds_read_u16 v72, v98
	ds_read_u16 v161, v98 offset:32
	s_waitcnt lgkmcnt(1)
	v_perm_b32 v86, v83, v72, s55
	s_nop 1
	v_mfma_f32_16x16x16f16 v[202:205], v[86:87], v[36:37], v[202:205]
	ds_read_u16 v162, v98 offset:16896
	ds_read_u16 v163, v225 offset:528
	;; [unrolled: 1-line block ×4, first 2 shown]
	s_waitcnt lgkmcnt(0)
	v_perm_b32 v87, v165, v87, s55
	s_nop 4
	v_cvt_f16_f32_e32 v86, v205
	v_cvt_f16_f32_e32 v72, v202
	;; [unrolled: 1-line block ×4, first 2 shown]
	v_cvt_f32_f16_e32 v205, v86
	v_perm_b32 v86, v163, v162, s55
	v_cvt_f32_f16_e32 v202, v72
	v_cvt_f32_f16_e32 v203, v76
	;; [unrolled: 1-line block ×3, first 2 shown]
	s_nop 1
	v_mfma_f32_16x16x16f16 v[202:205], v[86:87], v[34:35], v[202:205]
	s_nop 7
	s_nop 2
	v_cvt_f16_f32_e32 v72, v202
	v_cvt_f16_f32_e32 v76, v203
	;; [unrolled: 1-line block ×4, first 2 shown]
	v_cvt_f32_f16_e32 v202, v82
	v_pack_b32_f16 v76, v72, v76
	v_cvt_f32_f16_sdwa v203, v82 dst_sel:DWORD dst_unused:UNUSED_PAD src0_sel:WORD_1
	v_pack_b32_f16 v72, v83, v86
	ds_read_u16 v86, v226 offset:528
	ds_read_u16 v83, v226 offset:1056
	v_cvt_f32_f16_e32 v204, v80
	v_cvt_f32_f16_sdwa v205, v80 dst_sel:DWORD dst_unused:UNUSED_PAD src0_sel:WORD_1
	s_waitcnt lgkmcnt(1)
	v_perm_b32 v82, v86, v161, s55
	s_waitcnt lgkmcnt(0)
	v_perm_b32 v83, v88, v83, s55
	ds_read_u16 v87, v101 offset:16896
	ds_read_u16 v88, v131 offset:528
	;; [unrolled: 1-line block ×4, first 2 shown]
	v_mfma_f32_16x16x16f16 v[202:205], v[82:83], v[36:37], v[202:205]
	s_nop 7
	s_nop 2
	v_cvt_f16_f32_e32 v82, v203
	v_cvt_f16_f32_e32 v83, v204
	v_cvt_f16_f32_e32 v80, v202
	v_cvt_f16_f32_e32 v86, v205
	v_cvt_f32_f16_e32 v203, v82
	v_cvt_f32_f16_e32 v204, v83
	s_waitcnt lgkmcnt(0)
	v_perm_b32 v83, v162, v161, s55
	v_perm_b32 v82, v88, v87, s55
	v_cvt_f32_f16_e32 v202, v80
	v_cvt_f32_f16_e32 v205, v86
	s_nop 1
	v_mfma_f32_16x16x16f16 v[202:205], v[82:83], v[34:35], v[202:205]
	s_nop 7
	s_nop 2
	v_cvt_f16_f32_e32 v80, v202
	v_cvt_f16_f32_e32 v82, v203
	v_cvt_f16_f32_e32 v83, v204
	v_cvt_f16_f32_e32 v86, v205
	v_cvt_f32_f16_e32 v202, v180
	v_pack_b32_f16 v82, v80, v82
	v_cvt_f32_f16_sdwa v203, v180 dst_sel:DWORD dst_unused:UNUSED_PAD src0_sel:WORD_1
	v_pack_b32_f16 v80, v83, v86
	ds_read_u16 v83, v98 offset:64
	ds_read_u16 v86, v228 offset:528
	ds_read_u16 v87, v228 offset:1056
	ds_read_u16 v88, v100 offset:64
	v_cvt_f32_f16_e32 v204, v179
	v_cvt_f32_f16_sdwa v205, v179 dst_sel:DWORD dst_unused:UNUSED_PAD src0_sel:WORD_1
	s_waitcnt lgkmcnt(2)
	v_perm_b32 v86, v86, v83, s55
	ds_read_u16 v161, v103 offset:16896
	ds_read_u16 v162, v132 offset:528
	ds_read_u16 v163, v229 offset:1056
	ds_read_u16 v165, v104 offset:16896
	s_waitcnt lgkmcnt(4)
	v_perm_b32 v87, v88, v87, s55
	s_nop 1
	v_mfma_f32_16x16x16f16 v[202:205], v[86:87], v[36:37], v[202:205]
	s_nop 7
	s_nop 2
	v_cvt_f16_f32_e32 v86, v203
	v_cvt_f16_f32_e32 v87, v204
	v_cvt_f16_f32_e32 v83, v202
	v_cvt_f16_f32_e32 v88, v205
	v_cvt_f32_f16_e32 v203, v86
	v_cvt_f32_f16_e32 v204, v87
	s_waitcnt lgkmcnt(0)
	v_perm_b32 v87, v165, v163, s55
	v_perm_b32 v86, v162, v161, s55
	v_cvt_f32_f16_e32 v202, v83
	v_cvt_f32_f16_e32 v205, v88
	s_nop 1
	v_mfma_f32_16x16x16f16 v[202:205], v[86:87], v[34:35], v[202:205]
	s_nop 7
	s_nop 2
	v_cvt_f16_f32_e32 v83, v202
	v_cvt_f16_f32_e32 v86, v203
	v_cvt_f16_f32_e32 v87, v204
	v_cvt_f16_f32_e32 v88, v205
	v_cvt_f32_f16_e32 v202, v183
	v_pack_b32_f16 v180, v83, v86
	v_cvt_f32_f16_sdwa v203, v183 dst_sel:DWORD dst_unused:UNUSED_PAD src0_sel:WORD_1
	v_pack_b32_f16 v179, v87, v88
	ds_read_u16 v83, v98 offset:96
	ds_read_u16 v86, v230 offset:528
	ds_read_u16 v87, v230 offset:1056
	ds_read_u16 v88, v100 offset:96
	v_cvt_f32_f16_e32 v204, v182
	v_cvt_f32_f16_sdwa v205, v182 dst_sel:DWORD dst_unused:UNUSED_PAD src0_sel:WORD_1
	s_waitcnt lgkmcnt(2)
	v_perm_b32 v86, v86, v83, s55
	ds_read_u16 v161, v105 offset:16896
	ds_read_u16 v162, v133 offset:528
	ds_read_u16 v163, v231 offset:1056
	ds_read_u16 v165, v106 offset:16896
	s_waitcnt lgkmcnt(4)
	v_perm_b32 v87, v88, v87, s55
	s_nop 1
	;; [unrolled: 41-line block ×8, first 2 shown]
	v_mfma_f32_16x16x16f16 v[162:165], v[86:87], v[36:37], v[202:205]
	s_nop 6
	v_cvt_f32_f16_e32 v202, v166
	v_cvt_f32_f16_sdwa v203, v166 dst_sel:DWORD dst_unused:UNUSED_PAD src0_sel:WORD_1
	s_nop 1
	v_cvt_f16_f32_e32 v86, v163
	v_cvt_f16_f32_e32 v87, v164
	;; [unrolled: 1-line block ×4, first 2 shown]
	v_cvt_f32_f16_e32 v163, v86
	v_cvt_f32_f16_e32 v164, v87
	s_waitcnt lgkmcnt(0)
	v_perm_b32 v87, v178, v177, s55
	v_perm_b32 v86, v169, v161, s55
	v_cvt_f32_f16_e32 v162, v83
	v_cvt_f32_f16_e32 v165, v88
	v_cvt_f32_f16_e32 v204, v160
	v_cvt_f32_f16_sdwa v205, v160 dst_sel:DWORD dst_unused:UNUSED_PAD src0_sel:WORD_1
	v_mfma_f32_16x16x16f16 v[162:165], v[86:87], v[34:35], v[162:165]
	s_nop 7
	s_nop 2
	v_cvt_f16_f32_e32 v83, v162
	v_cvt_f16_f32_e32 v86, v163
	;; [unrolled: 1-line block ×4, first 2 shown]
	v_pack_b32_f16 v169, v83, v86
	v_pack_b32_f16 v164, v87, v88
	ds_read_u16 v83, v98 offset:320
	ds_read_u16 v86, v244 offset:528
	ds_read_u16 v87, v244 offset:1056
	ds_read_u16 v88, v100 offset:320
	ds_read_u16 v165, v119 offset:16896
	ds_read_u16 v166, v140 offset:528
	ds_read_u16 v177, v245 offset:1056
	ds_read_u16 v178, v120 offset:16896
	s_waitcnt lgkmcnt(6)
	v_perm_b32 v86, v86, v83, s55
	s_waitcnt lgkmcnt(4)
	v_perm_b32 v87, v88, v87, s55
	s_nop 1
	v_mfma_f32_16x16x16f16 v[160:163], v[86:87], v[36:37], v[202:205]
	s_nop 6
	v_cvt_f32_f16_e32 v202, v158
	v_cvt_f32_f16_sdwa v203, v158 dst_sel:DWORD dst_unused:UNUSED_PAD src0_sel:WORD_1
	v_cvt_f32_f16_e32 v204, v90
	s_nop 0
	v_cvt_f16_f32_e32 v86, v161
	v_cvt_f16_f32_e32 v87, v162
	;; [unrolled: 1-line block ×4, first 2 shown]
	v_cvt_f32_f16_e32 v161, v86
	v_cvt_f32_f16_e32 v162, v87
	s_waitcnt lgkmcnt(0)
	v_perm_b32 v87, v178, v177, s55
	v_perm_b32 v86, v166, v165, s55
	v_cvt_f32_f16_e32 v160, v83
	v_cvt_f32_f16_e32 v163, v88
	v_cvt_f32_f16_sdwa v205, v90 dst_sel:DWORD dst_unused:UNUSED_PAD src0_sel:WORD_1
	s_nop 0
	v_mfma_f32_16x16x16f16 v[160:163], v[86:87], v[34:35], v[160:163]
	s_nop 7
	s_nop 2
	v_cvt_f16_f32_e32 v83, v160
	v_cvt_f16_f32_e32 v86, v161
	;; [unrolled: 1-line block ×4, first 2 shown]
	v_cvt_f32_f16_e32 v160, v159
	v_pack_b32_f16 v166, v83, v86
	v_cvt_f32_f16_sdwa v161, v159 dst_sel:DWORD dst_unused:UNUSED_PAD src0_sel:WORD_1
	v_pack_b32_f16 v165, v87, v88
	ds_read_u16 v83, v98 offset:352
	ds_read_u16 v86, v246 offset:528
	;; [unrolled: 1-line block ×4, first 2 shown]
	v_cvt_f32_f16_e32 v162, v79
	v_cvt_f32_f16_sdwa v163, v79 dst_sel:DWORD dst_unused:UNUSED_PAD src0_sel:WORD_1
	s_waitcnt lgkmcnt(2)
	v_perm_b32 v86, v86, v83, s55
	s_waitcnt lgkmcnt(0)
	v_perm_b32 v87, v88, v87, s55
	ds_read_u16 v88, v121 offset:16896
	ds_read_u16 v159, v141 offset:528
	;; [unrolled: 1-line block ×4, first 2 shown]
	v_mfma_f32_16x16x16f16 v[160:163], v[86:87], v[36:37], v[160:163]
	s_nop 7
	s_nop 2
	v_cvt_f16_f32_e32 v86, v162
	v_cvt_f16_f32_e32 v87, v163
	;; [unrolled: 1-line block ×4, first 2 shown]
	v_cvt_f32_f16_e32 v162, v86
	v_cvt_f32_f16_e32 v163, v87
	s_waitcnt lgkmcnt(0)
	v_perm_b32 v87, v178, v177, s55
	v_perm_b32 v86, v159, v88, s55
	v_cvt_f32_f16_e32 v160, v79
	v_cvt_f32_f16_e32 v161, v83
	s_nop 1
	v_mfma_f32_16x16x16f16 v[160:163], v[86:87], v[34:35], v[160:163]
	s_nop 7
	s_nop 2
	v_cvt_f16_f32_e32 v79, v160
	v_cvt_f16_f32_e32 v83, v161
	;; [unrolled: 1-line block ×4, first 2 shown]
	v_pack_b32_f16 v161, v79, v83
	v_pack_b32_f16 v79, v86, v87
	ds_read_u16 v83, v98 offset:384
	ds_read_u16 v86, v248 offset:528
	;; [unrolled: 1-line block ×8, first 2 shown]
	s_waitcnt lgkmcnt(6)
	v_perm_b32 v86, v86, v83, s55
	s_waitcnt lgkmcnt(4)
	v_perm_b32 v87, v88, v87, s55
	s_nop 1
	v_mfma_f32_16x16x16f16 v[202:205], v[86:87], v[36:37], v[202:205]
	s_nop 7
	s_nop 2
	v_cvt_f16_f32_e32 v86, v203
	v_cvt_f16_f32_e32 v87, v204
	;; [unrolled: 1-line block ×4, first 2 shown]
	v_cvt_f32_f16_e32 v203, v86
	v_cvt_f32_f16_e32 v204, v87
	s_waitcnt lgkmcnt(0)
	v_perm_b32 v87, v160, v159, s55
	v_perm_b32 v86, v158, v90, s55
	v_cvt_f32_f16_e32 v202, v83
	v_cvt_f32_f16_e32 v205, v88
	s_nop 1
	v_mfma_f32_16x16x16f16 v[202:205], v[86:87], v[34:35], v[202:205]
	s_nop 7
	s_nop 2
	v_cvt_f16_f32_e32 v83, v202
	v_cvt_f16_f32_e32 v86, v203
	;; [unrolled: 1-line block ×4, first 2 shown]
	v_cvt_f32_f16_e32 v202, v85
	v_pack_b32_f16 v163, v83, v86
	v_cvt_f32_f16_sdwa v203, v85 dst_sel:DWORD dst_unused:UNUSED_PAD src0_sel:WORD_1
	v_pack_b32_f16 v162, v87, v88
	ds_read_u16 v83, v98 offset:416
	ds_read_u16 v86, v250 offset:528
	;; [unrolled: 1-line block ×4, first 2 shown]
	v_cvt_f32_f16_e32 v204, v0
	v_cvt_f32_f16_sdwa v205, v0 dst_sel:DWORD dst_unused:UNUSED_PAD src0_sel:WORD_1
	s_waitcnt lgkmcnt(2)
	v_perm_b32 v86, v86, v83, s55
	s_waitcnt lgkmcnt(0)
	v_perm_b32 v87, v88, v87, s55
	s_nop 1
	v_mfma_f32_16x16x16f16 v[202:205], v[86:87], v[36:37], v[202:205]
	ds_read_u16 v88, v125 offset:16896
	ds_read_u16 v90, v143 offset:528
	;; [unrolled: 1-line block ×4, first 2 shown]
	s_waitcnt lgkmcnt(0)
	v_perm_b32 v87, v158, v87, s55
	s_nop 4
	v_cvt_f16_f32_e32 v86, v205
	v_cvt_f16_f32_e32 v0, v202
	;; [unrolled: 1-line block ×4, first 2 shown]
	v_cvt_f32_f16_e32 v205, v86
	v_perm_b32 v86, v90, v88, s55
	v_cvt_f32_f16_e32 v202, v0
	v_cvt_f32_f16_e32 v203, v83
	;; [unrolled: 1-line block ×4, first 2 shown]
	s_nop 0
	v_mfma_f32_16x16x16f16 v[202:205], v[86:87], v[34:35], v[202:205]
	s_nop 7
	s_nop 2
	v_cvt_f16_f32_e32 v0, v202
	v_cvt_f16_f32_e32 v83, v203
	;; [unrolled: 1-line block ×4, first 2 shown]
	v_cvt_f32_f16_e32 v202, v39
	v_pack_b32_f16 v85, v0, v83
	ds_read_u16 v0, v98 offset:448
	ds_read_u16 v90, v252 offset:528
	;; [unrolled: 1-line block ×4, first 2 shown]
	v_pack_b32_f16 v83, v86, v87
	v_cvt_f32_f16_e32 v86, v89
	v_cvt_f32_f16_sdwa v87, v89 dst_sel:DWORD dst_unused:UNUSED_PAD src0_sel:WORD_1
	v_cvt_f32_f16_sdwa v89, v77 dst_sel:DWORD dst_unused:UNUSED_PAD src0_sel:WORD_1
	s_waitcnt lgkmcnt(0)
	v_perm_b32 v159, v159, v158, s55
	v_perm_b32 v158, v90, v0, s55
	v_cvt_f32_f16_sdwa v203, v39 dst_sel:DWORD dst_unused:UNUSED_PAD src0_sel:WORD_1
	v_cvt_f32_f16_e32 v204, v38
	v_mfma_f32_16x16x16f16 v[86:89], v[158:159], v[36:37], v[86:89]
	ds_read_u16 v90, v127 offset:16896
	ds_read_u16 v158, v144 offset:528
	;; [unrolled: 1-line block ×4, first 2 shown]
	v_cvt_f32_f16_sdwa v205, v38 dst_sel:DWORD dst_unused:UNUSED_PAD src0_sel:WORD_1
	s_waitcnt lgkmcnt(2)
	v_perm_b32 v158, v158, v90, s55
	s_waitcnt lgkmcnt(0)
	v_perm_b32 v159, v160, v159, s55
	s_nop 1
	v_cvt_f16_f32_e32 v0, v86
	v_cvt_f16_f32_e32 v77, v87
	;; [unrolled: 1-line block ×4, first 2 shown]
	v_cvt_f32_f16_e32 v86, v0
	v_cvt_f32_f16_e32 v87, v77
	v_cvt_f32_f16_e32 v88, v88
	v_cvt_f32_f16_e32 v89, v89
	s_nop 1
	v_mfma_f32_16x16x16f16 v[86:89], v[158:159], v[34:35], v[86:89]
	s_nop 7
	s_nop 2
	v_cvt_f16_f32_e32 v0, v86
	v_cvt_f16_f32_e32 v77, v87
	;; [unrolled: 1-line block ×4, first 2 shown]
	v_pack_b32_f16 v177, v0, v77
	v_pack_b32_f16 v87, v86, v87
	ds_read_u16 v0, v98 offset:480
	ds_read_u16 v77, v254 offset:528
	;; [unrolled: 1-line block ×4, first 2 shown]
	s_waitcnt lgkmcnt(2)
	v_perm_b32 v38, v77, v0, s55
	s_waitcnt lgkmcnt(0)
	v_perm_b32 v39, v88, v86, s55
	ds_read_u16 v77, v129 offset:16896
	ds_read_u16 v86, v145 offset:528
	;; [unrolled: 1-line block ×4, first 2 shown]
	v_mfma_f32_16x16x16f16 v[36:39], v[38:39], v[36:37], v[202:205]
	s_waitcnt lgkmcnt(0)
	v_perm_b32 v89, v89, v88, s55
	v_perm_b32 v88, v86, v77, s55
	s_barrier
	s_nop 6
	v_cvt_f16_f32_e32 v0, v36
	v_cvt_f16_f32_e32 v37, v37
	;; [unrolled: 1-line block ×4, first 2 shown]
	v_cvt_f32_f16_e32 v36, v0
	v_cvt_f32_f16_e32 v37, v37
	;; [unrolled: 1-line block ×4, first 2 shown]
	s_nop 1
	v_mfma_f32_16x16x16f16 v[34:37], v[88:89], v[34:35], v[36:39]
	s_nop 7
	s_nop 2
	v_cvt_f16_f32_e32 v0, v34
	v_cvt_f16_f32_e32 v34, v35
	;; [unrolled: 1-line block ×4, first 2 shown]
	v_pack_b32_f16 v86, v0, v34
	v_pack_b32_f16 v88, v35, v36
	s_cbranch_scc1 .LBB29_55
.LBB29_56:                              ;   in Loop: Header=BB29_14 Depth=1
	s_lshl_b32 s8, s76, 6
	s_ashr_i32 s9, s8, 31
	s_lshl_b64 s[74:75], s[8:9], 1
	v_add_co_u32_e32 v0, vcc, s74, v186
	v_mov_b32_e32 v34, s75
	v_addc_co_u32_e32 v34, vcc, v185, v34, vcc
	v_add_co_u32_e32 v0, vcc, v0, v68
	v_addc_co_u32_e32 v35, vcc, v34, v69, vcc
	v_lshlrev_b32_e32 v34, 1, v40
	v_add_co_u32_e32 v34, vcc, v0, v34
	v_addc_co_u32_e32 v35, vcc, 0, v35, vcc
	global_load_dword v0, v[34:35], off
	s_mul_hi_i32 s75, s40, s8
	s_mul_i32 s74, s40, s8
	s_lshl_b64 s[74:75], s[74:75], 2
	s_add_u32 s9, s11, s74
	s_addc_u32 s74, s82, s75
	v_mov_b32_e32 v34, s74
	s_waitcnt vmcnt(0)
	ds_write_b32 v148, v0 offset:33792
	v_add_co_u32_e32 v0, vcc, s9, v50
	v_addc_co_u32_e32 v35, vcc, v34, v51, vcc
	v_add_co_u32_e32 v34, vcc, v0, v147
	v_addc_co_u32_e32 v35, vcc, 0, v35, vcc
	global_load_dwordx4 v[34:37], v[34:35], off
	v_add_co_u32_e32 v0, vcc, s9, v52
	s_waitcnt vmcnt(0)
	ds_write_b128 v95, v[34:37]
	v_mov_b32_e32 v34, s74
	v_addc_co_u32_e32 v35, vcc, v34, v53, vcc
	v_add_co_u32_e32 v34, vcc, v0, v147
	v_addc_co_u32_e32 v35, vcc, 0, v35, vcc
	global_load_dwordx4 v[34:37], v[34:35], off
	v_add_co_u32_e32 v0, vcc, s9, v54
	s_waitcnt vmcnt(0)
	ds_write_b128 v222, v[34:37]
	v_mov_b32_e32 v34, s74
	v_addc_co_u32_e32 v35, vcc, v34, v55, vcc
	v_add_co_u32_e32 v34, vcc, v0, v147
	v_addc_co_u32_e32 v35, vcc, 0, v35, vcc
	global_load_dwordx4 v[34:37], v[34:35], off
	v_add_co_u32_e32 v0, vcc, s9, v56
	s_mul_hi_i32 s9, s30, s8
	s_mul_i32 s8, s30, s8
	s_lshl_b64 s[8:9], s[8:9], 2
	s_add_u32 s8, s51, s8
	s_addc_u32 s9, s10, s9
	s_cmp_eq_u64 s[72:73], 0
	s_waitcnt vmcnt(0)
	ds_write_b128 v223, v[34:37]
	v_mov_b32_e32 v34, s74
	v_addc_co_u32_e32 v35, vcc, v34, v57, vcc
	v_add_co_u32_e32 v34, vcc, v0, v147
	v_addc_co_u32_e32 v35, vcc, 0, v35, vcc
	global_load_dwordx4 v[34:37], v[34:35], off
	v_add_u32_e32 v0, 0x4000, v96
	v_cmp_lt_i32_e32 vcc, v59, v1
	s_waitcnt vmcnt(0)
	ds_write_b128 v224, v[34:37]
	s_waitcnt lgkmcnt(0)
	s_barrier
	ds_read2_b64 v[34:37], v96 offset1:4
	s_waitcnt lgkmcnt(0)
	v_mfma_f32_16x16x16f16 v[68:71], v[34:35], v[30:31], 0
	v_mfma_f32_16x16x16f16 v[34:37], v[36:37], v[32:33], v[68:71]
	s_nop 7
	s_nop 1
	ds_read2_b64 v[68:71], v96 offset0:8 offset1:12
	s_waitcnt lgkmcnt(0)
	v_mfma_f32_16x16x16f16 v[34:37], v[68:69], v[26:27], v[34:37]
	v_mfma_f32_16x16x16f16 v[34:37], v[70:71], v[28:29], v[34:37]
	ds_read2_b64 v[68:71], v96 offset0:16 offset1:20
	s_waitcnt lgkmcnt(0)
	v_mfma_f32_16x16x16f16 v[34:37], v[68:69], v[22:23], v[34:37]
	v_mfma_f32_16x16x16f16 v[34:37], v[70:71], v[24:25], v[34:37]
	;; [unrolled: 4-line block ×9, first 2 shown]
	s_nop 7
	s_nop 1
	ds_read2_b64 v[30:33], v0 offset0:80 offset1:84
	s_waitcnt lgkmcnt(0)
	v_mfma_f32_16x16x16f16 v[26:29], v[30:31], v[22:23], v[26:29]
	v_mfma_f32_16x16x16f16 v[22:25], v[32:33], v[24:25], v[26:29]
	s_nop 7
	s_nop 1
	ds_read2_b64 v[26:29], v0 offset0:88 offset1:92
	s_waitcnt lgkmcnt(0)
	v_mfma_f32_16x16x16f16 v[22:25], v[26:27], v[18:19], v[22:25]
	v_mfma_f32_16x16x16f16 v[18:21], v[28:29], v[20:21], v[22:25]
	;; [unrolled: 6-line block ×5, first 2 shown]
	s_nop 7
	s_nop 1
	ds_read2_b64 v[10:13], v0 offset0:120 offset1:124
	s_waitcnt lgkmcnt(0)
	v_mfma_f32_16x16x16f16 v[6:9], v[10:11], v[2:3], v[6:9]
	v_add_u32_e32 v0, 0x8400, v97
	s_barrier
	v_mfma_f32_16x16x16f16 v[4:7], v[12:13], v[4:5], v[6:9]
	s_nop 7
	ds_read2_b32 v[8:9], v0 offset1:1
	ds_read_b32 v2, v149 offset:33792
	ds_read_b32 v10, v150 offset:33792
	v_cndmask_b32_e32 v0, v63, v59, vcc
	v_cmp_lt_i32_e32 vcc, v61, v1
	v_lshlrev_b32_e32 v3, 2, v0
	v_cndmask_b32_e32 v0, v63, v61, vcc
	v_lshlrev_b32_e32 v38, 2, v0
	s_waitcnt lgkmcnt(2)
	v_cvt_f32_f16_e32 v0, v8
	v_cvt_f32_f16_sdwa v1, v8 dst_sel:DWORD dst_unused:UNUSED_PAD src0_sel:WORD_1
	v_pk_add_f32 v[0:1], v[34:35], v[0:1]
	v_add_f32_e32 v8, 0x40051340, v0
	v_add_f32_e32 v11, 0x40051340, v1
	v_max3_f32 v12, v66, v8, v11
	s_waitcnt lgkmcnt(0)
	v_cvt_f32_f16_sdwa v11, v10 dst_sel:DWORD dst_unused:UNUSED_PAD src0_sel:WORD_1
	v_cvt_f32_f16_e32 v10, v10
	v_cvt_f32_f16_e32 v8, v9
	v_cvt_f32_f16_sdwa v9, v9 dst_sel:DWORD dst_unused:UNUSED_PAD src0_sel:WORD_1
	v_pk_add_f32 v[6:7], v[6:7], v[10:11]
	v_cvt_f32_f16_sdwa v11, v2 dst_sel:DWORD dst_unused:UNUSED_PAD src0_sel:WORD_1
	v_cvt_f32_f16_e32 v10, v2
	v_pk_add_f32 v[8:9], v[36:37], v[8:9]
	v_add_f32_e32 v15, 0x40051340, v9
	v_add_f32_e32 v13, 0x40051340, v6
	v_pk_add_f32 v[4:5], v[4:5], v[10:11]
	v_add_f32_e32 v11, 0x40051340, v8
	v_add_f32_e32 v2, 0x40051340, v4
	;; [unrolled: 1-line block ×3, first 2 shown]
	v_max3_f32 v11, v12, v11, v15
	v_add_f32_e32 v14, 0x40051340, v7
	v_max3_f32 v2, v11, v2, v10
	v_max3_f32 v2, v2, v13, v14
	ds_bpermute_b32 v10, v3, v2
	s_waitcnt lgkmcnt(0)
	v_max_f32_e32 v10, v10, v10
	v_max_f32_e32 v2, v2, v10
	ds_bpermute_b32 v10, v38, v2
	s_waitcnt lgkmcnt(0)
	v_max_f32_e32 v10, v10, v10
	v_max_f32_e32 v2, v2, v10
	v_pk_add_f32 v[0:1], v[0:1], v[2:3] op_sel_hi:[1,0] neg_lo:[0,1] neg_hi:[0,1]
	v_mul_f32_e32 v10, 0x3fb8aa3b, v1
	v_fma_f32 v11, v1, s43, -v10
	v_rndne_f32_e32 v12, v10
	v_fmac_f32_e32 v11, 0x32a5705f, v1
	v_sub_f32_e32 v10, v10, v12
	v_add_f32_e32 v10, v10, v11
	v_exp_f32_e32 v10, v10
	v_cvt_i32_f32_e32 v11, v12
	v_cmp_ngt_f32_e32 vcc, s67, v1
	v_ldexp_f32 v10, v10, v11
	v_cndmask_b32_e32 v10, 0, v10, vcc
	v_cmp_nlt_f32_e32 vcc, s34, v1
	v_mul_f32_e32 v1, 0x3fb8aa3b, v0
	v_cndmask_b32_e32 v18, v190, v10, vcc
	v_fma_f32 v10, v0, s43, -v1
	v_rndne_f32_e32 v11, v1
	v_fmac_f32_e32 v10, 0x32a5705f, v0
	v_sub_f32_e32 v1, v1, v11
	v_add_f32_e32 v1, v1, v10
	v_exp_f32_e32 v1, v1
	v_cvt_i32_f32_e32 v10, v11
	v_cmp_ngt_f32_e32 vcc, s67, v0
	v_ldexp_f32 v1, v1, v10
	v_cndmask_b32_e32 v1, 0, v1, vcc
	v_cmp_nlt_f32_e32 vcc, s34, v0
	v_cndmask_b32_e32 v19, v190, v1, vcc
	v_pk_add_f32 v[0:1], v[8:9], v[2:3] op_sel_hi:[1,0] neg_lo:[0,1] neg_hi:[0,1]
	v_mul_f32_e32 v8, 0x3fb8aa3b, v1
	v_fma_f32 v9, v1, s43, -v8
	v_rndne_f32_e32 v10, v8
	v_fmac_f32_e32 v9, 0x32a5705f, v1
	v_sub_f32_e32 v8, v8, v10
	v_add_f32_e32 v8, v8, v9
	v_exp_f32_e32 v8, v8
	v_cvt_i32_f32_e32 v9, v10
	v_cmp_ngt_f32_e32 vcc, s67, v1
	v_ldexp_f32 v8, v8, v9
	v_cndmask_b32_e32 v8, 0, v8, vcc
	v_cmp_nlt_f32_e32 vcc, s34, v1
	v_mul_f32_e32 v1, 0x3fb8aa3b, v0
	v_cndmask_b32_e32 v28, v190, v8, vcc
	v_fma_f32 v8, v0, s43, -v1
	v_rndne_f32_e32 v9, v1
	v_fmac_f32_e32 v8, 0x32a5705f, v0
	v_sub_f32_e32 v1, v1, v9
	v_add_f32_e32 v1, v1, v8
	v_exp_f32_e32 v1, v1
	v_cvt_i32_f32_e32 v8, v9
	v_cmp_ngt_f32_e32 vcc, s67, v0
	v_ldexp_f32 v1, v1, v8
	v_cndmask_b32_e32 v1, 0, v1, vcc
	v_cmp_nlt_f32_e32 vcc, s34, v0
	v_cndmask_b32_e32 v37, v190, v1, vcc
	;; [unrolled: 27-line block ×3, first 2 shown]
	v_pk_add_f32 v[0:1], v[6:7], v[2:3] op_sel_hi:[1,0] neg_lo:[0,1] neg_hi:[0,1]
	v_mul_f32_e32 v4, 0x3fb8aa3b, v1
	v_fma_f32 v5, v1, s43, -v4
	v_rndne_f32_e32 v6, v4
	v_fmac_f32_e32 v5, 0x32a5705f, v1
	v_sub_f32_e32 v4, v4, v6
	v_add_f32_e32 v4, v4, v5
	v_exp_f32_e32 v4, v4
	v_cvt_i32_f32_e32 v5, v6
	v_cmp_ngt_f32_e32 vcc, s67, v1
	v_ldexp_f32 v4, v4, v5
	v_cndmask_b32_e32 v4, 0, v4, vcc
	v_cmp_nlt_f32_e32 vcc, s34, v1
	v_mul_f32_e32 v1, 0x3fb8aa3b, v0
	v_cndmask_b32_e32 v68, v190, v4, vcc
	v_fma_f32 v4, v0, s43, -v1
	v_rndne_f32_e32 v5, v1
	v_fmac_f32_e32 v4, 0x32a5705f, v0
	v_sub_f32_e32 v1, v1, v5
	v_add_f32_e32 v1, v1, v4
	v_exp_f32_e32 v1, v1
	v_cvt_i32_f32_e32 v4, v5
	v_cmp_ngt_f32_e32 vcc, s67, v0
	v_ldexp_f32 v1, v1, v4
	v_cndmask_b32_e32 v1, 0, v1, vcc
	v_cmp_nlt_f32_e32 vcc, s34, v0
	v_add_f32_e32 v0, v19, v18
	v_add_f32_e32 v0, v37, v0
	;; [unrolled: 1-line block ×4, first 2 shown]
	v_cndmask_b32_e32 v69, v190, v1, vcc
	v_add_f32_e32 v0, v61, v0
	v_add_f32_e32 v0, v69, v0
	;; [unrolled: 1-line block ×3, first 2 shown]
	v_sub_f32_e32 v0, v66, v2
	v_mul_f32_e32 v1, 0x3fb8aa3b, v0
	v_fma_f32 v4, v0, s43, -v1
	v_rndne_f32_e32 v5, v1
	v_fmac_f32_e32 v4, 0x32a5705f, v0
	v_sub_f32_e32 v1, v1, v5
	v_add_f32_e32 v1, v1, v4
	v_exp_f32_e32 v1, v1
	v_cvt_i32_f32_e32 v4, v5
	v_cmp_ngt_f32_e32 vcc, s67, v0
	v_cvt_f16_f32_e32 v19, v19
	v_cvt_f16_f32_e32 v18, v18
	v_ldexp_f32 v1, v1, v4
	v_cndmask_b32_e32 v1, 0, v1, vcc
	v_cmp_nlt_f32_e32 vcc, s34, v0
	v_cndmask_b32_e32 v1, v190, v1, vcc
	v_cmp_le_f32_e32 vcc, s35, v0
	v_cndmask_b32_e32 v0, 0, v1, vcc
	v_cvt_f16_f32_e32 v36, v0
	v_fmac_f32_e32 v35, v67, v0
	v_pk_mul_f16 v14, v36, v76 op_sel_hi:[0,1]
	v_pk_mul_f16 v13, v36, v72 op_sel_hi:[0,1]
	;; [unrolled: 1-line block ×32, first 2 shown]
	v_pack_b32_f16 v36, v19, v18
	v_cvt_f16_f32_e32 v18, v28
	v_cvt_f16_f32_e32 v19, v37
	;; [unrolled: 1-line block ×3, first 2 shown]
	v_pack_b32_f16 v37, v19, v18
	v_cvt_f16_f32_e32 v18, v61
	v_cvt_f16_f32_e32 v19, v63
	v_mov_b32_e32 v61, s9
	v_pack_b32_f16 v18, v19, v18
	v_cvt_f16_f32_e32 v19, v68
	v_pack_b32_f16 v19, v28, v19
	v_add_co_u32_e32 v28, vcc, s8, v42
	v_addc_co_u32_e32 v61, vcc, v61, v43, vcc
	v_add_co_u32_e32 v66, vcc, v28, v147
	v_addc_co_u32_e32 v67, vcc, 0, v61, vcc
	global_load_dwordx4 v[66:69], v[66:67], off
	v_add_co_u32_e32 v28, vcc, s8, v44
	v_mov_b32_e32 v61, s9
	v_addc_co_u32_e32 v61, vcc, v61, v45, vcc
	v_add_co_u32_e32 v70, vcc, v28, v147
	v_addc_co_u32_e32 v71, vcc, 0, v61, vcc
	v_add_co_u32_e32 v28, vcc, s8, v46
	v_mov_b32_e32 v61, s9
	v_addc_co_u32_e32 v61, vcc, v61, v47, vcc
	v_add_co_u32_e32 v76, vcc, v28, v147
	v_addc_co_u32_e32 v77, vcc, 0, v61, vcc
	;; [unrolled: 5-line block ×3, first 2 shown]
	s_cselect_b64 s[8:9], -1, 0
	s_xor_b64 s[74:75], s[0:1], -1
	s_or_b64 s[8:9], s[74:75], s[8:9]
	s_waitcnt vmcnt(0)
	ds_write_b128 v95, v[66:69]
	global_load_dwordx4 v[66:69], v[70:71], off
	s_waitcnt vmcnt(0)
	ds_write_b128 v222, v[66:69]
	global_load_dwordx4 v[66:69], v[76:77], off
	;; [unrolled: 3-line block ×3, first 2 shown]
	s_waitcnt vmcnt(0)
	ds_write_b128 v224, v[66:69]
	s_waitcnt lgkmcnt(0)
	s_barrier
	ds_read_u16 v28, v99 offset:528
	ds_read_u16 v61, v99 offset:1056
	v_cvt_f32_f16_e32 v68, v13
	v_cvt_f32_f16_sdwa v69, v13 dst_sel:DWORD dst_unused:UNUSED_PAD src0_sel:WORD_1
	ds_read_u16 v13, v100
	ds_read_u16 v63, v100 offset:32
	v_cvt_f32_f16_e32 v66, v14
	v_cvt_f32_f16_sdwa v67, v14 dst_sel:DWORD dst_unused:UNUSED_PAD src0_sel:WORD_1
	s_waitcnt lgkmcnt(1)
	v_perm_b32 v71, v13, v61, s55
	ds_read_u16 v13, v98
	ds_read_u16 v61, v98 offset:32
	s_waitcnt lgkmcnt(1)
	v_perm_b32 v70, v28, v13, s55
	s_nop 1
	v_mfma_f32_16x16x16f16 v[66:69], v[70:71], v[36:37], v[66:69]
	ds_read_u16 v70, v98 offset:16896
	ds_read_u16 v72, v225 offset:528
	;; [unrolled: 1-line block ×4, first 2 shown]
	s_waitcnt lgkmcnt(2)
	v_perm_b32 v70, v72, v70, s55
	s_waitcnt lgkmcnt(0)
	v_perm_b32 v71, v74, v71, s55
	s_nop 2
	v_cvt_f16_f32_e32 v13, v66
	v_cvt_f16_f32_e32 v14, v67
	;; [unrolled: 1-line block ×4, first 2 shown]
	v_cvt_f32_f16_e32 v66, v13
	v_cvt_f32_f16_e32 v67, v14
	;; [unrolled: 1-line block ×4, first 2 shown]
	s_nop 1
	v_mfma_f32_16x16x16f16 v[66:69], v[70:71], v[18:19], v[66:69]
	s_nop 7
	s_nop 2
	v_cvt_f16_f32_e32 v13, v66
	v_cvt_f16_f32_e32 v14, v67
	;; [unrolled: 1-line block ×4, first 2 shown]
	v_cvt_f32_f16_sdwa v67, v16 dst_sel:DWORD dst_unused:UNUSED_PAD src0_sel:WORD_1
	v_pack_b32_f16 v14, v13, v14
	v_cvt_f32_f16_e32 v68, v15
	v_pack_b32_f16 v13, v28, v66
	ds_read_u16 v28, v226 offset:528
	ds_read_u16 v70, v226 offset:1056
	v_cvt_f32_f16_e32 v66, v16
	v_cvt_f32_f16_sdwa v69, v15 dst_sel:DWORD dst_unused:UNUSED_PAD src0_sel:WORD_1
	s_waitcnt lgkmcnt(0)
	v_perm_b32 v71, v63, v70, s55
	v_perm_b32 v70, v28, v61, s55
	s_nop 1
	v_mfma_f32_16x16x16f16 v[66:69], v[70:71], v[36:37], v[66:69]
	ds_read_u16 v63, v101 offset:16896
	ds_read_u16 v70, v131 offset:528
	ds_read_u16 v71, v227 offset:1056
	ds_read_u16 v72, v102 offset:16896
	s_waitcnt lgkmcnt(2)
	v_perm_b32 v70, v70, v63, s55
	s_waitcnt lgkmcnt(0)
	v_perm_b32 v71, v72, v71, s55
	s_nop 2
	v_cvt_f16_f32_e32 v15, v66
	v_cvt_f16_f32_e32 v16, v67
	v_cvt_f16_f32_e32 v28, v68
	v_cvt_f16_f32_e32 v61, v69
	v_cvt_f32_f16_e32 v66, v15
	v_cvt_f32_f16_e32 v67, v16
	v_cvt_f32_f16_e32 v68, v28
	v_cvt_f32_f16_e32 v69, v61
	s_nop 1
	v_mfma_f32_16x16x16f16 v[66:69], v[70:71], v[18:19], v[66:69]
	s_nop 7
	s_nop 2
	v_cvt_f16_f32_e32 v15, v66
	v_cvt_f16_f32_e32 v16, v67
	v_cvt_f16_f32_e32 v28, v68
	v_cvt_f16_f32_e32 v61, v69
	v_cvt_f32_f16_e32 v66, v20
	v_pack_b32_f16 v16, v15, v16
	v_cvt_f32_f16_sdwa v67, v20 dst_sel:DWORD dst_unused:UNUSED_PAD src0_sel:WORD_1
	v_pack_b32_f16 v15, v28, v61
	ds_read_u16 v28, v98 offset:64
	ds_read_u16 v61, v228 offset:528
	ds_read_u16 v63, v228 offset:1056
	ds_read_u16 v70, v100 offset:64
	v_cvt_f32_f16_e32 v68, v17
	v_cvt_f32_f16_sdwa v69, v17 dst_sel:DWORD dst_unused:UNUSED_PAD src0_sel:WORD_1
	s_waitcnt lgkmcnt(0)
	v_perm_b32 v71, v70, v63, s55
	v_perm_b32 v70, v61, v28, s55
	s_nop 1
	v_mfma_f32_16x16x16f16 v[66:69], v[70:71], v[36:37], v[66:69]
	ds_read_u16 v63, v103 offset:16896
	ds_read_u16 v70, v132 offset:528
	ds_read_u16 v71, v229 offset:1056
	ds_read_u16 v72, v104 offset:16896
	s_waitcnt lgkmcnt(2)
	v_perm_b32 v70, v70, v63, s55
	s_waitcnt lgkmcnt(0)
	v_perm_b32 v71, v72, v71, s55
	s_nop 2
	v_cvt_f16_f32_e32 v17, v66
	v_cvt_f16_f32_e32 v20, v67
	v_cvt_f16_f32_e32 v28, v68
	v_cvt_f16_f32_e32 v61, v69
	v_cvt_f32_f16_e32 v66, v17
	v_cvt_f32_f16_e32 v67, v20
	v_cvt_f32_f16_e32 v68, v28
	v_cvt_f32_f16_e32 v69, v61
	s_nop 1
	v_mfma_f32_16x16x16f16 v[66:69], v[70:71], v[18:19], v[66:69]
	s_nop 7
	s_nop 2
	v_cvt_f16_f32_e32 v17, v66
	v_cvt_f16_f32_e32 v20, v67
	v_cvt_f16_f32_e32 v28, v68
	v_cvt_f16_f32_e32 v61, v69
	v_cvt_f32_f16_e32 v66, v24
	v_pack_b32_f16 v20, v17, v20
	v_cvt_f32_f16_sdwa v67, v24 dst_sel:DWORD dst_unused:UNUSED_PAD src0_sel:WORD_1
	v_pack_b32_f16 v17, v28, v61
	ds_read_u16 v28, v98 offset:96
	ds_read_u16 v61, v230 offset:528
	;; [unrolled: 40-line block ×7, first 2 shown]
	ds_read_u16 v63, v240 offset:1056
	ds_read_u16 v70, v100 offset:256
	v_cvt_f32_f16_e32 v66, v4
	v_cvt_f32_f16_sdwa v67, v4 dst_sel:DWORD dst_unused:UNUSED_PAD src0_sel:WORD_1
	s_waitcnt lgkmcnt(2)
	v_perm_b32 v0, v61, v0, s55
	s_waitcnt lgkmcnt(0)
	v_perm_b32 v1, v70, v63, s55
	ds_read_u16 v63, v115 offset:16896
	ds_read_u16 v70, v138 offset:528
	;; [unrolled: 1-line block ×4, first 2 shown]
	v_mfma_f32_16x16x16f16 v[66:69], v[0:1], v[36:37], v[66:69]
	s_nop 7
	s_nop 2
	v_cvt_f16_f32_e32 v0, v66
	v_cvt_f16_f32_e32 v1, v67
	;; [unrolled: 1-line block ×4, first 2 shown]
	v_cvt_f32_f16_e32 v66, v0
	v_cvt_f32_f16_e32 v67, v1
	s_waitcnt lgkmcnt(0)
	v_perm_b32 v1, v72, v71, s55
	v_perm_b32 v0, v70, v63, s55
	v_cvt_f32_f16_e32 v68, v4
	v_cvt_f32_f16_e32 v69, v61
	s_nop 1
	v_mfma_f32_16x16x16f16 v[66:69], v[0:1], v[18:19], v[66:69]
	s_nop 7
	s_nop 2
	v_cvt_f16_f32_e32 v0, v66
	v_cvt_f16_f32_e32 v1, v67
	v_cvt_f16_f32_e32 v61, v68
	v_cvt_f16_f32_e32 v63, v69
	v_cvt_f32_f16_e32 v66, v6
	v_pack_b32_f16 v4, v0, v1
	v_cvt_f32_f16_sdwa v67, v6 dst_sel:DWORD dst_unused:UNUSED_PAD src0_sel:WORD_1
	v_pack_b32_f16 v1, v61, v63
	ds_read_u16 v0, v98 offset:288
	ds_read_u16 v61, v242 offset:528
	ds_read_u16 v63, v242 offset:1056
	ds_read_u16 v70, v100 offset:288
	v_cvt_f32_f16_e32 v68, v5
	v_cvt_f32_f16_sdwa v69, v5 dst_sel:DWORD dst_unused:UNUSED_PAD src0_sel:WORD_1
	s_waitcnt lgkmcnt(0)
	v_perm_b32 v71, v70, v63, s55
	v_perm_b32 v70, v61, v0, s55
	s_nop 1
	v_mfma_f32_16x16x16f16 v[66:69], v[70:71], v[36:37], v[66:69]
	ds_read_u16 v63, v117 offset:16896
	ds_read_u16 v70, v139 offset:528
	ds_read_u16 v71, v243 offset:1056
	ds_read_u16 v72, v118 offset:16896
	s_waitcnt lgkmcnt(2)
	v_perm_b32 v70, v70, v63, s55
	s_waitcnt lgkmcnt(0)
	v_perm_b32 v71, v72, v71, s55
	s_nop 2
	v_cvt_f16_f32_e32 v0, v66
	v_cvt_f16_f32_e32 v5, v67
	v_cvt_f16_f32_e32 v6, v68
	v_cvt_f16_f32_e32 v61, v69
	v_cvt_f32_f16_e32 v66, v0
	v_cvt_f32_f16_e32 v67, v5
	v_cvt_f32_f16_e32 v68, v6
	v_cvt_f32_f16_e32 v69, v61
	s_nop 1
	v_mfma_f32_16x16x16f16 v[66:69], v[70:71], v[18:19], v[66:69]
	s_nop 7
	s_nop 2
	v_cvt_f16_f32_e32 v0, v66
	v_cvt_f16_f32_e32 v5, v67
	v_cvt_f16_f32_e32 v61, v68
	v_cvt_f16_f32_e32 v63, v69
	v_cvt_f32_f16_e32 v66, v8
	v_pack_b32_f16 v6, v0, v5
	v_cvt_f32_f16_sdwa v67, v8 dst_sel:DWORD dst_unused:UNUSED_PAD src0_sel:WORD_1
	v_pack_b32_f16 v5, v61, v63
	ds_read_u16 v0, v98 offset:320
	ds_read_u16 v61, v244 offset:528
	ds_read_u16 v63, v244 offset:1056
	ds_read_u16 v70, v100 offset:320
	v_cvt_f32_f16_e32 v68, v7
	v_cvt_f32_f16_sdwa v69, v7 dst_sel:DWORD dst_unused:UNUSED_PAD src0_sel:WORD_1
	s_waitcnt lgkmcnt(0)
	v_perm_b32 v71, v70, v63, s55
	v_perm_b32 v70, v61, v0, s55
	s_nop 1
	v_mfma_f32_16x16x16f16 v[66:69], v[70:71], v[36:37], v[66:69]
	ds_read_u16 v63, v119 offset:16896
	ds_read_u16 v70, v140 offset:528
	ds_read_u16 v71, v245 offset:1056
	ds_read_u16 v72, v120 offset:16896
	s_waitcnt lgkmcnt(2)
	v_perm_b32 v70, v70, v63, s55
	s_waitcnt lgkmcnt(0)
	v_perm_b32 v71, v72, v71, s55
	s_nop 2
	v_cvt_f16_f32_e32 v0, v66
	v_cvt_f16_f32_e32 v7, v67
	v_cvt_f16_f32_e32 v8, v68
	v_cvt_f16_f32_e32 v61, v69
	v_cvt_f32_f16_e32 v66, v0
	v_cvt_f32_f16_e32 v67, v7
	;; [unrolled: 40-line block ×6, first 2 shown]
	v_cvt_f32_f16_e32 v68, v26
	v_cvt_f32_f16_e32 v69, v61
	s_nop 1
	v_mfma_f32_16x16x16f16 v[66:69], v[70:71], v[18:19], v[66:69]
	s_nop 7
	s_nop 2
	v_cvt_f16_f32_e32 v0, v66
	v_cvt_f16_f32_e32 v25, v67
	;; [unrolled: 1-line block ×4, first 2 shown]
	v_cvt_f32_f16_e32 v66, v59
	v_pack_b32_f16 v26, v0, v25
	v_cvt_f32_f16_sdwa v67, v59 dst_sel:DWORD dst_unused:UNUSED_PAD src0_sel:WORD_1
	v_pack_b32_f16 v25, v61, v63
	ds_read_u16 v0, v98 offset:480
	ds_read_u16 v61, v254 offset:528
	;; [unrolled: 1-line block ×4, first 2 shown]
	v_cvt_f32_f16_e32 v68, v39
	v_cvt_f32_f16_sdwa v69, v39 dst_sel:DWORD dst_unused:UNUSED_PAD src0_sel:WORD_1
	s_waitcnt lgkmcnt(0)
	v_perm_b32 v71, v70, v63, s55
	v_perm_b32 v70, v61, v0, s55
	s_nop 1
	v_mfma_f32_16x16x16f16 v[66:69], v[70:71], v[36:37], v[66:69]
	ds_read_u16 v59, v129 offset:16896
	ds_read_u16 v61, v145 offset:528
	;; [unrolled: 1-line block ×4, first 2 shown]
	s_waitcnt lgkmcnt(0)
	s_barrier
	s_nop 4
	v_cvt_f16_f32_e32 v36, v67
	v_cvt_f16_f32_e32 v37, v68
	;; [unrolled: 1-line block ×4, first 2 shown]
	v_cvt_f32_f16_e32 v67, v36
	v_cvt_f32_f16_e32 v68, v37
	v_perm_b32 v37, v70, v63, s55
	v_perm_b32 v36, v61, v59, s55
	v_cvt_f32_f16_e32 v66, v0
	v_cvt_f32_f16_e32 v69, v39
	s_nop 1
	v_mfma_f32_16x16x16f16 v[66:69], v[36:37], v[18:19], v[66:69]
	s_nop 7
	s_nop 2
	v_cvt_f16_f32_e32 v0, v66
	v_cvt_f16_f32_e32 v18, v67
	;; [unrolled: 1-line block ×4, first 2 shown]
	v_pack_b32_f16 v18, v0, v18
	ds_bpermute_b32 v0, v3, v35
	v_pack_b32_f16 v19, v19, v36
	s_waitcnt lgkmcnt(0)
	v_add_f32_e32 v0, v35, v0
	ds_bpermute_b32 v3, v38, v0
	s_waitcnt lgkmcnt(0)
	v_add_f32_e32 v3, v0, v3
	s_and_saveexec_b64 s[74:75], s[8:9]
	s_xor_b64 s[8:9], exec, s[74:75]
	s_andn2_saveexec_b64 s[8:9], s[8:9]
	s_cbranch_execz .LBB29_58
; %bb.57:                               ;   in Loop: Header=BB29_14 Depth=1
	v_lshlrev_b32_e32 v0, 2, v60
	global_load_dword v0, v0, s[72:73]
	v_max_f32_e32 v36, v2, v2
	s_waitcnt vmcnt(0)
	v_max_f32_e32 v35, v0, v0
	v_max_f32_e32 v36, v36, v35
	v_sub_f32_e32 v2, v2, v36
	v_mul_f32_e32 v35, 0x3fb8aa3b, v2
	v_fma_f32 v37, v2, s43, -v35
	v_rndne_f32_e32 v39, v35
	v_fmac_f32_e32 v37, 0x32a5705f, v2
	v_sub_f32_e32 v35, v35, v39
	v_add_f32_e32 v35, v35, v37
	v_exp_f32_e32 v35, v35
	v_cvt_i32_f32_e32 v37, v39
	v_cmp_ngt_f32_e32 vcc, s67, v2
	v_sub_f32_e32 v0, v0, v36
	v_ldexp_f32 v35, v35, v37
	v_cndmask_b32_e32 v35, 0, v35, vcc
	v_cmp_nlt_f32_e32 vcc, s34, v2
	v_cndmask_b32_e32 v35, v190, v35, vcc
	v_cmp_le_f32_e32 vcc, s35, v2
	v_cndmask_b32_e32 v2, 0, v35, vcc
	v_cvt_f16_f32_e32 v35, v2
	v_cmp_ngt_f32_e32 vcc, s67, v0
	v_pk_mul_f16 v14, v35, v14 op_sel_hi:[0,1]
	v_pk_mul_f16 v13, v35, v13 op_sel_hi:[0,1]
	;; [unrolled: 1-line block ×32, first 2 shown]
	v_mul_f32_e32 v35, 0x3fb8aa3b, v0
	v_fma_f32 v37, v0, s43, -v35
	v_rndne_f32_e32 v39, v35
	v_fmac_f32_e32 v37, 0x32a5705f, v0
	v_sub_f32_e32 v35, v35, v39
	v_add_f32_e32 v35, v35, v37
	v_exp_f32_e32 v35, v35
	v_cvt_i32_f32_e32 v37, v39
	v_ldexp_f32 v35, v35, v37
	v_cndmask_b32_e32 v35, 0, v35, vcc
	v_cmp_nlt_f32_e32 vcc, s34, v0
	v_cndmask_b32_e32 v37, v190, v35, vcc
	v_fmac_f32_e32 v37, v3, v2
	v_pk_mov_b32 v[2:3], v[36:37], v[36:37] op_sel:[0,1]
.LBB29_58:                              ;   in Loop: Header=BB29_14 Depth=1
	s_or_b64 exec, exec, s[8:9]
	s_and_saveexec_b64 s[8:9], s[4:5]
	s_cbranch_execz .LBB29_60
; %bb.59:                               ;   in Loop: Header=BB29_14 Depth=1
	v_add_u32_e32 v0, 0, v152
	ds_write2_b32 v0, v2, v3 offset0:64 offset1:65
.LBB29_60:                              ;   in Loop: Header=BB29_14 Depth=1
	s_or_b64 exec, exec, s[8:9]
	s_waitcnt lgkmcnt(0)
	s_barrier
	s_and_saveexec_b64 s[8:9], s[2:3]
	s_xor_b64 s[8:9], exec, s[8:9]
	s_cbranch_execz .LBB29_62
; %bb.61:                               ;   in Loop: Header=BB29_14 Depth=1
	s_barrier
	s_waitcnt lgkmcnt(0)
                                        ; implicit-def: $vgpr38
.LBB29_62:                              ;   in Loop: Header=BB29_14 Depth=1
	s_andn2_saveexec_b64 s[8:9], s[8:9]
	s_cbranch_execz .LBB29_68
; %bb.63:                               ;   in Loop: Header=BB29_14 Depth=1
	v_add_u32_e32 v0, 0, v153
	ds_read_b64 v[66:67], v0 offset:256
	s_waitcnt lgkmcnt(0)
	s_barrier
	ds_bpermute_b32 v2, v38, v66
	v_max_f32_e32 v3, v66, v66
	s_waitcnt lgkmcnt(0)
	v_max_f32_e32 v2, v2, v2
	v_max_f32_e32 v2, v3, v2
	v_sub_f32_e32 v3, v66, v2
	v_mul_f32_e32 v35, 0x3fb8aa3b, v3
	v_fma_f32 v36, v3, s43, -v35
	v_rndne_f32_e32 v37, v35
	v_fmac_f32_e32 v36, 0x32a5705f, v3
	v_sub_f32_e32 v35, v35, v37
	v_add_f32_e32 v35, v35, v36
	v_cvt_i32_f32_e32 v37, v37
	v_exp_f32_e32 v35, v35
	v_cmp_ngt_f32_e32 vcc, s67, v3
	v_ldexp_f32 v35, v35, v37
	v_cndmask_b32_e32 v35, 0, v35, vcc
	v_cmp_nlt_f32_e32 vcc, s34, v3
	v_cndmask_b32_e32 v36, v190, v35, vcc
	v_mul_f32_e32 v3, v67, v36
	ds_bpermute_b32 v37, v38, v3
	s_waitcnt lgkmcnt(0)
	v_fmac_f32_e32 v37, v67, v36
	s_mov_b64 s[74:75], exec
	v_readlane_b32 s76, v255, 16
	v_readlane_b32 s77, v255, 17
	s_and_b64 s[76:77], s[74:75], s[76:77]
	s_mov_b64 exec, s[76:77]
	s_cbranch_execz .LBB29_65
; %bb.64:                               ;   in Loop: Header=BB29_14 Depth=1
	ds_write_b64 v0, v[36:37] offset:256
.LBB29_65:                              ;   in Loop: Header=BB29_14 Depth=1
	s_or_b64 exec, exec, s[74:75]
	s_and_saveexec_b64 s[74:75], s[4:5]
	s_cbranch_execz .LBB29_67
; %bb.66:                               ;   in Loop: Header=BB29_14 Depth=1
	v_mov_b32_e32 v3, v37
	buffer_load_dword v36, off, s[96:99], 0 offset:76 ; 4-byte Folded Reload
	buffer_load_dword v37, off, s[96:99], 0 offset:80 ; 4-byte Folded Reload
	s_waitcnt vmcnt(0)
	global_store_dwordx2 v[36:37], v[2:3], off
.LBB29_67:                              ;   in Loop: Header=BB29_14 Depth=1
	s_or_b64 exec, exec, s[74:75]
.LBB29_68:                              ;   in Loop: Header=BB29_14 Depth=1
	s_or_b64 exec, exec, s[8:9]
	v_add_u32_e32 v2, s95, v193
	ds_write2_b32 v154, v14, v13 offset1:1
	ds_write2_b32 v154, v16, v15 offset0:8 offset1:9
	ds_write2_b32 v154, v20, v17 offset0:16 offset1:17
	;; [unrolled: 1-line block ×7, first 2 shown]
	s_waitcnt lgkmcnt(0)
	s_barrier
	s_and_saveexec_b64 s[74:75], s[0:1]
	s_cbranch_execz .LBB29_146
; %bb.69:                               ;   in Loop: Header=BB29_14 Depth=1
	v_or_b32_e32 v0, s89, v62
	v_cmp_gt_i32_e64 s[8:9], s28, v2
	v_cmp_gt_i32_e32 vcc, s80, v0
	s_and_b64 s[8:9], s[8:9], vcc
	v_mov_b32_e32 v0, 0x47
	s_and_saveexec_b64 s[76:77], s[8:9]
	s_cbranch_execz .LBB29_71
; %bb.70:                               ;   in Loop: Header=BB29_14 Depth=1
	v_add_u32_e32 v0, 0, v155
	ds_read2st64_b32 v[16:17], v0 offset0:1 offset1:18
	ds_read2st64_b32 v[28:29], v156 offset1:17
	v_mad_u64_u32 v[14:15], s[8:9], v2, s29, v[62:63]
	v_lshl_add_u32 v14, v14, 7, v92
	v_ashrrev_i32_e32 v15, 31, v14
	s_waitcnt lgkmcnt(0)
	v_cvt_f32_f16_sdwa v31, v28 dst_sel:DWORD dst_unused:UNUSED_PAD src0_sel:WORD_1
	v_cvt_f32_f16_e32 v30, v28
	v_cvt_f32_f16_sdwa v33, v29 dst_sel:DWORD dst_unused:UNUSED_PAD src0_sel:WORD_1
	v_cvt_f32_f16_e32 v32, v29
	v_lshlrev_b64 v[14:15], 3, v[14:15]
	v_add_co_u32_e64 v14, s[8:9], s7, v14
	v_mov_b32_e32 v0, s6
	v_addc_co_u32_e64 v15, s[8:9], v0, v15, s[8:9]
	v_pk_fma_f32 v[30:31], v[16:17], v[30:31], 0 op_sel_hi:[0,1,0]
	v_mov_b32_e32 v0, v17
	v_pk_fma_f32 v[16:17], v[0:1], v[32:33], v[30:31] op_sel_hi:[0,1,1]
	v_mov_b32_e32 v0, 0
	global_store_dwordx2 v[14:15], v[16:17], off
.LBB29_71:                              ;   in Loop: Header=BB29_14 Depth=1
	s_or_b64 exec, exec, s[76:77]
	v_cmp_gt_i32_e64 s[8:9], s66, v0
	s_mov_b64 s[76:77], -1
	s_and_saveexec_b64 s[78:79], s[8:9]
; %bb.72:                               ;   in Loop: Header=BB29_14 Depth=1
	v_cmp_eq_u32_e64 s[8:9], 0, v0
	s_orn2_b64 s[76:77], s[8:9], exec
; %bb.73:                               ;   in Loop: Header=BB29_14 Depth=1
	s_or_b64 exec, exec, s[78:79]
	s_and_b64 exec, exec, s[76:77]
	s_cbranch_execz .LBB29_146
; %bb.74:                               ;   in Loop: Header=BB29_14 Depth=1
	v_add_u32_e32 v3, s95, v157
	v_cmp_gt_i32_e64 s[8:9], s28, v3
	s_and_b64 s[8:9], s[8:9], vcc
	v_mov_b32_e32 v0, 0x47
	s_and_saveexec_b64 s[76:77], s[8:9]
	s_cbranch_execz .LBB29_76
; %bb.75:                               ;   in Loop: Header=BB29_14 Depth=1
	buffer_load_dword v0, off, s[96:99], 0  ; 4-byte Folded Reload
	v_mad_u64_u32 v[14:15], s[8:9], v3, s29, v[62:63]
	v_lshl_add_u32 v14, v14, 7, v92
	v_ashrrev_i32_e32 v15, 31, v14
	v_lshlrev_b64 v[14:15], 3, v[14:15]
	v_add_co_u32_e64 v14, s[8:9], s7, v14
	s_waitcnt vmcnt(0)
	v_add_u32_e32 v0, 0, v0
	ds_read2st64_b32 v[16:17], v0 offset0:1 offset1:18
	buffer_load_dword v0, off, s[96:99], 0 offset:4 ; 4-byte Folded Reload
	s_waitcnt vmcnt(0)
	ds_read2st64_b32 v[28:29], v0 offset1:17
	v_mov_b32_e32 v0, s6
	v_addc_co_u32_e64 v15, s[8:9], v0, v15, s[8:9]
	s_waitcnt lgkmcnt(1)
	v_mov_b32_e32 v0, v17
	s_waitcnt lgkmcnt(0)
	v_cvt_f32_f16_sdwa v31, v28 dst_sel:DWORD dst_unused:UNUSED_PAD src0_sel:WORD_1
	v_cvt_f32_f16_e32 v30, v28
	v_cvt_f32_f16_sdwa v33, v29 dst_sel:DWORD dst_unused:UNUSED_PAD src0_sel:WORD_1
	v_cvt_f32_f16_e32 v32, v29
	v_pk_fma_f32 v[30:31], v[16:17], v[30:31], 0 op_sel_hi:[0,1,0]
	v_pk_fma_f32 v[16:17], v[0:1], v[32:33], v[30:31] op_sel_hi:[0,1,1]
	v_mov_b32_e32 v0, 0
	global_store_dwordx2 v[14:15], v[16:17], off
.LBB29_76:                              ;   in Loop: Header=BB29_14 Depth=1
	s_or_b64 exec, exec, s[76:77]
	v_cmp_gt_i32_e64 s[8:9], s66, v0
	s_mov_b64 s[76:77], -1
	s_and_saveexec_b64 s[78:79], s[8:9]
; %bb.77:                               ;   in Loop: Header=BB29_14 Depth=1
	v_cmp_eq_u32_e64 s[8:9], 0, v0
	s_orn2_b64 s[76:77], s[8:9], exec
; %bb.78:                               ;   in Loop: Header=BB29_14 Depth=1
	s_or_b64 exec, exec, s[78:79]
	s_and_b64 exec, exec, s[76:77]
	s_cbranch_execz .LBB29_146
; %bb.79:                               ;   in Loop: Header=BB29_14 Depth=1
	buffer_load_dword v0, off, s[96:99], 0 offset:8 ; 4-byte Folded Reload
	s_waitcnt vmcnt(0)
	v_add_u32_e32 v3, s95, v0
	v_cmp_gt_i32_e64 s[8:9], s28, v3
	s_and_b64 s[8:9], s[8:9], vcc
	v_mov_b32_e32 v0, 0x47
	s_and_saveexec_b64 s[76:77], s[8:9]
	s_cbranch_execz .LBB29_81
; %bb.80:                               ;   in Loop: Header=BB29_14 Depth=1
	buffer_load_dword v0, off, s[96:99], 0 offset:84 ; 4-byte Folded Reload
	v_mad_u64_u32 v[14:15], s[8:9], v3, s29, v[62:63]
	v_lshl_add_u32 v14, v14, 7, v92
	v_ashrrev_i32_e32 v15, 31, v14
	v_lshlrev_b64 v[14:15], 3, v[14:15]
	v_add_co_u32_e64 v14, s[8:9], s7, v14
	s_waitcnt vmcnt(0)
	v_add_u32_e32 v0, 0, v0
	ds_read2st64_b32 v[16:17], v0 offset0:1 offset1:18
	buffer_load_dword v0, off, s[96:99], 0 offset:88 ; 4-byte Folded Reload
	s_waitcnt vmcnt(0)
	ds_read2st64_b32 v[28:29], v0 offset1:17
	v_mov_b32_e32 v0, s6
	v_addc_co_u32_e64 v15, s[8:9], v0, v15, s[8:9]
	s_waitcnt lgkmcnt(1)
	v_mov_b32_e32 v0, v17
	s_waitcnt lgkmcnt(0)
	v_cvt_f32_f16_sdwa v31, v28 dst_sel:DWORD dst_unused:UNUSED_PAD src0_sel:WORD_1
	v_cvt_f32_f16_e32 v30, v28
	v_cvt_f32_f16_sdwa v33, v29 dst_sel:DWORD dst_unused:UNUSED_PAD src0_sel:WORD_1
	v_cvt_f32_f16_e32 v32, v29
	v_pk_fma_f32 v[30:31], v[16:17], v[30:31], 0 op_sel_hi:[0,1,0]
	v_pk_fma_f32 v[16:17], v[0:1], v[32:33], v[30:31] op_sel_hi:[0,1,1]
	v_mov_b32_e32 v0, 0
	global_store_dwordx2 v[14:15], v[16:17], off
.LBB29_81:                              ;   in Loop: Header=BB29_14 Depth=1
	s_or_b64 exec, exec, s[76:77]
	v_cmp_gt_i32_e64 s[8:9], s66, v0
	s_mov_b64 s[76:77], -1
	s_and_saveexec_b64 s[78:79], s[8:9]
; %bb.82:                               ;   in Loop: Header=BB29_14 Depth=1
	v_cmp_eq_u32_e64 s[8:9], 0, v0
	s_orn2_b64 s[76:77], s[8:9], exec
; %bb.83:                               ;   in Loop: Header=BB29_14 Depth=1
	s_or_b64 exec, exec, s[78:79]
	s_and_b64 exec, exec, s[76:77]
	s_cbranch_execz .LBB29_146
; %bb.84:                               ;   in Loop: Header=BB29_14 Depth=1
	buffer_load_dword v0, off, s[96:99], 0 offset:92 ; 4-byte Folded Reload
	s_waitcnt vmcnt(0)
	v_add_u32_e32 v3, s95, v0
	v_cmp_gt_i32_e64 s[8:9], s28, v3
	s_and_b64 s[8:9], s[8:9], vcc
	v_mov_b32_e32 v0, 0x47
	s_and_saveexec_b64 s[76:77], s[8:9]
	s_cbranch_execz .LBB29_86
; %bb.85:                               ;   in Loop: Header=BB29_14 Depth=1
	buffer_load_dword v0, off, s[96:99], 0 offset:96 ; 4-byte Folded Reload
	v_mad_u64_u32 v[14:15], s[8:9], v3, s29, v[62:63]
	v_lshl_add_u32 v14, v14, 7, v92
	v_ashrrev_i32_e32 v15, 31, v14
	v_lshlrev_b64 v[14:15], 3, v[14:15]
	v_add_co_u32_e64 v14, s[8:9], s7, v14
	s_waitcnt vmcnt(0)
	v_add_u32_e32 v0, 0, v0
	ds_read2st64_b32 v[16:17], v0 offset0:1 offset1:18
	buffer_load_dword v0, off, s[96:99], 0 offset:100 ; 4-byte Folded Reload
	s_waitcnt vmcnt(0)
	ds_read2st64_b32 v[28:29], v0 offset1:17
	v_mov_b32_e32 v0, s6
	v_addc_co_u32_e64 v15, s[8:9], v0, v15, s[8:9]
	s_waitcnt lgkmcnt(1)
	v_mov_b32_e32 v0, v17
	s_waitcnt lgkmcnt(0)
	v_cvt_f32_f16_sdwa v31, v28 dst_sel:DWORD dst_unused:UNUSED_PAD src0_sel:WORD_1
	v_cvt_f32_f16_e32 v30, v28
	v_cvt_f32_f16_sdwa v33, v29 dst_sel:DWORD dst_unused:UNUSED_PAD src0_sel:WORD_1
	v_cvt_f32_f16_e32 v32, v29
	v_pk_fma_f32 v[30:31], v[16:17], v[30:31], 0 op_sel_hi:[0,1,0]
	v_pk_fma_f32 v[16:17], v[0:1], v[32:33], v[30:31] op_sel_hi:[0,1,1]
	v_mov_b32_e32 v0, 0
	global_store_dwordx2 v[14:15], v[16:17], off
.LBB29_86:                              ;   in Loop: Header=BB29_14 Depth=1
	;; [unrolled: 47-line block ×4, first 2 shown]
	s_or_b64 exec, exec, s[76:77]
	v_cmp_gt_i32_e64 s[8:9], s66, v0
	s_mov_b64 s[76:77], -1
	s_and_saveexec_b64 s[78:79], s[8:9]
; %bb.97:                               ;   in Loop: Header=BB29_14 Depth=1
	v_cmp_eq_u32_e64 s[8:9], 0, v0
	s_orn2_b64 s[76:77], s[8:9], exec
; %bb.98:                               ;   in Loop: Header=BB29_14 Depth=1
	s_or_b64 exec, exec, s[78:79]
	s_and_b64 exec, exec, s[76:77]
	s_cbranch_execz .LBB29_146
; %bb.99:                               ;   in Loop: Header=BB29_14 Depth=1
	buffer_load_dword v0, off, s[96:99], 0 offset:132 ; 4-byte Folded Reload
	s_waitcnt vmcnt(0)
	v_add_u32_e32 v3, s95, v0
	v_cmp_gt_i32_e64 s[8:9], s28, v3
	s_and_b64 s[8:9], s[8:9], vcc
	v_mov_b32_e32 v0, 0x47
	s_and_saveexec_b64 s[76:77], s[8:9]
	s_cbranch_execz .LBB29_101
; %bb.100:                              ;   in Loop: Header=BB29_14 Depth=1
	buffer_load_dword v0, off, s[96:99], 0 offset:136 ; 4-byte Folded Reload
	v_mad_u64_u32 v[14:15], s[8:9], v3, s29, v[62:63]
	v_lshl_add_u32 v14, v14, 7, v92
	v_ashrrev_i32_e32 v15, 31, v14
	v_lshlrev_b64 v[14:15], 3, v[14:15]
	v_add_co_u32_e64 v14, s[8:9], s7, v14
	s_waitcnt vmcnt(0)
	v_add_u32_e32 v0, 0, v0
	ds_read2st64_b32 v[16:17], v0 offset0:1 offset1:18
	buffer_load_dword v0, off, s[96:99], 0 offset:140 ; 4-byte Folded Reload
	s_waitcnt vmcnt(0)
	ds_read2st64_b32 v[28:29], v0 offset1:17
	v_mov_b32_e32 v0, s6
	v_addc_co_u32_e64 v15, s[8:9], v0, v15, s[8:9]
	s_waitcnt lgkmcnt(1)
	v_mov_b32_e32 v0, v17
	s_waitcnt lgkmcnt(0)
	v_cvt_f32_f16_sdwa v31, v28 dst_sel:DWORD dst_unused:UNUSED_PAD src0_sel:WORD_1
	v_cvt_f32_f16_e32 v30, v28
	v_cvt_f32_f16_sdwa v33, v29 dst_sel:DWORD dst_unused:UNUSED_PAD src0_sel:WORD_1
	v_cvt_f32_f16_e32 v32, v29
	v_pk_fma_f32 v[30:31], v[16:17], v[30:31], 0 op_sel_hi:[0,1,0]
	v_pk_fma_f32 v[16:17], v[0:1], v[32:33], v[30:31] op_sel_hi:[0,1,1]
	v_mov_b32_e32 v0, 0
	global_store_dwordx2 v[14:15], v[16:17], off
.LBB29_101:                             ;   in Loop: Header=BB29_14 Depth=1
	s_or_b64 exec, exec, s[76:77]
	v_cmp_gt_i32_e64 s[8:9], s66, v0
	s_mov_b64 s[76:77], -1
	s_and_saveexec_b64 s[78:79], s[8:9]
; %bb.102:                              ;   in Loop: Header=BB29_14 Depth=1
	v_cmp_eq_u32_e64 s[8:9], 0, v0
	s_orn2_b64 s[76:77], s[8:9], exec
; %bb.103:                              ;   in Loop: Header=BB29_14 Depth=1
	s_or_b64 exec, exec, s[78:79]
	s_and_b64 exec, exec, s[76:77]
	s_cbranch_execz .LBB29_146
; %bb.104:                              ;   in Loop: Header=BB29_14 Depth=1
	buffer_load_dword v0, off, s[96:99], 0 offset:144 ; 4-byte Folded Reload
	s_waitcnt vmcnt(0)
	v_add_u32_e32 v3, s95, v0
	v_cmp_gt_i32_e64 s[8:9], s28, v3
	s_and_b64 s[8:9], s[8:9], vcc
	v_mov_b32_e32 v0, 0x47
	s_and_saveexec_b64 s[76:77], s[8:9]
	s_cbranch_execz .LBB29_106
; %bb.105:                              ;   in Loop: Header=BB29_14 Depth=1
	buffer_load_dword v0, off, s[96:99], 0 offset:148 ; 4-byte Folded Reload
	v_mad_u64_u32 v[14:15], s[8:9], v3, s29, v[62:63]
	v_lshl_add_u32 v14, v14, 7, v92
	v_ashrrev_i32_e32 v15, 31, v14
	v_lshlrev_b64 v[14:15], 3, v[14:15]
	v_add_co_u32_e64 v14, s[8:9], s7, v14
	s_waitcnt vmcnt(0)
	v_add_u32_e32 v0, 0, v0
	ds_read2st64_b32 v[16:17], v0 offset0:1 offset1:18
	buffer_load_dword v0, off, s[96:99], 0 offset:152 ; 4-byte Folded Reload
	s_waitcnt vmcnt(0)
	ds_read2st64_b32 v[28:29], v0 offset1:17
	v_mov_b32_e32 v0, s6
	v_addc_co_u32_e64 v15, s[8:9], v0, v15, s[8:9]
	s_waitcnt lgkmcnt(1)
	v_mov_b32_e32 v0, v17
	s_waitcnt lgkmcnt(0)
	v_cvt_f32_f16_sdwa v31, v28 dst_sel:DWORD dst_unused:UNUSED_PAD src0_sel:WORD_1
	v_cvt_f32_f16_e32 v30, v28
	v_cvt_f32_f16_sdwa v33, v29 dst_sel:DWORD dst_unused:UNUSED_PAD src0_sel:WORD_1
	v_cvt_f32_f16_e32 v32, v29
	v_pk_fma_f32 v[30:31], v[16:17], v[30:31], 0 op_sel_hi:[0,1,0]
	v_pk_fma_f32 v[16:17], v[0:1], v[32:33], v[30:31] op_sel_hi:[0,1,1]
	v_mov_b32_e32 v0, 0
	global_store_dwordx2 v[14:15], v[16:17], off
.LBB29_106:                             ;   in Loop: Header=BB29_14 Depth=1
	s_or_b64 exec, exec, s[76:77]
	v_cmp_gt_i32_e64 s[8:9], s66, v0
	s_mov_b64 s[76:77], -1
	s_and_saveexec_b64 s[78:79], s[8:9]
; %bb.107:                              ;   in Loop: Header=BB29_14 Depth=1
	v_cmp_eq_u32_e64 s[8:9], 0, v0
	s_orn2_b64 s[76:77], s[8:9], exec
; %bb.108:                              ;   in Loop: Header=BB29_14 Depth=1
	s_or_b64 exec, exec, s[78:79]
	s_and_b64 exec, exec, s[76:77]
	s_cbranch_execz .LBB29_146
; %bb.109:                              ;   in Loop: Header=BB29_14 Depth=1
	;; [unrolled: 47-line block ×9, first 2 shown]
	buffer_load_dword v0, off, s[96:99], 0 offset:240 ; 4-byte Folded Reload
	s_waitcnt vmcnt(0)
	v_add_u32_e32 v0, s95, v0
	v_cmp_gt_i32_e64 s[8:9], s28, v0
	s_and_b64 s[8:9], s[8:9], vcc
	s_and_b64 exec, exec, s[8:9]
	s_cbranch_execz .LBB29_146
; %bb.145:                              ;   in Loop: Header=BB29_14 Depth=1
	v_mad_u64_u32 v[14:15], s[8:9], v0, s29, v[62:63]
	buffer_load_dword v0, off, s[96:99], 0 offset:244 ; 4-byte Folded Reload
	v_lshl_add_u32 v14, v14, 7, v92
	v_ashrrev_i32_e32 v15, 31, v14
	v_lshlrev_b64 v[14:15], 3, v[14:15]
	v_add_co_u32_e32 v14, vcc, s7, v14
	s_waitcnt vmcnt(0)
	v_add_u32_e32 v0, 0, v0
	ds_read2st64_b32 v[16:17], v0 offset0:1 offset1:18
	buffer_load_dword v0, off, s[96:99], 0 offset:248 ; 4-byte Folded Reload
	s_waitcnt vmcnt(0)
	ds_read2st64_b32 v[28:29], v0 offset1:17
	v_mov_b32_e32 v0, s6
	v_addc_co_u32_e32 v15, vcc, v0, v15, vcc
	s_waitcnt lgkmcnt(1)
	v_mov_b32_e32 v0, v17
	s_waitcnt lgkmcnt(0)
	v_cvt_f32_f16_sdwa v31, v28 dst_sel:DWORD dst_unused:UNUSED_PAD src0_sel:WORD_1
	v_cvt_f32_f16_e32 v30, v28
	v_cvt_f32_f16_sdwa v33, v29 dst_sel:DWORD dst_unused:UNUSED_PAD src0_sel:WORD_1
	v_cvt_f32_f16_e32 v32, v29
	v_pk_fma_f32 v[30:31], v[16:17], v[30:31], 0 op_sel_hi:[0,1,0]
	v_pk_fma_f32 v[16:17], v[0:1], v[32:33], v[30:31] op_sel_hi:[0,1,1]
	global_store_dwordx2 v[14:15], v[16:17], off
.LBB29_146:                             ;   in Loop: Header=BB29_14 Depth=1
	s_or_b64 exec, exec, s[74:75]
	s_barrier
	ds_write2_b32 v154, v4, v1 offset1:1
	ds_write2_b32 v154, v6, v5 offset0:8 offset1:9
	ds_write2_b32 v154, v8, v7 offset0:16 offset1:17
	;; [unrolled: 1-line block ×7, first 2 shown]
	s_waitcnt lgkmcnt(0)
	s_barrier
	s_and_saveexec_b64 s[74:75], s[0:1]
	s_cbranch_execz .LBB29_224
; %bb.147:                              ;   in Loop: Header=BB29_14 Depth=1
	v_or_b32_e32 v0, s89, v62
	v_cmp_gt_i32_e64 s[8:9], s28, v2
	v_cmp_gt_i32_e32 vcc, s80, v0
	s_and_b64 s[8:9], s[8:9], vcc
	v_mov_b32_e32 v0, 0x47
	s_and_saveexec_b64 s[76:77], s[8:9]
	s_cbranch_execz .LBB29_149
; %bb.148:                              ;   in Loop: Header=BB29_14 Depth=1
	v_mad_u64_u32 v[0:1], s[8:9], v2, s29, v[62:63]
	v_add_u32_e32 v1, 0, v155
	ds_read2st64_b32 v[2:3], v1 offset0:1 offset1:18
	ds_read2st64_b32 v[4:5], v156 offset1:17
	v_lshl_add_u32 v0, v0, 7, v220
	v_ashrrev_i32_e32 v1, 31, v0
	v_lshlrev_b64 v[0:1], 3, v[0:1]
	v_add_co_u32_e64 v0, s[8:9], s7, v0
	v_mov_b32_e32 v6, s6
	v_addc_co_u32_e64 v1, s[8:9], v6, v1, s[8:9]
	s_waitcnt lgkmcnt(0)
	v_cvt_f32_f16_sdwa v7, v4 dst_sel:DWORD dst_unused:UNUSED_PAD src0_sel:WORD_1
	v_cvt_f32_f16_e32 v6, v4
	v_cvt_f32_f16_sdwa v9, v5 dst_sel:DWORD dst_unused:UNUSED_PAD src0_sel:WORD_1
	v_cvt_f32_f16_e32 v8, v5
	v_pk_fma_f32 v[6:7], v[2:3], v[6:7], 0 op_sel_hi:[0,1,0]
	v_mov_b32_e32 v2, v3
	v_pk_fma_f32 v[2:3], v[2:3], v[8:9], v[6:7] op_sel_hi:[0,1,1]
	global_store_dwordx2 v[0:1], v[2:3], off
	v_mov_b32_e32 v0, 0
.LBB29_149:                             ;   in Loop: Header=BB29_14 Depth=1
	s_or_b64 exec, exec, s[76:77]
	v_cmp_gt_i32_e64 s[8:9], s66, v0
	s_mov_b64 s[76:77], -1
	s_and_saveexec_b64 s[78:79], s[8:9]
; %bb.150:                              ;   in Loop: Header=BB29_14 Depth=1
	v_cmp_eq_u32_e64 s[8:9], 0, v0
	s_orn2_b64 s[76:77], s[8:9], exec
; %bb.151:                              ;   in Loop: Header=BB29_14 Depth=1
	s_or_b64 exec, exec, s[78:79]
	s_and_b64 exec, exec, s[76:77]
	s_cbranch_execz .LBB29_224
; %bb.152:                              ;   in Loop: Header=BB29_14 Depth=1
	v_add_u32_e32 v1, s95, v157
	v_cmp_gt_i32_e64 s[8:9], s28, v1
	s_and_b64 s[8:9], s[8:9], vcc
	v_mov_b32_e32 v0, 0x47
	s_and_saveexec_b64 s[76:77], s[8:9]
	s_cbranch_execz .LBB29_154
; %bb.153:                              ;   in Loop: Header=BB29_14 Depth=1
	v_mad_u64_u32 v[0:1], s[8:9], v1, s29, v[62:63]
	buffer_load_dword v1, off, s[96:99], 0  ; 4-byte Folded Reload
	v_lshl_add_u32 v0, v0, 7, v220
	v_mov_b32_e32 v6, s6
	s_waitcnt vmcnt(0)
	v_add_u32_e32 v1, 0, v1
	ds_read2st64_b32 v[2:3], v1 offset0:1 offset1:18
	buffer_load_dword v1, off, s[96:99], 0 offset:4 ; 4-byte Folded Reload
	s_waitcnt vmcnt(0)
	ds_read2st64_b32 v[4:5], v1 offset1:17
	v_ashrrev_i32_e32 v1, 31, v0
	v_lshlrev_b64 v[0:1], 3, v[0:1]
	v_add_co_u32_e64 v0, s[8:9], s7, v0
	v_addc_co_u32_e64 v1, s[8:9], v6, v1, s[8:9]
	s_waitcnt lgkmcnt(0)
	v_cvt_f32_f16_sdwa v7, v4 dst_sel:DWORD dst_unused:UNUSED_PAD src0_sel:WORD_1
	v_cvt_f32_f16_e32 v6, v4
	v_cvt_f32_f16_sdwa v9, v5 dst_sel:DWORD dst_unused:UNUSED_PAD src0_sel:WORD_1
	v_cvt_f32_f16_e32 v8, v5
	v_pk_fma_f32 v[6:7], v[2:3], v[6:7], 0 op_sel_hi:[0,1,0]
	v_mov_b32_e32 v2, v3
	v_pk_fma_f32 v[2:3], v[2:3], v[8:9], v[6:7] op_sel_hi:[0,1,1]
	global_store_dwordx2 v[0:1], v[2:3], off
	v_mov_b32_e32 v0, 0
.LBB29_154:                             ;   in Loop: Header=BB29_14 Depth=1
	s_or_b64 exec, exec, s[76:77]
	v_cmp_gt_i32_e64 s[8:9], s66, v0
	s_mov_b64 s[76:77], -1
	s_and_saveexec_b64 s[78:79], s[8:9]
; %bb.155:                              ;   in Loop: Header=BB29_14 Depth=1
	v_cmp_eq_u32_e64 s[8:9], 0, v0
	s_orn2_b64 s[76:77], s[8:9], exec
; %bb.156:                              ;   in Loop: Header=BB29_14 Depth=1
	s_or_b64 exec, exec, s[78:79]
	s_and_b64 exec, exec, s[76:77]
	s_cbranch_execz .LBB29_224
; %bb.157:                              ;   in Loop: Header=BB29_14 Depth=1
	buffer_load_dword v0, off, s[96:99], 0 offset:8 ; 4-byte Folded Reload
	s_waitcnt vmcnt(0)
	v_add_u32_e32 v1, s95, v0
	v_cmp_gt_i32_e64 s[8:9], s28, v1
	s_and_b64 s[8:9], s[8:9], vcc
	v_mov_b32_e32 v0, 0x47
	s_and_saveexec_b64 s[76:77], s[8:9]
	s_cbranch_execz .LBB29_159
; %bb.158:                              ;   in Loop: Header=BB29_14 Depth=1
	v_mad_u64_u32 v[0:1], s[8:9], v1, s29, v[62:63]
	buffer_load_dword v1, off, s[96:99], 0 offset:84 ; 4-byte Folded Reload
	v_lshl_add_u32 v0, v0, 7, v220
	v_mov_b32_e32 v6, s6
	s_waitcnt vmcnt(0)
	v_add_u32_e32 v1, 0, v1
	ds_read2st64_b32 v[2:3], v1 offset0:1 offset1:18
	buffer_load_dword v1, off, s[96:99], 0 offset:88 ; 4-byte Folded Reload
	s_waitcnt vmcnt(0)
	ds_read2st64_b32 v[4:5], v1 offset1:17
	v_ashrrev_i32_e32 v1, 31, v0
	v_lshlrev_b64 v[0:1], 3, v[0:1]
	v_add_co_u32_e64 v0, s[8:9], s7, v0
	v_addc_co_u32_e64 v1, s[8:9], v6, v1, s[8:9]
	s_waitcnt lgkmcnt(0)
	v_cvt_f32_f16_sdwa v7, v4 dst_sel:DWORD dst_unused:UNUSED_PAD src0_sel:WORD_1
	v_cvt_f32_f16_e32 v6, v4
	v_cvt_f32_f16_sdwa v9, v5 dst_sel:DWORD dst_unused:UNUSED_PAD src0_sel:WORD_1
	v_cvt_f32_f16_e32 v8, v5
	v_pk_fma_f32 v[6:7], v[2:3], v[6:7], 0 op_sel_hi:[0,1,0]
	v_mov_b32_e32 v2, v3
	v_pk_fma_f32 v[2:3], v[2:3], v[8:9], v[6:7] op_sel_hi:[0,1,1]
	global_store_dwordx2 v[0:1], v[2:3], off
	v_mov_b32_e32 v0, 0
.LBB29_159:                             ;   in Loop: Header=BB29_14 Depth=1
	s_or_b64 exec, exec, s[76:77]
	v_cmp_gt_i32_e64 s[8:9], s66, v0
	s_mov_b64 s[76:77], -1
	s_and_saveexec_b64 s[78:79], s[8:9]
; %bb.160:                              ;   in Loop: Header=BB29_14 Depth=1
	v_cmp_eq_u32_e64 s[8:9], 0, v0
	s_orn2_b64 s[76:77], s[8:9], exec
; %bb.161:                              ;   in Loop: Header=BB29_14 Depth=1
	s_or_b64 exec, exec, s[78:79]
	s_and_b64 exec, exec, s[76:77]
	s_cbranch_execz .LBB29_224
; %bb.162:                              ;   in Loop: Header=BB29_14 Depth=1
	buffer_load_dword v0, off, s[96:99], 0 offset:92 ; 4-byte Folded Reload
	s_waitcnt vmcnt(0)
	v_add_u32_e32 v1, s95, v0
	v_cmp_gt_i32_e64 s[8:9], s28, v1
	s_and_b64 s[8:9], s[8:9], vcc
	v_mov_b32_e32 v0, 0x47
	s_and_saveexec_b64 s[76:77], s[8:9]
	s_cbranch_execz .LBB29_164
; %bb.163:                              ;   in Loop: Header=BB29_14 Depth=1
	v_mad_u64_u32 v[0:1], s[8:9], v1, s29, v[62:63]
	buffer_load_dword v1, off, s[96:99], 0 offset:96 ; 4-byte Folded Reload
	v_lshl_add_u32 v0, v0, 7, v220
	v_mov_b32_e32 v6, s6
	s_waitcnt vmcnt(0)
	v_add_u32_e32 v1, 0, v1
	ds_read2st64_b32 v[2:3], v1 offset0:1 offset1:18
	buffer_load_dword v1, off, s[96:99], 0 offset:100 ; 4-byte Folded Reload
	s_waitcnt vmcnt(0)
	ds_read2st64_b32 v[4:5], v1 offset1:17
	v_ashrrev_i32_e32 v1, 31, v0
	v_lshlrev_b64 v[0:1], 3, v[0:1]
	v_add_co_u32_e64 v0, s[8:9], s7, v0
	v_addc_co_u32_e64 v1, s[8:9], v6, v1, s[8:9]
	s_waitcnt lgkmcnt(0)
	v_cvt_f32_f16_sdwa v7, v4 dst_sel:DWORD dst_unused:UNUSED_PAD src0_sel:WORD_1
	v_cvt_f32_f16_e32 v6, v4
	v_cvt_f32_f16_sdwa v9, v5 dst_sel:DWORD dst_unused:UNUSED_PAD src0_sel:WORD_1
	v_cvt_f32_f16_e32 v8, v5
	v_pk_fma_f32 v[6:7], v[2:3], v[6:7], 0 op_sel_hi:[0,1,0]
	v_mov_b32_e32 v2, v3
	v_pk_fma_f32 v[2:3], v[2:3], v[8:9], v[6:7] op_sel_hi:[0,1,1]
	global_store_dwordx2 v[0:1], v[2:3], off
	v_mov_b32_e32 v0, 0
.LBB29_164:                             ;   in Loop: Header=BB29_14 Depth=1
	;; [unrolled: 46-line block ×13, first 2 shown]
	s_or_b64 exec, exec, s[76:77]
	v_cmp_gt_i32_e64 s[8:9], s66, v0
	s_mov_b64 s[76:77], -1
	s_and_saveexec_b64 s[78:79], s[8:9]
; %bb.220:                              ;   in Loop: Header=BB29_14 Depth=1
	v_cmp_eq_u32_e64 s[8:9], 0, v0
	s_orn2_b64 s[76:77], s[8:9], exec
; %bb.221:                              ;   in Loop: Header=BB29_14 Depth=1
	s_or_b64 exec, exec, s[78:79]
	s_and_b64 exec, exec, s[76:77]
	s_cbranch_execz .LBB29_224
; %bb.222:                              ;   in Loop: Header=BB29_14 Depth=1
	buffer_load_dword v0, off, s[96:99], 0 offset:240 ; 4-byte Folded Reload
	s_waitcnt vmcnt(0)
	v_add_u32_e32 v0, s95, v0
	v_cmp_gt_i32_e64 s[8:9], s28, v0
	s_and_b64 s[8:9], s[8:9], vcc
	s_and_b64 exec, exec, s[8:9]
	s_cbranch_execz .LBB29_224
; %bb.223:                              ;   in Loop: Header=BB29_14 Depth=1
	v_mad_u64_u32 v[0:1], s[8:9], v0, s29, v[62:63]
	buffer_load_dword v1, off, s[96:99], 0 offset:244 ; 4-byte Folded Reload
	v_lshl_add_u32 v0, v0, 7, v220
	v_mov_b32_e32 v6, s6
	s_waitcnt vmcnt(0)
	v_add_u32_e32 v1, 0, v1
	ds_read2st64_b32 v[2:3], v1 offset0:1 offset1:18
	buffer_load_dword v1, off, s[96:99], 0 offset:248 ; 4-byte Folded Reload
	s_waitcnt vmcnt(0)
	ds_read2st64_b32 v[4:5], v1 offset1:17
	v_ashrrev_i32_e32 v1, 31, v0
	v_lshlrev_b64 v[0:1], 3, v[0:1]
	v_add_co_u32_e32 v0, vcc, s7, v0
	v_addc_co_u32_e32 v1, vcc, v6, v1, vcc
	s_waitcnt lgkmcnt(0)
	v_cvt_f32_f16_sdwa v7, v4 dst_sel:DWORD dst_unused:UNUSED_PAD src0_sel:WORD_1
	v_cvt_f32_f16_e32 v6, v4
	v_cvt_f32_f16_sdwa v9, v5 dst_sel:DWORD dst_unused:UNUSED_PAD src0_sel:WORD_1
	v_cvt_f32_f16_e32 v8, v5
	v_pk_fma_f32 v[6:7], v[2:3], v[6:7], 0 op_sel_hi:[0,1,0]
	v_mov_b32_e32 v2, v3
	v_pk_fma_f32 v[2:3], v[2:3], v[8:9], v[6:7] op_sel_hi:[0,1,1]
	global_store_dwordx2 v[0:1], v[2:3], off
.LBB29_224:                             ;   in Loop: Header=BB29_14 Depth=1
	s_or_b64 exec, exec, s[74:75]
	s_barrier
	s_branch .LBB29_13
.LBB29_225:                             ;   in Loop: Header=BB29_14 Depth=1
	s_lshl_b32 s78, s94, 4
	v_add_u32_e32 v0, s78, v91
	v_cmp_gt_i32_e64 s[8:9], s80, v41
	v_cmp_le_i32_e32 vcc, s28, v0
	s_xor_b64 s[8:9], s[8:9], -1
	s_or_b64 s[74:75], vcc, s[8:9]
	s_and_saveexec_b64 s[76:77], s[74:75]
	s_xor_b64 s[74:75], exec, s[76:77]
	s_cbranch_execz .LBB29_227
; %bb.226:                              ;   in Loop: Header=BB29_14 Depth=1
	ds_write2st64_b32 v151, v221, v221 offset1:1
                                        ; implicit-def: $vgpr0
.LBB29_227:                             ;   in Loop: Header=BB29_14 Depth=1
	s_andn2_saveexec_b64 s[74:75], s[74:75]
	s_cbranch_execz .LBB29_229
; %bb.228:                              ;   in Loop: Header=BB29_14 Depth=1
	v_mul_lo_u32 v0, v0, s33
	v_add3_u32 v0, v0, v201, v92
	v_ashrrev_i32_e32 v1, 31, v0
	v_lshlrev_b64 v[0:1], 3, v[0:1]
	v_add_co_u32_e32 v0, vcc, s93, v0
	v_mov_b32_e32 v2, s92
	v_addc_co_u32_e32 v1, vcc, v2, v1, vcc
	global_load_dwordx2 v[2:3], v[0:1], off
	s_waitcnt vmcnt(0)
	v_cvt_f16_f32_e32 v2, v2
	global_load_dwordx2 v[0:1], v[0:1], off offset:512
	v_cvt_f16_f32_e32 v3, v3
	v_pack_b32_f16 v2, v2, v3
	v_pk_mul_f16 v2, v81, v2
	s_waitcnt vmcnt(0)
	v_cvt_f16_f32_e32 v0, v0
	v_cvt_f16_f32_e32 v1, v1
	v_pack_b32_f16 v0, v0, v1
	v_pk_mul_f16 v0, v81, v0
	ds_write2st64_b32 v151, v2, v0 offset1:1
.LBB29_229:                             ;   in Loop: Header=BB29_14 Depth=1
	s_or_b64 exec, exec, s[74:75]
	v_add_u32_e32 v0, s78, v197
	v_cmp_le_i32_e32 vcc, s28, v0
	s_or_b64 s[74:75], vcc, s[8:9]
	s_and_saveexec_b64 s[76:77], s[74:75]
	s_xor_b64 s[74:75], exec, s[76:77]
	s_cbranch_execz .LBB29_231
; %bb.230:                              ;   in Loop: Header=BB29_14 Depth=1
	ds_write2st64_b32 v198, v221, v221 offset1:1
                                        ; implicit-def: $vgpr0
.LBB29_231:                             ;   in Loop: Header=BB29_14 Depth=1
	s_andn2_saveexec_b64 s[74:75], s[74:75]
	s_cbranch_execz .LBB29_233
; %bb.232:                              ;   in Loop: Header=BB29_14 Depth=1
	v_mul_lo_u32 v0, v0, s33
	v_add3_u32 v0, v0, v201, v92
	v_ashrrev_i32_e32 v1, 31, v0
	v_lshlrev_b64 v[0:1], 3, v[0:1]
	v_add_co_u32_e32 v0, vcc, s93, v0
	v_mov_b32_e32 v2, s92
	v_addc_co_u32_e32 v1, vcc, v2, v1, vcc
	global_load_dwordx2 v[2:3], v[0:1], off
	s_waitcnt vmcnt(0)
	v_cvt_f16_f32_e32 v2, v2
	global_load_dwordx2 v[0:1], v[0:1], off offset:512
	v_cvt_f16_f32_e32 v3, v3
	v_pack_b32_f16 v2, v2, v3
	v_pk_mul_f16 v2, v81, v2
	s_waitcnt vmcnt(0)
	v_cvt_f16_f32_e32 v0, v0
	v_cvt_f16_f32_e32 v1, v1
	v_pack_b32_f16 v0, v0, v1
	v_pk_mul_f16 v0, v81, v0
	ds_write2st64_b32 v198, v2, v0 offset1:1
.LBB29_233:                             ;   in Loop: Header=BB29_14 Depth=1
	s_or_b64 exec, exec, s[74:75]
	v_add_u32_e32 v0, s78, v199
	v_cmp_le_i32_e32 vcc, s28, v0
	s_or_b64 s[74:75], vcc, s[8:9]
	s_and_saveexec_b64 s[76:77], s[74:75]
	s_xor_b64 s[74:75], exec, s[76:77]
	s_cbranch_execz .LBB29_235
; %bb.234:                              ;   in Loop: Header=BB29_14 Depth=1
	v_add_u32_e32 v0, 0x80, v198
	ds_write2st64_b32 v0, v221, v221 offset0:16 offset1:17
                                        ; implicit-def: $vgpr0
.LBB29_235:                             ;   in Loop: Header=BB29_14 Depth=1
	s_andn2_saveexec_b64 s[74:75], s[74:75]
	s_cbranch_execz .LBB29_237
; %bb.236:                              ;   in Loop: Header=BB29_14 Depth=1
	v_mul_lo_u32 v0, v0, s33
	v_add3_u32 v0, v0, v201, v92
	v_ashrrev_i32_e32 v1, 31, v0
	v_lshlrev_b64 v[0:1], 3, v[0:1]
	v_add_co_u32_e32 v0, vcc, s93, v0
	v_mov_b32_e32 v2, s92
	v_addc_co_u32_e32 v1, vcc, v2, v1, vcc
	global_load_dwordx2 v[2:3], v[0:1], off
	s_waitcnt vmcnt(0)
	v_cvt_f16_f32_e32 v2, v2
	global_load_dwordx2 v[0:1], v[0:1], off offset:512
	v_cvt_f16_f32_e32 v3, v3
	v_pack_b32_f16 v2, v2, v3
	v_pk_mul_f16 v2, v81, v2
	s_waitcnt vmcnt(0)
	v_cvt_f16_f32_e32 v0, v0
	v_cvt_f16_f32_e32 v1, v1
	v_pack_b32_f16 v0, v0, v1
	v_pk_mul_f16 v0, v81, v0
	v_add_u32_e32 v1, 0x80, v198
	ds_write2st64_b32 v1, v2, v0 offset0:16 offset1:17
.LBB29_237:                             ;   in Loop: Header=BB29_14 Depth=1
	s_or_b64 exec, exec, s[74:75]
	v_add_u32_e32 v0, s78, v194
	v_cmp_le_i32_e32 vcc, s28, v0
	s_or_b64 s[74:75], vcc, s[8:9]
	s_and_saveexec_b64 s[76:77], s[74:75]
	s_xor_b64 s[74:75], exec, s[76:77]
	s_cbranch_execz .LBB29_239
; %bb.238:                              ;   in Loop: Header=BB29_14 Depth=1
	ds_write2st64_b32 v198, v221, v221 offset0:33 offset1:34
                                        ; implicit-def: $vgpr0
.LBB29_239:                             ;   in Loop: Header=BB29_14 Depth=1
	s_andn2_saveexec_b64 s[74:75], s[74:75]
	s_cbranch_execz .LBB29_241
; %bb.240:                              ;   in Loop: Header=BB29_14 Depth=1
	v_mul_lo_u32 v0, v0, s33
	v_add3_u32 v0, v0, v201, v92
	v_ashrrev_i32_e32 v1, 31, v0
	v_lshlrev_b64 v[0:1], 3, v[0:1]
	v_add_co_u32_e32 v0, vcc, s93, v0
	v_mov_b32_e32 v2, s92
	v_addc_co_u32_e32 v1, vcc, v2, v1, vcc
	global_load_dwordx2 v[2:3], v[0:1], off
	s_waitcnt vmcnt(0)
	v_cvt_f16_f32_e32 v2, v2
	global_load_dwordx2 v[0:1], v[0:1], off offset:512
	v_cvt_f16_f32_e32 v3, v3
	v_pack_b32_f16 v2, v2, v3
	v_pk_mul_f16 v2, v81, v2
	s_waitcnt vmcnt(0)
	v_cvt_f16_f32_e32 v0, v0
	v_cvt_f16_f32_e32 v1, v1
	v_pack_b32_f16 v0, v0, v1
	v_pk_mul_f16 v0, v81, v0
	ds_write2st64_b32 v198, v2, v0 offset0:33 offset1:34
.LBB29_241:                             ;   in Loop: Header=BB29_14 Depth=1
	s_or_b64 exec, exec, s[74:75]
	v_add_u32_e32 v0, s78, v195
	v_cmp_le_i32_e32 vcc, s28, v0
	s_or_b64 s[74:75], vcc, s[8:9]
	s_and_saveexec_b64 s[76:77], s[74:75]
	s_xor_b64 s[74:75], exec, s[76:77]
	s_cbranch_execz .LBB29_243
; %bb.242:                              ;   in Loop: Header=BB29_14 Depth=1
	v_add_u32_e32 v0, 0x80, v198
	ds_write2st64_b32 v0, v221, v221 offset0:49 offset1:50
                                        ; implicit-def: $vgpr0
.LBB29_243:                             ;   in Loop: Header=BB29_14 Depth=1
	s_andn2_saveexec_b64 s[74:75], s[74:75]
	s_cbranch_execz .LBB29_245
; %bb.244:                              ;   in Loop: Header=BB29_14 Depth=1
	v_mul_lo_u32 v0, v0, s33
	v_add3_u32 v0, v0, v201, v92
	v_ashrrev_i32_e32 v1, 31, v0
	v_lshlrev_b64 v[0:1], 3, v[0:1]
	v_add_co_u32_e32 v0, vcc, s93, v0
	v_mov_b32_e32 v2, s92
	v_addc_co_u32_e32 v1, vcc, v2, v1, vcc
	global_load_dwordx2 v[2:3], v[0:1], off
	s_waitcnt vmcnt(0)
	v_cvt_f16_f32_e32 v2, v2
	global_load_dwordx2 v[0:1], v[0:1], off offset:512
	v_cvt_f16_f32_e32 v3, v3
	v_pack_b32_f16 v2, v2, v3
	v_pk_mul_f16 v2, v81, v2
	s_waitcnt vmcnt(0)
	v_cvt_f16_f32_e32 v0, v0
	v_cvt_f16_f32_e32 v1, v1
	v_pack_b32_f16 v0, v0, v1
	v_pk_mul_f16 v0, v81, v0
	v_add_u32_e32 v1, 0x80, v198
	ds_write2st64_b32 v1, v2, v0 offset0:49 offset1:50
.LBB29_245:                             ;   in Loop: Header=BB29_14 Depth=1
	s_or_b64 exec, exec, s[74:75]
	v_add_u32_e32 v0, s78, v196
	v_cmp_le_i32_e32 vcc, s28, v0
	s_or_b64 s[74:75], vcc, s[8:9]
	s_and_saveexec_b64 s[76:77], s[74:75]
	s_xor_b64 s[74:75], exec, s[76:77]
	s_cbranch_execz .LBB29_247
; %bb.246:                              ;   in Loop: Header=BB29_14 Depth=1
	ds_write2st64_b32 v198, v221, v221 offset0:66 offset1:67
                                        ; implicit-def: $vgpr0
.LBB29_247:                             ;   in Loop: Header=BB29_14 Depth=1
	s_andn2_saveexec_b64 s[74:75], s[74:75]
	s_cbranch_execz .LBB29_249
; %bb.248:                              ;   in Loop: Header=BB29_14 Depth=1
	v_mul_lo_u32 v0, v0, s33
	v_add3_u32 v0, v0, v201, v92
	v_ashrrev_i32_e32 v1, 31, v0
	v_lshlrev_b64 v[0:1], 3, v[0:1]
	v_add_co_u32_e32 v0, vcc, s93, v0
	v_mov_b32_e32 v2, s92
	v_addc_co_u32_e32 v1, vcc, v2, v1, vcc
	global_load_dwordx2 v[2:3], v[0:1], off
	s_waitcnt vmcnt(0)
	v_cvt_f16_f32_e32 v2, v2
	global_load_dwordx2 v[0:1], v[0:1], off offset:512
	v_cvt_f16_f32_e32 v3, v3
	v_pack_b32_f16 v2, v2, v3
	v_pk_mul_f16 v2, v81, v2
	s_waitcnt vmcnt(0)
	v_cvt_f16_f32_e32 v0, v0
	v_cvt_f16_f32_e32 v1, v1
	v_pack_b32_f16 v0, v0, v1
	v_pk_mul_f16 v0, v81, v0
	ds_write2st64_b32 v198, v2, v0 offset0:66 offset1:67
.LBB29_249:                             ;   in Loop: Header=BB29_14 Depth=1
	s_or_b64 exec, exec, s[74:75]
	v_add_u32_e32 v0, s78, v191
	v_cmp_le_i32_e32 vcc, s28, v0
	s_or_b64 s[74:75], vcc, s[8:9]
	s_and_saveexec_b64 s[76:77], s[74:75]
	s_xor_b64 s[74:75], exec, s[76:77]
	s_cbranch_execz .LBB29_251
; %bb.250:                              ;   in Loop: Header=BB29_14 Depth=1
	v_add_u32_e32 v0, 0x80, v198
	ds_write2st64_b32 v0, v221, v221 offset0:82 offset1:83
                                        ; implicit-def: $vgpr0
.LBB29_251:                             ;   in Loop: Header=BB29_14 Depth=1
	s_andn2_saveexec_b64 s[74:75], s[74:75]
	s_cbranch_execz .LBB29_253
; %bb.252:                              ;   in Loop: Header=BB29_14 Depth=1
	v_mul_lo_u32 v0, v0, s33
	v_add3_u32 v0, v0, v201, v92
	v_ashrrev_i32_e32 v1, 31, v0
	v_lshlrev_b64 v[0:1], 3, v[0:1]
	v_add_co_u32_e32 v0, vcc, s93, v0
	v_mov_b32_e32 v2, s92
	v_addc_co_u32_e32 v1, vcc, v2, v1, vcc
	global_load_dwordx2 v[2:3], v[0:1], off
	s_waitcnt vmcnt(0)
	v_cvt_f16_f32_e32 v2, v2
	global_load_dwordx2 v[0:1], v[0:1], off offset:512
	v_cvt_f16_f32_e32 v3, v3
	v_pack_b32_f16 v2, v2, v3
	v_pk_mul_f16 v2, v81, v2
	s_waitcnt vmcnt(0)
	v_cvt_f16_f32_e32 v0, v0
	v_cvt_f16_f32_e32 v1, v1
	v_pack_b32_f16 v0, v0, v1
	v_pk_mul_f16 v0, v81, v0
	v_add_u32_e32 v1, 0x80, v198
	ds_write2st64_b32 v1, v2, v0 offset0:82 offset1:83
.LBB29_253:                             ;   in Loop: Header=BB29_14 Depth=1
	s_or_b64 exec, exec, s[74:75]
	v_add_u32_e32 v0, s78, v192
	v_cmp_le_i32_e32 vcc, s28, v0
	s_or_b64 s[8:9], vcc, s[8:9]
	s_and_saveexec_b64 s[74:75], s[8:9]
	s_xor_b64 s[8:9], exec, s[74:75]
	s_cbranch_execz .LBB29_255
; %bb.254:                              ;   in Loop: Header=BB29_14 Depth=1
	ds_write2st64_b32 v198, v221, v221 offset0:99 offset1:100
                                        ; implicit-def: $vgpr0
.LBB29_255:                             ;   in Loop: Header=BB29_14 Depth=1
	s_andn2_saveexec_b64 s[8:9], s[8:9]
	s_cbranch_execz .LBB29_257
; %bb.256:                              ;   in Loop: Header=BB29_14 Depth=1
	v_mul_lo_u32 v0, v0, s33
	v_add3_u32 v0, v0, v201, v92
	v_ashrrev_i32_e32 v1, 31, v0
	v_lshlrev_b64 v[0:1], 3, v[0:1]
	v_add_co_u32_e32 v0, vcc, s93, v0
	v_mov_b32_e32 v2, s92
	v_addc_co_u32_e32 v1, vcc, v2, v1, vcc
	global_load_dwordx2 v[2:3], v[0:1], off
	s_waitcnt vmcnt(0)
	v_cvt_f16_f32_e32 v2, v2
	global_load_dwordx2 v[0:1], v[0:1], off offset:512
	v_cvt_f16_f32_e32 v3, v3
	v_pack_b32_f16 v2, v2, v3
	v_pk_mul_f16 v2, v81, v2
	s_waitcnt vmcnt(0)
	v_cvt_f16_f32_e32 v0, v0
	v_cvt_f16_f32_e32 v1, v1
	v_pack_b32_f16 v0, v0, v1
	v_pk_mul_f16 v0, v81, v0
	ds_write2st64_b32 v198, v2, v0 offset0:99 offset1:100
.LBB29_257:                             ;   in Loop: Header=BB29_14 Depth=1
	s_or_b64 exec, exec, s[8:9]
	s_waitcnt lgkmcnt(0)
	s_barrier
	ds_read2_b64 v[30:33], v93 offset1:4
	ds_read2_b64 v[26:29], v93 offset0:8 offset1:12
	ds_read2_b64 v[22:25], v93 offset0:16 offset1:20
	ds_read2_b64 v[18:21], v93 offset0:24 offset1:28
	ds_read2_b64 v[14:17], v93 offset0:32 offset1:36
	ds_read2_b64 v[10:13], v93 offset0:40 offset1:44
	ds_read2_b64 v[6:9], v93 offset0:48 offset1:52
	ds_read2_b64 v[2:5], v93 offset0:56 offset1:60
	v_add_u32_e32 v0, s78, v94
	v_mul_hi_u32 v1, s44, v0
	v_add_u32_e32 v1, v0, v1
	v_lshrrev_b32_e32 v1, s45, v1
	v_mul_lo_u32 v1, v1, s28
	s_cmp_gt_i32 s83, 1
	v_sub_u32_e32 v180, v0, v1
	s_waitcnt lgkmcnt(0)
	s_barrier
	s_cbranch_scc1 .LBB29_259
; %bb.258:                              ;   in Loop: Header=BB29_14 Depth=1
	v_mbcnt_hi_u32_b32 v187, -1, v188
	v_and_b32_e32 v0, 64, v187
	s_mov_b32 s74, 0
	v_add_u32_e32 v182, 64, v0
	v_xor_b32_e32 v183, 32, v187
	v_xor_b32_e32 v184, 16, v187
	s_mov_b64 s[8:9], 0
	s_mov_b32 s75, 0xfeffffff
	s_branch .LBB29_260
.LBB29_259:                             ;   in Loop: Header=BB29_14 Depth=1
	s_mov_b64 s[8:9], -1
                                        ; implicit-def: $sgpr74
                                        ; implicit-def: $sgpr75
                                        ; implicit-def: $vgpr187
                                        ; implicit-def: $vgpr182
                                        ; implicit-def: $vgpr183
                                        ; implicit-def: $vgpr184
.LBB29_260:                             ;   in Loop: Header=BB29_14 Depth=1
	s_andn2_b64 vcc, exec, s[8:9]
	v_mov_b32_e32 v181, s74
	v_mov_b32_e32 v179, s74
	;; [unrolled: 1-line block ×34, first 2 shown]
	s_cbranch_vccnz .LBB29_263
; %bb.261:                              ;   in Loop: Header=BB29_14 Depth=1
	buffer_load_dword v34, off, s[96:99], 0 offset:12 ; 4-byte Folded Reload
	v_mbcnt_hi_u32_b32 v187, -1, v188
	v_and_b32_e32 v0, 64, v187
	v_add_u32_e32 v182, 64, v0
	v_xor_b32_e32 v183, 32, v187
	v_cmp_lt_i32_e32 vcc, v183, v182
	v_xor_b32_e32 v184, 16, v187
	v_cndmask_b32_e32 v0, v187, v183, vcc
	v_cmp_lt_i32_e32 vcc, v184, v182
	v_readlane_b32 s8, v255, 23
	v_lshlrev_b32_e32 v177, 2, v0
	v_cndmask_b32_e32 v0, v187, v184, vcc
	v_readlane_b32 s9, v255, 24
	v_lshlrev_b32_e32 v178, 2, v0
	v_mad_i64_i32 v[0:1], s[8:9], s8, v180, v[64:65]
	s_add_i32 s74, s83, -1
	s_add_u32 s8, s64, s65
	s_addc_u32 s9, s60, s91
	v_mov_b32_e32 v90, 0
	v_mov_b32_e32 v179, 0
	;; [unrolled: 1-line block ×34, first 2 shown]
	s_waitcnt vmcnt(0)
	v_add_co_u32_e32 v64, vcc, v34, v0
	buffer_load_dword v0, off, s[96:99], 0 offset:16 ; 4-byte Folded Reload
	buffer_load_dword v34, off, s[96:99], 0 offset:28 ; 4-byte Folded Reload
	s_waitcnt vmcnt(1)
	v_addc_co_u32_e32 v65, vcc, v0, v1, vcc
	buffer_load_dword v1, off, s[96:99], 0 offset:20 ; 4-byte Folded Reload
	v_mov_b32_e32 v0, s9
	s_waitcnt vmcnt(0)
	v_add_co_u32_e32 v68, vcc, s8, v1
	buffer_load_dword v1, off, s[96:99], 0 offset:24 ; 4-byte Folded Reload
	s_waitcnt vmcnt(0)
	v_addc_co_u32_e32 v1, vcc, v1, v0, vcc
	v_add_co_u32_e32 v70, vcc, s8, v34
	buffer_load_dword v34, off, s[96:99], 0 offset:32 ; 4-byte Folded Reload
	s_waitcnt vmcnt(0)
	v_addc_co_u32_e32 v41, vcc, v34, v0, vcc
	buffer_load_dword v34, off, s[96:99], 0 offset:36 ; 4-byte Folded Reload
	s_waitcnt vmcnt(0)
	v_add_co_u32_e32 v72, vcc, s8, v34
	buffer_load_dword v34, off, s[96:99], 0 offset:40 ; 4-byte Folded Reload
	s_waitcnt vmcnt(0)
	v_addc_co_u32_e32 v59, vcc, v34, v0, vcc
	buffer_load_dword v34, off, s[96:99], 0 offset:44 ; 4-byte Folded Reload
	s_waitcnt vmcnt(0)
	v_add_co_u32_e32 v74, vcc, s8, v34
	buffer_load_dword v34, off, s[96:99], 0 offset:48 ; 4-byte Folded Reload
	s_add_u32 s8, s81, s62
	s_addc_u32 s9, s84, s63
	s_waitcnt vmcnt(0)
	v_addc_co_u32_e32 v61, vcc, v34, v0, vcc
	buffer_load_dword v34, off, s[96:99], 0 offset:52 ; 4-byte Folded Reload
	v_mov_b32_e32 v0, s9
	s_waitcnt vmcnt(0)
	v_add_co_u32_e32 v76, vcc, s8, v34
	buffer_load_dword v34, off, s[96:99], 0 offset:56 ; 4-byte Folded Reload
	s_waitcnt vmcnt(0)
	v_addc_co_u32_e32 v63, vcc, v34, v0, vcc
	buffer_load_dword v34, off, s[96:99], 0 offset:60 ; 4-byte Folded Reload
	s_waitcnt vmcnt(0)
	v_add_co_u32_e32 v78, vcc, s8, v34
	buffer_load_dword v34, off, s[96:99], 0 offset:64 ; 4-byte Folded Reload
	s_waitcnt vmcnt(0)
	v_addc_co_u32_e32 v67, vcc, v34, v0, vcc
	buffer_load_dword v34, off, s[96:99], 0 offset:68 ; 4-byte Folded Reload
	s_waitcnt vmcnt(0)
	v_add_co_u32_e32 v80, vcc, s8, v34
	buffer_load_dword v34, off, s[96:99], 0 offset:72 ; 4-byte Folded Reload
	s_waitcnt vmcnt(0)
	v_addc_co_u32_e32 v69, vcc, v34, v0, vcc
	v_mov_b32_e32 v34, v218
	v_add_co_u32_e32 v82, vcc, s8, v34
	v_mov_b32_e32 v34, v219
	v_addc_co_u32_e32 v71, vcc, v34, v0, vcc
	s_mov_b32 s8, s74
.LBB29_262:                             ;   Parent Loop BB29_14 Depth=1
                                        ; =>  This Inner Loop Header: Depth=2
	global_load_dword v34, v[64:65], off
	v_mov_b32_e32 v203, v66
	v_add_u32_e32 v66, 0x4000, v96
	v_mov_b32_e32 v0, v179
	s_add_i32 s8, s8, -1
	s_cmp_lg_u32 s8, 0
	s_waitcnt vmcnt(0)
	ds_write_b32 v148, v34 offset:33792
	v_add_co_u32_e32 v34, vcc, v76, v58
	v_addc_co_u32_e32 v35, vcc, 0, v63, vcc
	global_load_dwordx4 v[34:37], v[34:35], off
	s_waitcnt vmcnt(0)
	ds_write_b128 v95, v[34:37]
	v_add_co_u32_e32 v34, vcc, v78, v58
	v_addc_co_u32_e32 v35, vcc, 0, v67, vcc
	global_load_dwordx4 v[34:37], v[34:35], off
	s_waitcnt vmcnt(0)
	ds_write_b128 v222, v[34:37]
	;; [unrolled: 5-line block ×4, first 2 shown]
	s_waitcnt lgkmcnt(0)
	s_barrier
	ds_read2_b64 v[34:37], v96 offset1:4
	s_waitcnt lgkmcnt(0)
	v_mfma_f32_16x16x16f16 v[204:207], v[34:35], v[30:31], 0
	v_mfma_f32_16x16x16f16 v[34:37], v[36:37], v[32:33], v[204:207]
	s_nop 7
	s_nop 1
	ds_read2_b64 v[204:207], v96 offset0:8 offset1:12
	s_waitcnt lgkmcnt(0)
	v_mfma_f32_16x16x16f16 v[34:37], v[204:205], v[26:27], v[34:37]
	v_mfma_f32_16x16x16f16 v[34:37], v[206:207], v[28:29], v[34:37]
	ds_read2_b64 v[204:207], v96 offset0:16 offset1:20
	s_waitcnt lgkmcnt(0)
	v_mfma_f32_16x16x16f16 v[34:37], v[204:205], v[22:23], v[34:37]
	v_mfma_f32_16x16x16f16 v[34:37], v[206:207], v[24:25], v[34:37]
	;; [unrolled: 4-line block ×8, first 2 shown]
	s_nop 7
	s_nop 1
	ds_read2_b64 v[208:211], v66 offset0:72 offset1:76
	s_waitcnt lgkmcnt(0)
	v_mfma_f32_16x16x16f16 v[204:207], v[208:209], v[26:27], v[204:207]
	v_mfma_f32_16x16x16f16 v[204:207], v[210:211], v[28:29], v[204:207]
	ds_read2_b64 v[208:211], v66 offset0:80 offset1:84
	s_waitcnt lgkmcnt(0)
	v_mfma_f32_16x16x16f16 v[204:207], v[208:209], v[22:23], v[204:207]
	v_mfma_f32_16x16x16f16 v[204:207], v[210:211], v[24:25], v[204:207]
	;; [unrolled: 4-line block ×6, first 2 shown]
	ds_read2_b64 v[208:211], v66 offset0:120 offset1:124
	v_add_u32_e32 v66, 0x8400, v97
	s_waitcnt lgkmcnt(0)
	s_barrier
	v_mfma_f32_16x16x16f16 v[204:207], v[208:209], v[2:3], v[204:207]
	ds_read2_b32 v[208:209], v66 offset1:1
	ds_read_b32 v66, v149 offset:33792
	ds_read_b32 v179, v150 offset:33792
	v_mfma_f32_16x16x16f16 v[204:207], v[210:211], v[4:5], v[204:207]
	s_waitcnt lgkmcnt(2)
	v_cvt_f32_f16_e32 v210, v208
	v_cvt_f32_f16_sdwa v211, v208 dst_sel:DWORD dst_unused:UNUSED_PAD src0_sel:WORD_1
	v_pk_add_f32 v[34:35], v[34:35], v[210:211]
	v_add_f32_e32 v208, 0x40051340, v34
	v_add_f32_e32 v210, 0x40051340, v35
	v_max3_f32 v212, v203, v208, v210
	s_waitcnt lgkmcnt(0)
	v_cvt_f32_f16_sdwa v211, v179 dst_sel:DWORD dst_unused:UNUSED_PAD src0_sel:WORD_1
	v_cvt_f32_f16_e32 v210, v179
	v_cvt_f32_f16_e32 v208, v209
	v_cvt_f32_f16_sdwa v209, v209 dst_sel:DWORD dst_unused:UNUSED_PAD src0_sel:WORD_1
	v_pk_add_f32 v[206:207], v[206:207], v[210:211]
	v_cvt_f32_f16_sdwa v211, v66 dst_sel:DWORD dst_unused:UNUSED_PAD src0_sel:WORD_1
	v_cvt_f32_f16_e32 v210, v66
	v_pk_add_f32 v[36:37], v[36:37], v[208:209]
	v_add_f32_e32 v208, 0x40051340, v36
	v_add_f32_e32 v209, 0x40051340, v37
	v_pk_add_f32 v[204:205], v[204:205], v[210:211]
	v_add_f32_e32 v66, 0x40051340, v204
	v_add_f32_e32 v210, 0x40051340, v205
	v_max3_f32 v208, v212, v208, v209
	v_add_f32_e32 v179, 0x40051340, v206
	v_add_f32_e32 v213, 0x40051340, v207
	v_max3_f32 v66, v208, v66, v210
	v_max3_f32 v66, v66, v179, v213
	ds_bpermute_b32 v179, v177, v66
	s_waitcnt lgkmcnt(0)
	v_max_f32_e32 v179, v179, v179
	v_max_f32_e32 v66, v66, v179
	ds_bpermute_b32 v179, v178, v66
	s_waitcnt lgkmcnt(0)
	v_max_f32_e32 v179, v179, v179
	v_max_f32_e32 v66, v66, v179
	v_pk_add_f32 v[34:35], v[34:35], v[66:67] op_sel_hi:[1,0] neg_lo:[0,1] neg_hi:[0,1]
	v_mul_f32_e32 v179, 0x3fb8aa3b, v35
	v_fma_f32 v208, v35, s43, -v179
	v_rndne_f32_e32 v209, v179
	v_fmac_f32_e32 v208, 0x32a5705f, v35
	v_sub_f32_e32 v179, v179, v209
	v_add_f32_e32 v179, v179, v208
	v_exp_f32_e32 v179, v179
	v_cvt_i32_f32_e32 v208, v209
	v_cmp_ngt_f32_e32 vcc, s67, v35
	v_ldexp_f32 v179, v179, v208
	v_cndmask_b32_e32 v179, 0, v179, vcc
	v_cmp_nlt_f32_e32 vcc, s34, v35
	v_mul_f32_e32 v35, 0x3fb8aa3b, v34
	v_cndmask_b32_e32 v208, v190, v179, vcc
	v_fma_f32 v179, v34, s43, -v35
	v_rndne_f32_e32 v209, v35
	v_fmac_f32_e32 v179, 0x32a5705f, v34
	v_sub_f32_e32 v35, v35, v209
	v_add_f32_e32 v35, v35, v179
	v_exp_f32_e32 v35, v35
	v_cvt_i32_f32_e32 v179, v209
	v_cmp_ngt_f32_e32 vcc, s67, v34
	v_ldexp_f32 v35, v35, v179
	v_cndmask_b32_e32 v35, 0, v35, vcc
	v_cmp_nlt_f32_e32 vcc, s34, v34
	v_cndmask_b32_e32 v209, v190, v35, vcc
	v_pk_add_f32 v[34:35], v[36:37], v[66:67] op_sel_hi:[1,0] neg_lo:[0,1] neg_hi:[0,1]
	v_mul_f32_e32 v36, 0x3fb8aa3b, v35
	v_fma_f32 v37, v35, s43, -v36
	v_rndne_f32_e32 v179, v36
	v_fmac_f32_e32 v37, 0x32a5705f, v35
	v_sub_f32_e32 v36, v36, v179
	v_add_f32_e32 v36, v36, v37
	v_exp_f32_e32 v36, v36
	v_cvt_i32_f32_e32 v37, v179
	v_cmp_ngt_f32_e32 vcc, s67, v35
	v_ldexp_f32 v36, v36, v37
	v_cndmask_b32_e32 v36, 0, v36, vcc
	v_cmp_nlt_f32_e32 vcc, s34, v35
	v_mul_f32_e32 v35, 0x3fb8aa3b, v34
	v_cndmask_b32_e32 v37, v190, v36, vcc
	v_fma_f32 v36, v34, s43, -v35
	v_rndne_f32_e32 v179, v35
	v_fmac_f32_e32 v36, 0x32a5705f, v34
	v_sub_f32_e32 v35, v35, v179
	v_add_f32_e32 v35, v35, v36
	v_exp_f32_e32 v35, v35
	v_cvt_i32_f32_e32 v36, v179
	v_cmp_ngt_f32_e32 vcc, s67, v34
	v_ldexp_f32 v35, v35, v36
	v_cndmask_b32_e32 v35, 0, v35, vcc
	v_cmp_nlt_f32_e32 vcc, s34, v34
	v_cndmask_b32_e32 v210, v190, v35, vcc
	;; [unrolled: 27-line block ×3, first 2 shown]
	v_pk_add_f32 v[34:35], v[206:207], v[66:67] op_sel_hi:[1,0] neg_lo:[0,1] neg_hi:[0,1]
	v_mul_f32_e32 v36, 0x3fb8aa3b, v35
	v_fma_f32 v179, v35, s43, -v36
	v_rndne_f32_e32 v204, v36
	v_fmac_f32_e32 v179, 0x32a5705f, v35
	v_sub_f32_e32 v36, v36, v204
	v_add_f32_e32 v36, v36, v179
	v_exp_f32_e32 v36, v36
	v_cvt_i32_f32_e32 v179, v204
	v_cmp_ngt_f32_e32 vcc, s67, v35
	v_ldexp_f32 v36, v36, v179
	v_cndmask_b32_e32 v36, 0, v36, vcc
	v_cmp_nlt_f32_e32 vcc, s34, v35
	v_cndmask_b32_e32 v35, v190, v36, vcc
	v_mul_f32_e32 v36, 0x3fb8aa3b, v34
	v_fma_f32 v179, v34, s43, -v36
	v_rndne_f32_e32 v204, v36
	v_fmac_f32_e32 v179, 0x32a5705f, v34
	v_sub_f32_e32 v36, v36, v204
	v_add_f32_e32 v36, v36, v179
	v_exp_f32_e32 v36, v36
	v_cvt_i32_f32_e32 v179, v204
	v_cmp_ngt_f32_e32 vcc, s67, v34
	v_ldexp_f32 v36, v36, v179
	v_cndmask_b32_e32 v36, 0, v36, vcc
	v_cmp_nlt_f32_e32 vcc, s34, v34
	v_add_f32_e32 v34, v209, v208
	v_add_f32_e32 v34, v210, v34
	;; [unrolled: 1-line block ×4, first 2 shown]
	v_cndmask_b32_e32 v207, v190, v36, vcc
	v_add_f32_e32 v34, v211, v34
	v_add_f32_e32 v34, v207, v34
	;; [unrolled: 1-line block ×3, first 2 shown]
	v_sub_f32_e32 v34, v203, v66
	v_mul_f32_e32 v36, 0x3fb8aa3b, v34
	v_fma_f32 v203, v34, s43, -v36
	v_rndne_f32_e32 v204, v36
	v_fmac_f32_e32 v203, 0x32a5705f, v34
	v_sub_f32_e32 v36, v36, v204
	v_add_f32_e32 v36, v36, v203
	v_exp_f32_e32 v36, v36
	v_cvt_i32_f32_e32 v203, v204
	v_cmp_ngt_f32_e32 vcc, s67, v34
	v_cvt_f16_f32_e32 v35, v35
	v_ldexp_f32 v36, v36, v203
	v_cndmask_b32_e32 v36, 0, v36, vcc
	v_cmp_nlt_f32_e32 vcc, s34, v34
	v_cndmask_b32_e32 v36, v190, v36, vcc
	v_cmp_le_f32_e32 vcc, s35, v34
	v_cndmask_b32_e32 v34, 0, v36, vcc
	v_fmac_f32_e32 v179, v0, v34
	v_cvt_f16_f32_e32 v34, v34
	v_cvt_f16_f32_e32 v36, v208
	v_add_co_u32_e32 v208, vcc, v68, v58
	v_pk_mul_f16 v206, v34, v176 op_sel_hi:[0,1]
	v_pk_mul_f16 v176, v34, v181 op_sel_hi:[0,1]
	;; [unrolled: 1-line block ×32, first 2 shown]
	v_cvt_f16_f32_e32 v34, v209
	v_addc_co_u32_e32 v209, vcc, 0, v1, vcc
	v_cvt_f16_f32_e32 v160, v212
	v_pack_b32_f16 v36, v34, v36
	v_cvt_f16_f32_e32 v34, v37
	v_cvt_f16_f32_e32 v37, v210
	v_add_co_u32_e32 v212, vcc, v70, v58
	v_addc_co_u32_e32 v213, vcc, 0, v41, vcc
	v_pack_b32_f16 v37, v37, v34
	v_cvt_f16_f32_e32 v34, v211
	global_load_dwordx4 v[208:211], v[208:209], off
	v_add_co_u32_e32 v214, vcc, v72, v58
	v_addc_co_u32_e32 v215, vcc, 0, v59, vcc
	v_add_co_u32_e32 v216, vcc, v74, v58
	v_addc_co_u32_e32 v217, vcc, 0, v61, vcc
	v_pack_b32_f16 v34, v160, v34
	v_cvt_f16_f32_e32 v160, v207
	v_add_co_u32_e32 v64, vcc, s90, v64
	v_addc_co_u32_e32 v65, vcc, 0, v65, vcc
	v_pack_b32_f16 v35, v160, v35
	v_add_co_u32_e32 v68, vcc, s68, v68
	s_waitcnt vmcnt(0)
	ds_write_b128 v95, v[208:211]
	global_load_dwordx4 v[208:211], v[212:213], off
	s_waitcnt vmcnt(0)
	ds_write_b128 v222, v[208:211]
	global_load_dwordx4 v[208:211], v[214:215], off
	;; [unrolled: 3-line block ×3, first 2 shown]
	s_waitcnt vmcnt(0)
	ds_write_b128 v224, v[208:211]
	s_waitcnt lgkmcnt(0)
	s_barrier
	ds_read_u16 v160, v99 offset:528
	ds_read_u16 v169, v99 offset:1056
	ds_read_u16 v175, v100
	ds_read_u16 v202, v100 offset:32
	v_cvt_f32_f16_e32 v208, v206
	v_cvt_f32_f16_sdwa v209, v206 dst_sel:DWORD dst_unused:UNUSED_PAD src0_sel:WORD_1
	v_cvt_f32_f16_e32 v210, v176
	s_waitcnt lgkmcnt(1)
	v_perm_b32 v207, v175, v169, s55
	ds_read_u16 v169, v98
	ds_read_u16 v212, v98 offset:32
	v_cvt_f32_f16_sdwa v211, v176 dst_sel:DWORD dst_unused:UNUSED_PAD src0_sel:WORD_1
	s_waitcnt lgkmcnt(1)
	v_perm_b32 v206, v160, v169, s55
	s_nop 1
	v_mfma_f32_16x16x16f16 v[206:209], v[206:207], v[36:37], v[208:211]
	ds_read_u16 v181, v98 offset:16896
	s_nop 5
	ds_read_u16 v210, v225 offset:528
	ds_read_u16 v211, v225 offset:1056
	;; [unrolled: 1-line block ×3, first 2 shown]
	s_waitcnt lgkmcnt(2)
	v_perm_b32 v210, v210, v181, s55
	s_waitcnt lgkmcnt(0)
	v_perm_b32 v211, v213, v211, s55
	v_cvt_f16_f32_e32 v160, v206
	v_cvt_f16_f32_e32 v169, v207
	;; [unrolled: 1-line block ×4, first 2 shown]
	v_cvt_f32_f16_e32 v206, v160
	v_cvt_f32_f16_e32 v207, v169
	;; [unrolled: 1-line block ×4, first 2 shown]
	s_nop 1
	v_mfma_f32_16x16x16f16 v[206:209], v[210:211], v[34:35], v[206:209]
	s_nop 7
	s_nop 2
	v_cvt_f16_f32_e32 v160, v206
	v_cvt_f16_f32_e32 v169, v207
	;; [unrolled: 1-line block ×4, first 2 shown]
	v_cvt_f32_f16_e32 v206, v174
	v_pack_b32_f16 v176, v160, v169
	ds_read_u16 v160, v226 offset:528
	ds_read_u16 v169, v226 offset:1056
	v_pack_b32_f16 v181, v175, v181
	v_cvt_f32_f16_sdwa v207, v174 dst_sel:DWORD dst_unused:UNUSED_PAD src0_sel:WORD_1
	v_cvt_f32_f16_e32 v208, v173
	s_waitcnt lgkmcnt(1)
	v_perm_b32 v174, v160, v212, s55
	s_waitcnt lgkmcnt(0)
	v_perm_b32 v175, v202, v169, s55
	v_cvt_f32_f16_sdwa v209, v173 dst_sel:DWORD dst_unused:UNUSED_PAD src0_sel:WORD_1
	s_nop 1
	v_mfma_f32_16x16x16f16 v[206:209], v[174:175], v[36:37], v[206:209]
	ds_read_u16 v202, v101 offset:16896
	ds_read_u16 v210, v131 offset:528
	;; [unrolled: 1-line block ×4, first 2 shown]
	s_waitcnt lgkmcnt(0)
	v_perm_b32 v175, v211, v175, s55
	s_nop 4
	v_cvt_f16_f32_e32 v174, v209
	v_cvt_f16_f32_e32 v160, v206
	;; [unrolled: 1-line block ×4, first 2 shown]
	v_cvt_f32_f16_e32 v209, v174
	v_perm_b32 v174, v210, v202, s55
	v_cvt_f32_f16_e32 v206, v160
	v_cvt_f32_f16_e32 v207, v169
	;; [unrolled: 1-line block ×3, first 2 shown]
	s_nop 1
	v_mfma_f32_16x16x16f16 v[206:209], v[174:175], v[34:35], v[206:209]
	s_nop 7
	s_nop 2
	v_cvt_f16_f32_e32 v160, v206
	v_cvt_f16_f32_e32 v169, v207
	;; [unrolled: 1-line block ×4, first 2 shown]
	v_cvt_f32_f16_e32 v206, v205
	v_pack_b32_f16 v174, v160, v169
	v_cvt_f32_f16_sdwa v207, v205 dst_sel:DWORD dst_unused:UNUSED_PAD src0_sel:WORD_1
	v_pack_b32_f16 v173, v173, v175
	ds_read_u16 v160, v98 offset:64
	ds_read_u16 v169, v228 offset:528
	;; [unrolled: 1-line block ×4, first 2 shown]
	v_cvt_f32_f16_e32 v208, v170
	v_cvt_f32_f16_sdwa v209, v170 dst_sel:DWORD dst_unused:UNUSED_PAD src0_sel:WORD_1
	s_waitcnt lgkmcnt(2)
	v_perm_b32 v210, v169, v160, s55
	s_waitcnt lgkmcnt(0)
	v_perm_b32 v211, v202, v175, s55
	s_nop 1
	v_mfma_f32_16x16x16f16 v[206:209], v[210:211], v[36:37], v[206:209]
	ds_read_u16 v202, v103 offset:16896
	ds_read_u16 v205, v132 offset:528
	ds_read_u16 v210, v229 offset:1056
	ds_read_u16 v211, v104 offset:16896
	s_waitcnt lgkmcnt(0)
	v_perm_b32 v211, v211, v210, s55
	v_perm_b32 v210, v205, v202, s55
	s_nop 3
	v_cvt_f16_f32_e32 v160, v206
	v_cvt_f16_f32_e32 v169, v207
	;; [unrolled: 1-line block ×4, first 2 shown]
	v_cvt_f32_f16_e32 v206, v160
	v_cvt_f32_f16_e32 v207, v169
	v_cvt_f32_f16_e32 v208, v170
	v_cvt_f32_f16_e32 v209, v175
	s_nop 1
	v_mfma_f32_16x16x16f16 v[206:209], v[210:211], v[34:35], v[206:209]
	s_nop 7
	s_nop 2
	v_cvt_f16_f32_e32 v160, v206
	v_cvt_f16_f32_e32 v169, v207
	;; [unrolled: 1-line block ×4, first 2 shown]
	v_cvt_f32_f16_e32 v206, v172
	v_pack_b32_f16 v170, v160, v169
	v_cvt_f32_f16_sdwa v207, v172 dst_sel:DWORD dst_unused:UNUSED_PAD src0_sel:WORD_1
	v_pack_b32_f16 v175, v175, v202
	ds_read_u16 v160, v98 offset:96
	ds_read_u16 v169, v230 offset:528
	;; [unrolled: 1-line block ×4, first 2 shown]
	v_cvt_f32_f16_e32 v208, v171
	v_cvt_f32_f16_sdwa v209, v171 dst_sel:DWORD dst_unused:UNUSED_PAD src0_sel:WORD_1
	s_waitcnt lgkmcnt(2)
	v_perm_b32 v210, v169, v160, s55
	s_waitcnt lgkmcnt(0)
	v_perm_b32 v211, v205, v202, s55
	s_nop 1
	v_mfma_f32_16x16x16f16 v[206:209], v[210:211], v[36:37], v[206:209]
	ds_read_u16 v202, v105 offset:16896
	ds_read_u16 v205, v133 offset:528
	;; [unrolled: 1-line block ×4, first 2 shown]
	s_waitcnt lgkmcnt(0)
	v_perm_b32 v211, v211, v210, s55
	v_perm_b32 v210, v205, v202, s55
	s_nop 3
	v_cvt_f16_f32_e32 v160, v206
	v_cvt_f16_f32_e32 v169, v207
	;; [unrolled: 1-line block ×4, first 2 shown]
	v_cvt_f32_f16_e32 v206, v160
	v_cvt_f32_f16_e32 v207, v169
	;; [unrolled: 1-line block ×4, first 2 shown]
	s_nop 1
	v_mfma_f32_16x16x16f16 v[206:209], v[210:211], v[34:35], v[206:209]
	s_nop 7
	s_nop 2
	v_cvt_f16_f32_e32 v160, v206
	v_cvt_f16_f32_e32 v169, v207
	;; [unrolled: 1-line block ×4, first 2 shown]
	v_cvt_f32_f16_e32 v206, v168
	v_pack_b32_f16 v172, v160, v169
	v_cvt_f32_f16_sdwa v207, v168 dst_sel:DWORD dst_unused:UNUSED_PAD src0_sel:WORD_1
	v_pack_b32_f16 v171, v171, v202
	ds_read_u16 v160, v98 offset:128
	ds_read_u16 v202, v232 offset:528
	;; [unrolled: 1-line block ×4, first 2 shown]
	v_cvt_f32_f16_e32 v208, v167
	v_cvt_f32_f16_sdwa v209, v167 dst_sel:DWORD dst_unused:UNUSED_PAD src0_sel:WORD_1
	s_waitcnt lgkmcnt(2)
	v_perm_b32 v168, v202, v160, s55
	s_waitcnt lgkmcnt(0)
	v_perm_b32 v169, v205, v169, s55
	ds_read_u16 v202, v107 offset:16896
	ds_read_u16 v205, v134 offset:528
	;; [unrolled: 1-line block ×4, first 2 shown]
	v_mfma_f32_16x16x16f16 v[206:209], v[168:169], v[36:37], v[206:209]
	s_nop 7
	s_nop 2
	v_cvt_f16_f32_e32 v168, v208
	v_cvt_f16_f32_e32 v169, v209
	;; [unrolled: 1-line block ×4, first 2 shown]
	v_cvt_f32_f16_e32 v208, v168
	v_cvt_f32_f16_e32 v209, v169
	s_waitcnt lgkmcnt(0)
	v_perm_b32 v169, v211, v210, s55
	v_perm_b32 v168, v205, v202, s55
	v_cvt_f32_f16_e32 v206, v160
	v_cvt_f32_f16_e32 v207, v167
	s_nop 1
	v_mfma_f32_16x16x16f16 v[206:209], v[168:169], v[34:35], v[206:209]
	s_nop 7
	s_nop 2
	v_cvt_f16_f32_e32 v160, v206
	v_cvt_f16_f32_e32 v167, v207
	v_cvt_f16_f32_e32 v169, v208
	v_cvt_f16_f32_e32 v202, v209
	v_cvt_f32_f16_e32 v206, v204
	v_pack_b32_f16 v168, v160, v167
	v_cvt_f32_f16_sdwa v207, v204 dst_sel:DWORD dst_unused:UNUSED_PAD src0_sel:WORD_1
	v_pack_b32_f16 v167, v169, v202
	ds_read_u16 v160, v98 offset:160
	ds_read_u16 v169, v234 offset:528
	ds_read_u16 v202, v234 offset:1056
	ds_read_u16 v205, v100 offset:160
	v_cvt_f32_f16_e32 v208, v164
	v_cvt_f32_f16_sdwa v209, v164 dst_sel:DWORD dst_unused:UNUSED_PAD src0_sel:WORD_1
	s_waitcnt lgkmcnt(2)
	v_perm_b32 v204, v169, v160, s55
	s_waitcnt lgkmcnt(0)
	v_perm_b32 v205, v205, v202, s55
	s_nop 1
	v_mfma_f32_16x16x16f16 v[204:207], v[204:205], v[36:37], v[206:209]
	s_nop 6
	ds_read_u16 v208, v109 offset:16896
	ds_read_u16 v210, v135 offset:528
	;; [unrolled: 1-line block ×4, first 2 shown]
	s_waitcnt lgkmcnt(2)
	v_perm_b32 v208, v210, v208, s55
	s_waitcnt lgkmcnt(0)
	v_perm_b32 v209, v211, v209, s55
	v_cvt_f16_f32_e32 v160, v204
	v_cvt_f16_f32_e32 v164, v205
	;; [unrolled: 1-line block ×4, first 2 shown]
	v_cvt_f32_f16_e32 v204, v160
	v_cvt_f32_f16_e32 v205, v164
	;; [unrolled: 1-line block ×4, first 2 shown]
	s_nop 1
	v_mfma_f32_16x16x16f16 v[204:207], v[208:209], v[34:35], v[204:207]
	s_nop 7
	s_nop 2
	v_cvt_f16_f32_e32 v160, v204
	v_cvt_f16_f32_e32 v164, v205
	;; [unrolled: 1-line block ×4, first 2 shown]
	v_cvt_f32_f16_e32 v204, v166
	v_pack_b32_f16 v164, v160, v164
	v_cvt_f32_f16_sdwa v205, v166 dst_sel:DWORD dst_unused:UNUSED_PAD src0_sel:WORD_1
	v_pack_b32_f16 v169, v169, v202
	ds_read_u16 v160, v98 offset:192
	ds_read_u16 v202, v236 offset:528
	ds_read_u16 v208, v236 offset:1056
	ds_read_u16 v209, v100 offset:192
	v_cvt_f32_f16_e32 v206, v165
	v_cvt_f32_f16_sdwa v207, v165 dst_sel:DWORD dst_unused:UNUSED_PAD src0_sel:WORD_1
	s_waitcnt lgkmcnt(0)
	v_perm_b32 v209, v209, v208, s55
	v_perm_b32 v208, v202, v160, s55
	s_nop 1
	v_mfma_f32_16x16x16f16 v[204:207], v[208:209], v[36:37], v[204:207]
	ds_read_u16 v208, v111 offset:16896
	ds_read_u16 v210, v136 offset:528
	;; [unrolled: 1-line block ×4, first 2 shown]
	s_waitcnt lgkmcnt(2)
	v_perm_b32 v208, v210, v208, s55
	s_waitcnt lgkmcnt(0)
	v_perm_b32 v209, v211, v209, s55
	s_nop 2
	v_cvt_f16_f32_e32 v160, v204
	v_cvt_f16_f32_e32 v165, v205
	;; [unrolled: 1-line block ×4, first 2 shown]
	v_cvt_f32_f16_e32 v204, v160
	v_cvt_f32_f16_e32 v205, v165
	v_cvt_f32_f16_e32 v206, v166
	v_cvt_f32_f16_e32 v207, v202
	s_nop 1
	v_mfma_f32_16x16x16f16 v[204:207], v[208:209], v[34:35], v[204:207]
	s_nop 7
	s_nop 2
	v_cvt_f16_f32_e32 v160, v204
	v_cvt_f16_f32_e32 v165, v205
	;; [unrolled: 1-line block ×4, first 2 shown]
	v_cvt_f32_f16_sdwa v205, v161 dst_sel:DWORD dst_unused:UNUSED_PAD src0_sel:WORD_1
	v_pack_b32_f16 v166, v160, v165
	v_cvt_f32_f16_e32 v206, v79
	v_pack_b32_f16 v165, v202, v204
	ds_read_u16 v160, v98 offset:224
	ds_read_u16 v202, v238 offset:528
	;; [unrolled: 1-line block ×4, first 2 shown]
	v_cvt_f32_f16_e32 v204, v161
	v_cvt_f32_f16_sdwa v207, v79 dst_sel:DWORD dst_unused:UNUSED_PAD src0_sel:WORD_1
	s_waitcnt lgkmcnt(2)
	v_perm_b32 v160, v202, v160, s55
	s_waitcnt lgkmcnt(0)
	v_perm_b32 v161, v209, v208, s55
	ds_read_u16 v208, v113 offset:16896
	ds_read_u16 v209, v137 offset:528
	ds_read_u16 v210, v239 offset:1056
	ds_read_u16 v211, v114 offset:16896
	v_mfma_f32_16x16x16f16 v[204:207], v[160:161], v[36:37], v[204:207]
	s_nop 7
	s_nop 2
	v_cvt_f16_f32_e32 v160, v205
	v_cvt_f16_f32_e32 v161, v206
	;; [unrolled: 1-line block ×4, first 2 shown]
	v_cvt_f32_f16_e32 v205, v160
	v_cvt_f32_f16_e32 v206, v161
	s_waitcnt lgkmcnt(0)
	v_perm_b32 v161, v211, v210, s55
	v_perm_b32 v160, v209, v208, s55
	v_cvt_f32_f16_e32 v204, v79
	v_cvt_f32_f16_e32 v207, v202
	s_nop 1
	v_mfma_f32_16x16x16f16 v[204:207], v[160:161], v[34:35], v[204:207]
	s_nop 7
	s_nop 2
	v_cvt_f16_f32_e32 v79, v204
	v_cvt_f16_f32_e32 v160, v205
	;; [unrolled: 1-line block ×4, first 2 shown]
	v_cvt_f32_f16_sdwa v205, v163 dst_sel:DWORD dst_unused:UNUSED_PAD src0_sel:WORD_1
	v_pack_b32_f16 v161, v79, v160
	v_cvt_f32_f16_e32 v206, v162
	v_pack_b32_f16 v79, v202, v204
	ds_read_u16 v160, v98 offset:256
	ds_read_u16 v202, v240 offset:528
	;; [unrolled: 1-line block ×4, first 2 shown]
	v_cvt_f32_f16_e32 v204, v163
	v_cvt_f32_f16_sdwa v207, v162 dst_sel:DWORD dst_unused:UNUSED_PAD src0_sel:WORD_1
	s_waitcnt lgkmcnt(2)
	v_perm_b32 v162, v202, v160, s55
	s_waitcnt lgkmcnt(0)
	v_perm_b32 v163, v209, v208, s55
	ds_read_u16 v208, v115 offset:16896
	ds_read_u16 v209, v138 offset:528
	;; [unrolled: 1-line block ×4, first 2 shown]
	v_mfma_f32_16x16x16f16 v[204:207], v[162:163], v[36:37], v[204:207]
	s_nop 7
	s_nop 2
	v_cvt_f16_f32_e32 v162, v205
	v_cvt_f16_f32_e32 v163, v206
	v_cvt_f16_f32_e32 v160, v204
	v_cvt_f16_f32_e32 v202, v207
	v_cvt_f32_f16_e32 v205, v162
	v_cvt_f32_f16_e32 v206, v163
	s_waitcnt lgkmcnt(0)
	v_perm_b32 v163, v211, v210, s55
	v_perm_b32 v162, v209, v208, s55
	v_cvt_f32_f16_e32 v204, v160
	v_cvt_f32_f16_e32 v207, v202
	s_nop 1
	v_mfma_f32_16x16x16f16 v[204:207], v[162:163], v[34:35], v[204:207]
	s_nop 7
	s_nop 2
	v_cvt_f16_f32_e32 v160, v204
	v_cvt_f16_f32_e32 v162, v205
	;; [unrolled: 1-line block ×4, first 2 shown]
	v_cvt_f32_f16_sdwa v205, v85 dst_sel:DWORD dst_unused:UNUSED_PAD src0_sel:WORD_1
	v_pack_b32_f16 v163, v160, v162
	v_cvt_f32_f16_e32 v206, v83
	v_pack_b32_f16 v162, v202, v204
	ds_read_u16 v160, v98 offset:288
	ds_read_u16 v202, v242 offset:528
	ds_read_u16 v208, v242 offset:1056
	ds_read_u16 v209, v100 offset:288
	v_cvt_f32_f16_e32 v204, v85
	v_cvt_f32_f16_sdwa v207, v83 dst_sel:DWORD dst_unused:UNUSED_PAD src0_sel:WORD_1
	s_waitcnt lgkmcnt(0)
	v_perm_b32 v209, v209, v208, s55
	v_perm_b32 v208, v202, v160, s55
	s_nop 1
	v_mfma_f32_16x16x16f16 v[204:207], v[208:209], v[36:37], v[204:207]
	ds_read_u16 v208, v117 offset:16896
	ds_read_u16 v210, v139 offset:528
	;; [unrolled: 1-line block ×4, first 2 shown]
	s_waitcnt lgkmcnt(2)
	v_perm_b32 v208, v210, v208, s55
	s_waitcnt lgkmcnt(0)
	v_perm_b32 v209, v211, v209, s55
	s_nop 2
	v_cvt_f16_f32_e32 v83, v204
	v_cvt_f16_f32_e32 v85, v205
	;; [unrolled: 1-line block ×4, first 2 shown]
	v_cvt_f32_f16_e32 v204, v83
	v_cvt_f32_f16_e32 v205, v85
	v_cvt_f32_f16_e32 v206, v160
	v_cvt_f32_f16_e32 v207, v202
	s_nop 1
	v_mfma_f32_16x16x16f16 v[204:207], v[208:209], v[34:35], v[204:207]
	s_nop 7
	s_nop 2
	v_cvt_f16_f32_e32 v83, v204
	v_cvt_f16_f32_e32 v85, v205
	v_cvt_f16_f32_e32 v160, v206
	v_cvt_f16_f32_e32 v202, v207
	v_cvt_f32_f16_e32 v204, v87
	v_pack_b32_f16 v85, v83, v85
	v_cvt_f32_f16_sdwa v205, v87 dst_sel:DWORD dst_unused:UNUSED_PAD src0_sel:WORD_1
	v_pack_b32_f16 v83, v160, v202
	ds_read_u16 v160, v98 offset:320
	ds_read_u16 v202, v244 offset:528
	ds_read_u16 v208, v244 offset:1056
	ds_read_u16 v209, v100 offset:320
	v_cvt_f32_f16_e32 v206, v86
	v_cvt_f32_f16_sdwa v207, v86 dst_sel:DWORD dst_unused:UNUSED_PAD src0_sel:WORD_1
	s_waitcnt lgkmcnt(2)
	v_perm_b32 v86, v202, v160, s55
	s_waitcnt lgkmcnt(0)
	v_perm_b32 v87, v209, v208, s55
	ds_read_u16 v208, v119 offset:16896
	ds_read_u16 v209, v140 offset:528
	ds_read_u16 v210, v245 offset:1056
	ds_read_u16 v211, v120 offset:16896
	v_mfma_f32_16x16x16f16 v[204:207], v[86:87], v[36:37], v[204:207]
	s_nop 7
	s_nop 2
	v_cvt_f16_f32_e32 v86, v204
	v_cvt_f16_f32_e32 v87, v205
	v_cvt_f16_f32_e32 v160, v206
	v_cvt_f16_f32_e32 v202, v207
	v_cvt_f32_f16_e32 v204, v86
	v_cvt_f32_f16_e32 v205, v87
	s_waitcnt lgkmcnt(0)
	v_perm_b32 v87, v211, v210, s55
	v_perm_b32 v86, v209, v208, s55
	v_cvt_f32_f16_e32 v206, v160
	v_cvt_f32_f16_e32 v207, v202
	s_nop 1
	v_mfma_f32_16x16x16f16 v[204:207], v[86:87], v[34:35], v[204:207]
	s_nop 7
	s_nop 2
	v_cvt_f16_f32_e32 v86, v204
	v_cvt_f16_f32_e32 v87, v205
	v_cvt_f16_f32_e32 v160, v206
	v_cvt_f16_f32_e32 v202, v207
	v_cvt_f32_f16_e32 v204, v89
	v_pack_b32_f16 v87, v86, v87
	v_cvt_f32_f16_sdwa v205, v89 dst_sel:DWORD dst_unused:UNUSED_PAD src0_sel:WORD_1
	v_pack_b32_f16 v86, v160, v202
	ds_read_u16 v160, v98 offset:352
	ds_read_u16 v202, v246 offset:528
	ds_read_u16 v208, v246 offset:1056
	ds_read_u16 v209, v100 offset:352
	v_cvt_f32_f16_e32 v206, v88
	v_cvt_f32_f16_sdwa v207, v88 dst_sel:DWORD dst_unused:UNUSED_PAD src0_sel:WORD_1
	s_waitcnt lgkmcnt(2)
	v_perm_b32 v88, v202, v160, s55
	s_waitcnt lgkmcnt(0)
	v_perm_b32 v89, v209, v208, s55
	ds_read_u16 v208, v121 offset:16896
	ds_read_u16 v209, v141 offset:528
	ds_read_u16 v210, v247 offset:1056
	ds_read_u16 v211, v122 offset:16896
	v_mfma_f32_16x16x16f16 v[204:207], v[88:89], v[36:37], v[204:207]
	s_nop 7
	s_nop 2
	v_cvt_f16_f32_e32 v88, v204
	v_cvt_f16_f32_e32 v89, v205
	v_cvt_f16_f32_e32 v160, v206
	v_cvt_f16_f32_e32 v202, v207
	v_cvt_f32_f16_e32 v204, v88
	v_cvt_f32_f16_e32 v205, v89
	s_waitcnt lgkmcnt(0)
	v_perm_b32 v89, v211, v210, s55
	v_perm_b32 v88, v209, v208, s55
	v_cvt_f32_f16_e32 v206, v160
	v_cvt_f32_f16_e32 v207, v202
	;; [unrolled: 40-line block ×3, first 2 shown]
	s_nop 1
	v_mfma_f32_16x16x16f16 v[204:207], v[158:159], v[34:35], v[204:207]
	s_nop 7
	s_nop 2
	v_cvt_f16_f32_e32 v158, v204
	v_cvt_f16_f32_e32 v159, v205
	;; [unrolled: 1-line block ×4, first 2 shown]
	v_cvt_f32_f16_e32 v204, v77
	v_pack_b32_f16 v159, v158, v159
	v_cvt_f32_f16_sdwa v205, v77 dst_sel:DWORD dst_unused:UNUSED_PAD src0_sel:WORD_1
	v_pack_b32_f16 v158, v160, v202
	ds_read_u16 v160, v98 offset:416
	ds_read_u16 v206, v250 offset:528
	;; [unrolled: 1-line block ×4, first 2 shown]
	v_cvt_f32_f16_e32 v202, v203
	v_cvt_f32_f16_sdwa v203, v203 dst_sel:DWORD dst_unused:UNUSED_PAD src0_sel:WORD_1
	s_waitcnt lgkmcnt(2)
	v_perm_b32 v206, v206, v160, s55
	s_waitcnt lgkmcnt(0)
	v_perm_b32 v207, v208, v207, s55
	s_nop 1
	v_mfma_f32_16x16x16f16 v[202:205], v[206:207], v[36:37], v[202:205]
	ds_read_u16 v206, v125 offset:16896
	ds_read_u16 v208, v143 offset:528
	;; [unrolled: 1-line block ×4, first 2 shown]
	s_waitcnt lgkmcnt(2)
	v_perm_b32 v206, v208, v206, s55
	s_waitcnt lgkmcnt(0)
	v_perm_b32 v207, v209, v207, s55
	s_nop 2
	v_cvt_f16_f32_e32 v77, v202
	v_cvt_f16_f32_e32 v160, v203
	;; [unrolled: 1-line block ×4, first 2 shown]
	v_cvt_f32_f16_e32 v202, v77
	v_cvt_f32_f16_e32 v203, v160
	;; [unrolled: 1-line block ×4, first 2 shown]
	s_nop 1
	v_mfma_f32_16x16x16f16 v[202:205], v[206:207], v[34:35], v[202:205]
	ds_read_u16 v206, v98 offset:448
	ds_read_u16 v207, v252 offset:528
	;; [unrolled: 1-line block ×4, first 2 shown]
	s_nop 6
	v_cvt_f16_f32_e32 v77, v202
	v_cvt_f16_f32_e32 v160, v203
	;; [unrolled: 1-line block ×4, first 2 shown]
	v_cvt_f32_f16_e32 v204, v38
	v_pack_b32_f16 v77, v77, v160
	v_cvt_f32_f16_sdwa v205, v38 dst_sel:DWORD dst_unused:UNUSED_PAD src0_sel:WORD_1
	v_pack_b32_f16 v160, v202, v203
	v_cvt_f32_f16_e32 v202, v39
	v_cvt_f32_f16_sdwa v203, v39 dst_sel:DWORD dst_unused:UNUSED_PAD src0_sel:WORD_1
	s_waitcnt lgkmcnt(0)
	v_perm_b32 v39, v209, v208, s55
	v_perm_b32 v38, v207, v206, s55
	ds_read_u16 v206, v127 offset:16896
	ds_read_u16 v207, v144 offset:528
	;; [unrolled: 1-line block ×4, first 2 shown]
	v_mfma_f32_16x16x16f16 v[202:205], v[38:39], v[36:37], v[202:205]
	s_nop 7
	s_nop 2
	v_cvt_f16_f32_e32 v38, v202
	v_cvt_f16_f32_e32 v39, v203
	v_cvt_f16_f32_e32 v204, v204
	v_cvt_f16_f32_e32 v205, v205
	v_cvt_f32_f16_e32 v202, v38
	v_cvt_f32_f16_e32 v203, v39
	s_waitcnt lgkmcnt(0)
	v_perm_b32 v39, v209, v208, s55
	v_perm_b32 v38, v207, v206, s55
	v_cvt_f32_f16_e32 v204, v204
	v_cvt_f32_f16_e32 v205, v205
	ds_read_u16 v206, v98 offset:480
	ds_read_u16 v208, v254 offset:528
	;; [unrolled: 1-line block ×4, first 2 shown]
	v_mfma_f32_16x16x16f16 v[202:205], v[38:39], v[34:35], v[202:205]
	s_waitcnt lgkmcnt(2)
	v_perm_b32 v206, v208, v206, s55
	s_waitcnt lgkmcnt(0)
	v_perm_b32 v207, v209, v207, s55
	s_nop 6
	v_cvt_f16_f32_e32 v38, v202
	v_cvt_f16_f32_e32 v39, v203
	;; [unrolled: 1-line block ×4, first 2 shown]
	v_cvt_f32_f16_e32 v204, v90
	v_pack_b32_f16 v39, v38, v39
	v_cvt_f32_f16_sdwa v205, v90 dst_sel:DWORD dst_unused:UNUSED_PAD src0_sel:WORD_1
	v_pack_b32_f16 v38, v202, v203
	v_cvt_f32_f16_e32 v202, v0
	v_cvt_f32_f16_sdwa v203, v0 dst_sel:DWORD dst_unused:UNUSED_PAD src0_sel:WORD_1
	s_nop 1
	v_mfma_f32_16x16x16f16 v[202:205], v[206:207], v[36:37], v[202:205]
	ds_read_u16 v206, v129 offset:16896
	ds_read_u16 v207, v145 offset:528
	ds_read_u16 v208, v200 offset:1056
	ds_read_u16 v209, v130 offset:16896
	s_waitcnt lgkmcnt(0)
	s_barrier
	s_nop 4
	v_cvt_f16_f32_e32 v36, v203
	v_cvt_f16_f32_e32 v37, v204
	;; [unrolled: 1-line block ×4, first 2 shown]
	v_cvt_f32_f16_e32 v203, v36
	v_cvt_f32_f16_e32 v204, v37
	v_perm_b32 v37, v209, v208, s55
	v_perm_b32 v36, v207, v206, s55
	v_cvt_f32_f16_e32 v202, v0
	v_cvt_f32_f16_e32 v205, v90
	s_nop 1
	v_mfma_f32_16x16x16f16 v[34:37], v[36:37], v[34:35], v[202:205]
	s_nop 7
	s_nop 2
	v_cvt_f16_f32_e32 v0, v34
	v_cvt_f16_f32_e32 v34, v35
	;; [unrolled: 1-line block ×4, first 2 shown]
	v_pack_b32_f16 v90, v0, v34
	v_mov_b32_e32 v0, s69
	v_addc_co_u32_e32 v1, vcc, v1, v0, vcc
	v_add_co_u32_e32 v70, vcc, s68, v70
	v_addc_co_u32_e32 v41, vcc, v41, v0, vcc
	v_add_co_u32_e32 v72, vcc, s68, v72
	v_addc_co_u32_e32 v59, vcc, v59, v0, vcc
	v_add_co_u32_e32 v74, vcc, s68, v74
	v_addc_co_u32_e32 v61, vcc, v61, v0, vcc
	v_add_co_u32_e32 v76, vcc, s70, v76
	v_mov_b32_e32 v0, s71
	v_addc_co_u32_e32 v63, vcc, v63, v0, vcc
	v_add_co_u32_e32 v78, vcc, s70, v78
	v_addc_co_u32_e32 v67, vcc, v67, v0, vcc
	v_add_co_u32_e32 v80, vcc, s70, v80
	v_addc_co_u32_e32 v69, vcc, v69, v0, vcc
	v_add_co_u32_e32 v82, vcc, s70, v82
	v_pack_b32_f16 v202, v35, v36
	v_addc_co_u32_e32 v71, vcc, v71, v0, vcc
	s_cbranch_scc1 .LBB29_262
.LBB29_263:                             ;   in Loop: Header=BB29_14 Depth=1
	v_mad_i64_i32 v[0:1], s[8:9], v180, s42, 0
	s_lshl_b32 s60, s74, 6
	s_lshl_b64 s[8:9], s[60:61], 1
	v_add_co_u32_e32 v34, vcc, s8, v186
	v_mov_b32_e32 v35, s9
	v_addc_co_u32_e32 v35, vcc, v185, v35, vcc
	v_lshlrev_b64 v[0:1], 1, v[0:1]
	v_add_co_u32_e32 v0, vcc, v34, v0
	v_addc_co_u32_e32 v1, vcc, v35, v1, vcc
	v_lshlrev_b32_e32 v34, 1, v40
	v_add_co_u32_e32 v0, vcc, v0, v34
	v_addc_co_u32_e32 v1, vcc, 0, v1, vcc
	global_load_dword v0, v[0:1], off
	s_mul_i32 s8, s41, s60
	s_mul_hi_u32 s9, s40, s60
	s_add_i32 s9, s9, s8
	s_mul_i32 s8, s40, s60
	s_lshl_b64 s[8:9], s[8:9], 2
	s_add_u32 s8, s11, s8
	s_addc_u32 s9, s82, s9
	v_mov_b32_e32 v1, s9
	s_waitcnt vmcnt(0)
	ds_write_b32 v148, v0 offset:33792
	v_add_co_u32_e32 v0, vcc, s8, v50
	v_addc_co_u32_e32 v1, vcc, v1, v51, vcc
	v_add_co_u32_e32 v0, vcc, v0, v147
	v_addc_co_u32_e32 v1, vcc, 0, v1, vcc
	global_load_dwordx4 v[34:37], v[0:1], off
	v_add_co_u32_e32 v0, vcc, s8, v52
	v_mov_b32_e32 v1, s9
	v_addc_co_u32_e32 v1, vcc, v1, v53, vcc
	v_add_co_u32_e32 v0, vcc, v0, v147
	v_addc_co_u32_e32 v1, vcc, 0, v1, vcc
	s_waitcnt vmcnt(0)
	ds_write_b128 v95, v[34:37]
	global_load_dwordx4 v[34:37], v[0:1], off
	v_add_co_u32_e32 v0, vcc, s8, v54
	v_mov_b32_e32 v1, s9
	v_addc_co_u32_e32 v1, vcc, v1, v55, vcc
	v_add_co_u32_e32 v0, vcc, v0, v147
	v_addc_co_u32_e32 v1, vcc, 0, v1, vcc
	s_waitcnt vmcnt(0)
	ds_write_b128 v222, v[34:37]
	global_load_dwordx4 v[34:37], v[0:1], off
	v_add_co_u32_e32 v0, vcc, s8, v56
	v_mov_b32_e32 v1, s9
	v_addc_co_u32_e32 v1, vcc, v1, v57, vcc
	v_add_co_u32_e32 v0, vcc, v0, v147
	v_addc_co_u32_e32 v1, vcc, 0, v1, vcc
	v_cmp_lt_i32_e32 vcc, v183, v182
	s_mul_i32 s8, s31, s60
	s_mul_hi_u32 s9, s30, s60
	s_add_i32 s9, s9, s8
	s_mul_i32 s8, s30, s60
	s_lshl_b64 s[8:9], s[8:9], 2
	s_add_u32 s8, s51, s8
	s_addc_u32 s9, s10, s9
	s_cmp_eq_u64 s[72:73], 0
	s_waitcnt vmcnt(0)
	ds_write_b128 v223, v[34:37]
	global_load_dwordx4 v[34:37], v[0:1], off
	v_add_u32_e32 v0, 0x4000, v96
	s_waitcnt vmcnt(0)
	ds_write_b128 v224, v[34:37]
	s_waitcnt lgkmcnt(0)
	s_barrier
	ds_read2_b64 v[34:37], v96 offset1:4
	s_waitcnt lgkmcnt(0)
	v_mfma_f32_16x16x16f16 v[68:71], v[34:35], v[30:31], 0
	v_mfma_f32_16x16x16f16 v[34:37], v[36:37], v[32:33], v[68:71]
	s_nop 7
	s_nop 1
	ds_read2_b64 v[68:71], v96 offset0:8 offset1:12
	s_waitcnt lgkmcnt(0)
	v_mfma_f32_16x16x16f16 v[34:37], v[68:69], v[26:27], v[34:37]
	v_mfma_f32_16x16x16f16 v[34:37], v[70:71], v[28:29], v[34:37]
	ds_read2_b64 v[68:71], v96 offset0:16 offset1:20
	s_waitcnt lgkmcnt(0)
	v_mfma_f32_16x16x16f16 v[34:37], v[68:69], v[22:23], v[34:37]
	v_mfma_f32_16x16x16f16 v[34:37], v[70:71], v[24:25], v[34:37]
	;; [unrolled: 4-line block ×9, first 2 shown]
	s_nop 7
	s_nop 1
	ds_read2_b64 v[30:33], v0 offset0:80 offset1:84
	s_waitcnt lgkmcnt(0)
	v_mfma_f32_16x16x16f16 v[26:29], v[30:31], v[22:23], v[26:29]
	v_mfma_f32_16x16x16f16 v[22:25], v[32:33], v[24:25], v[26:29]
	s_nop 7
	s_nop 1
	ds_read2_b64 v[26:29], v0 offset0:88 offset1:92
	s_waitcnt lgkmcnt(0)
	v_mfma_f32_16x16x16f16 v[22:25], v[26:27], v[18:19], v[22:25]
	v_mfma_f32_16x16x16f16 v[18:21], v[28:29], v[20:21], v[22:25]
	;; [unrolled: 6-line block ×5, first 2 shown]
	s_nop 7
	s_nop 1
	ds_read2_b64 v[10:13], v0 offset0:120 offset1:124
	s_waitcnt lgkmcnt(0)
	v_mfma_f32_16x16x16f16 v[0:3], v[10:11], v[2:3], v[6:9]
	s_barrier
	s_nop 5
	v_cndmask_b32_e32 v6, v187, v183, vcc
	v_cmp_lt_i32_e32 vcc, v184, v182
	v_mfma_f32_16x16x16f16 v[0:3], v[12:13], v[4:5], v[0:3]
	v_add_u32_e32 v4, 0x8400, v97
	ds_read2_b32 v[4:5], v4 offset1:1
	ds_read_b32 v10, v149 offset:33792
	ds_read_b32 v8, v150 offset:33792
	v_lshlrev_b32_e32 v13, 2, v6
	v_cndmask_b32_e32 v6, v187, v184, vcc
	v_lshlrev_b32_e32 v41, 2, v6
	s_waitcnt lgkmcnt(2)
	v_cvt_f32_f16_e32 v6, v4
	v_cvt_f32_f16_sdwa v7, v4 dst_sel:DWORD dst_unused:UNUSED_PAD src0_sel:WORD_1
	v_pk_add_f32 v[6:7], v[34:35], v[6:7]
	v_add_f32_e32 v4, 0x40051340, v6
	v_add_f32_e32 v9, 0x40051340, v7
	v_max3_f32 v11, v66, v4, v9
	s_waitcnt lgkmcnt(0)
	v_cvt_f32_f16_sdwa v9, v8 dst_sel:DWORD dst_unused:UNUSED_PAD src0_sel:WORD_1
	v_cvt_f32_f16_e32 v8, v8
	v_cvt_f32_f16_e32 v4, v5
	v_cvt_f32_f16_sdwa v5, v5 dst_sel:DWORD dst_unused:UNUSED_PAD src0_sel:WORD_1
	v_pk_add_f32 v[2:3], v[2:3], v[8:9]
	v_cvt_f32_f16_sdwa v9, v10 dst_sel:DWORD dst_unused:UNUSED_PAD src0_sel:WORD_1
	v_cvt_f32_f16_e32 v8, v10
	v_pk_add_f32 v[4:5], v[36:37], v[4:5]
	v_add_f32_e32 v10, 0x40051340, v4
	v_add_f32_e32 v15, 0x40051340, v5
	v_pk_add_f32 v[0:1], v[0:1], v[8:9]
	v_add_f32_e32 v8, 0x40051340, v0
	v_add_f32_e32 v9, 0x40051340, v1
	v_max3_f32 v10, v11, v10, v15
	v_add_f32_e32 v12, 0x40051340, v2
	v_add_f32_e32 v14, 0x40051340, v3
	v_max3_f32 v8, v10, v8, v9
	v_max3_f32 v8, v8, v12, v14
	ds_bpermute_b32 v9, v13, v8
	s_waitcnt lgkmcnt(0)
	v_max_f32_e32 v9, v9, v9
	v_max_f32_e32 v8, v8, v9
	ds_bpermute_b32 v9, v41, v8
	s_waitcnt lgkmcnt(0)
	v_max_f32_e32 v9, v9, v9
	v_max_f32_e32 v12, v8, v9
	v_pk_add_f32 v[6:7], v[6:7], v[12:13] op_sel_hi:[1,0] neg_lo:[0,1] neg_hi:[0,1]
	v_mul_f32_e32 v8, 0x3fb8aa3b, v7
	v_fma_f32 v9, v7, s43, -v8
	v_rndne_f32_e32 v10, v8
	v_fmac_f32_e32 v9, 0x32a5705f, v7
	v_sub_f32_e32 v8, v8, v10
	v_add_f32_e32 v8, v8, v9
	v_exp_f32_e32 v8, v8
	v_cvt_i32_f32_e32 v9, v10
	v_cmp_ngt_f32_e32 vcc, s67, v7
	v_pk_add_f32 v[4:5], v[4:5], v[12:13] op_sel_hi:[1,0] neg_lo:[0,1] neg_hi:[0,1]
	v_pk_add_f32 v[0:1], v[0:1], v[12:13] op_sel_hi:[1,0] neg_lo:[0,1] neg_hi:[0,1]
	v_ldexp_f32 v8, v8, v9
	v_cndmask_b32_e32 v8, 0, v8, vcc
	v_cmp_nlt_f32_e32 vcc, s34, v7
	v_mul_f32_e32 v7, 0x3fb8aa3b, v6
	v_cndmask_b32_e32 v24, v190, v8, vcc
	v_fma_f32 v8, v6, s43, -v7
	v_rndne_f32_e32 v9, v7
	v_fmac_f32_e32 v8, 0x32a5705f, v6
	v_sub_f32_e32 v7, v7, v9
	v_add_f32_e32 v7, v7, v8
	v_exp_f32_e32 v7, v7
	v_cvt_i32_f32_e32 v8, v9
	v_cmp_ngt_f32_e32 vcc, s67, v6
	v_ldexp_f32 v7, v7, v8
	v_cndmask_b32_e32 v7, 0, v7, vcc
	v_cmp_nlt_f32_e32 vcc, s34, v6
	v_mul_f32_e32 v6, 0x3fb8aa3b, v5
	v_cndmask_b32_e32 v25, v190, v7, vcc
	v_fma_f32 v7, v5, s43, -v6
	v_rndne_f32_e32 v8, v6
	v_fmac_f32_e32 v7, 0x32a5705f, v5
	v_sub_f32_e32 v6, v6, v8
	v_add_f32_e32 v6, v6, v7
	v_exp_f32_e32 v6, v6
	v_cvt_i32_f32_e32 v7, v8
	v_cmp_ngt_f32_e32 vcc, s67, v5
	;; [unrolled: 13-line block ×5, first 2 shown]
	v_ldexp_f32 v1, v1, v4
	v_cndmask_b32_e32 v1, 0, v1, vcc
	v_cmp_nlt_f32_e32 vcc, s34, v0
	v_cndmask_b32_e32 v61, v190, v1, vcc
	v_pk_add_f32 v[0:1], v[2:3], v[12:13] op_sel_hi:[1,0] neg_lo:[0,1] neg_hi:[0,1]
	v_mul_f32_e32 v2, 0x3fb8aa3b, v1
	v_fma_f32 v3, v1, s43, -v2
	v_rndne_f32_e32 v4, v2
	v_fmac_f32_e32 v3, 0x32a5705f, v1
	v_sub_f32_e32 v2, v2, v4
	v_add_f32_e32 v2, v2, v3
	v_exp_f32_e32 v2, v2
	v_cvt_i32_f32_e32 v3, v4
	v_cmp_ngt_f32_e32 vcc, s67, v1
	v_ldexp_f32 v2, v2, v3
	v_cndmask_b32_e32 v2, 0, v2, vcc
	v_cmp_nlt_f32_e32 vcc, s34, v1
	v_mul_f32_e32 v1, 0x3fb8aa3b, v0
	v_cndmask_b32_e32 v63, v190, v2, vcc
	v_fma_f32 v2, v0, s43, -v1
	v_rndne_f32_e32 v3, v1
	v_fmac_f32_e32 v2, 0x32a5705f, v0
	v_sub_f32_e32 v1, v1, v3
	v_add_f32_e32 v1, v1, v2
	v_exp_f32_e32 v1, v1
	v_cvt_i32_f32_e32 v2, v3
	v_cmp_ngt_f32_e32 vcc, s67, v0
	v_ldexp_f32 v1, v1, v2
	v_cndmask_b32_e32 v1, 0, v1, vcc
	v_cmp_nlt_f32_e32 vcc, s34, v0
	v_add_f32_e32 v0, v25, v24
	v_add_f32_e32 v0, v37, v0
	;; [unrolled: 1-line block ×4, first 2 shown]
	v_cndmask_b32_e32 v64, v190, v1, vcc
	v_add_f32_e32 v0, v59, v0
	v_add_f32_e32 v0, v64, v0
	;; [unrolled: 1-line block ×3, first 2 shown]
	v_sub_f32_e32 v0, v66, v12
	v_mul_f32_e32 v1, 0x3fb8aa3b, v0
	v_fma_f32 v2, v0, s43, -v1
	v_rndne_f32_e32 v3, v1
	v_fmac_f32_e32 v2, 0x32a5705f, v0
	v_sub_f32_e32 v1, v1, v3
	v_add_f32_e32 v1, v1, v2
	v_exp_f32_e32 v1, v1
	v_cvt_i32_f32_e32 v2, v3
	v_cmp_ngt_f32_e32 vcc, s67, v0
	v_cvt_f16_f32_e32 v25, v25
	v_cvt_f16_f32_e32 v24, v24
	v_ldexp_f32 v1, v1, v2
	v_cndmask_b32_e32 v1, 0, v1, vcc
	v_cmp_nlt_f32_e32 vcc, s34, v0
	v_cndmask_b32_e32 v1, v190, v1, vcc
	v_cmp_le_f32_e32 vcc, s35, v0
	v_cndmask_b32_e32 v0, 0, v1, vcc
	v_cvt_f16_f32_e32 v36, v0
	v_fmac_f32_e32 v35, v179, v0
	v_pk_mul_f16 v18, v36, v176 op_sel_hi:[0,1]
	v_pk_mul_f16 v17, v36, v181 op_sel_hi:[0,1]
	;; [unrolled: 1-line block ×32, first 2 shown]
	v_pack_b32_f16 v36, v25, v24
	v_cvt_f16_f32_e32 v24, v28
	v_cvt_f16_f32_e32 v25, v37
	;; [unrolled: 1-line block ×3, first 2 shown]
	v_pack_b32_f16 v37, v25, v24
	v_cvt_f16_f32_e32 v24, v59
	v_cvt_f16_f32_e32 v25, v61
	v_mov_b32_e32 v59, s9
	v_pack_b32_f16 v24, v25, v24
	v_cvt_f16_f32_e32 v25, v63
	v_pack_b32_f16 v25, v28, v25
	v_add_co_u32_e32 v28, vcc, s8, v42
	v_addc_co_u32_e32 v59, vcc, v59, v43, vcc
	v_add_co_u32_e32 v64, vcc, v28, v147
	v_addc_co_u32_e32 v65, vcc, 0, v59, vcc
	global_load_dwordx4 v[64:67], v[64:65], off
	v_add_co_u32_e32 v28, vcc, s8, v44
	v_mov_b32_e32 v59, s9
	v_addc_co_u32_e32 v59, vcc, v59, v45, vcc
	v_add_co_u32_e32 v68, vcc, v28, v147
	v_addc_co_u32_e32 v69, vcc, 0, v59, vcc
	v_add_co_u32_e32 v28, vcc, s8, v46
	v_mov_b32_e32 v59, s9
	v_addc_co_u32_e32 v59, vcc, v59, v47, vcc
	v_add_co_u32_e32 v70, vcc, v28, v147
	v_addc_co_u32_e32 v71, vcc, 0, v59, vcc
	v_add_co_u32_e32 v28, vcc, s8, v48
	v_mov_b32_e32 v59, s9
	v_addc_co_u32_e32 v59, vcc, v59, v49, vcc
	v_add_co_u32_e32 v76, vcc, v28, v147
	v_addc_co_u32_e32 v77, vcc, 0, v59, vcc
	s_cselect_b64 s[8:9], -1, 0
	s_xor_b64 s[10:11], s[0:1], -1
	s_or_b64 s[8:9], s[10:11], s[8:9]
	s_waitcnt vmcnt(0)
	ds_write_b128 v95, v[64:67]
	global_load_dwordx4 v[64:67], v[68:69], off
	s_waitcnt vmcnt(0)
	ds_write_b128 v222, v[64:67]
	global_load_dwordx4 v[64:67], v[70:71], off
	;; [unrolled: 3-line block ×3, first 2 shown]
	s_waitcnt vmcnt(0)
	ds_write_b128 v224, v[64:67]
	s_waitcnt lgkmcnt(0)
	s_barrier
	ds_read_u16 v28, v99 offset:528
	ds_read_u16 v59, v99 offset:1056
	v_cvt_f32_f16_e32 v66, v17
	v_cvt_f32_f16_sdwa v67, v17 dst_sel:DWORD dst_unused:UNUSED_PAD src0_sel:WORD_1
	ds_read_u16 v17, v100
	ds_read_u16 v61, v100 offset:32
	v_cvt_f32_f16_e32 v64, v18
	v_cvt_f32_f16_sdwa v65, v18 dst_sel:DWORD dst_unused:UNUSED_PAD src0_sel:WORD_1
	s_waitcnt lgkmcnt(1)
	v_perm_b32 v69, v17, v59, s55
	ds_read_u16 v17, v98
	ds_read_u16 v59, v98 offset:32
	s_waitcnt lgkmcnt(1)
	v_perm_b32 v68, v28, v17, s55
	s_nop 1
	v_mfma_f32_16x16x16f16 v[64:67], v[68:69], v[36:37], v[64:67]
	ds_read_u16 v68, v98 offset:16896
	ds_read_u16 v70, v225 offset:528
	;; [unrolled: 1-line block ×4, first 2 shown]
	s_waitcnt lgkmcnt(2)
	v_perm_b32 v68, v70, v68, s55
	s_waitcnt lgkmcnt(0)
	v_perm_b32 v69, v71, v69, s55
	s_nop 2
	v_cvt_f16_f32_e32 v17, v64
	v_cvt_f16_f32_e32 v18, v65
	;; [unrolled: 1-line block ×4, first 2 shown]
	v_cvt_f32_f16_e32 v64, v17
	v_cvt_f32_f16_e32 v65, v18
	;; [unrolled: 1-line block ×4, first 2 shown]
	s_nop 1
	v_mfma_f32_16x16x16f16 v[64:67], v[68:69], v[24:25], v[64:67]
	s_nop 7
	s_nop 2
	v_cvt_f16_f32_e32 v17, v64
	v_cvt_f16_f32_e32 v18, v65
	;; [unrolled: 1-line block ×4, first 2 shown]
	v_cvt_f32_f16_e32 v64, v20
	v_pack_b32_f16 v18, v17, v18
	v_cvt_f32_f16_sdwa v65, v20 dst_sel:DWORD dst_unused:UNUSED_PAD src0_sel:WORD_1
	v_pack_b32_f16 v17, v28, v63
	ds_read_u16 v28, v226 offset:528
	ds_read_u16 v63, v226 offset:1056
	v_cvt_f32_f16_e32 v66, v19
	v_cvt_f32_f16_sdwa v67, v19 dst_sel:DWORD dst_unused:UNUSED_PAD src0_sel:WORD_1
	s_waitcnt lgkmcnt(1)
	v_perm_b32 v68, v28, v59, s55
	s_waitcnt lgkmcnt(0)
	v_perm_b32 v69, v61, v63, s55
	s_nop 1
	v_mfma_f32_16x16x16f16 v[64:67], v[68:69], v[36:37], v[64:67]
	ds_read_u16 v61, v101 offset:16896
	ds_read_u16 v63, v131 offset:528
	ds_read_u16 v68, v227 offset:1056
	ds_read_u16 v69, v102 offset:16896
	s_waitcnt lgkmcnt(0)
	v_perm_b32 v69, v69, v68, s55
	v_perm_b32 v68, v63, v61, s55
	s_nop 3
	v_cvt_f16_f32_e32 v19, v64
	v_cvt_f16_f32_e32 v20, v65
	v_cvt_f16_f32_e32 v28, v66
	v_cvt_f16_f32_e32 v59, v67
	v_cvt_f32_f16_e32 v64, v19
	v_cvt_f32_f16_e32 v65, v20
	v_cvt_f32_f16_e32 v66, v28
	v_cvt_f32_f16_e32 v67, v59
	s_nop 1
	v_mfma_f32_16x16x16f16 v[64:67], v[68:69], v[24:25], v[64:67]
	s_nop 7
	s_nop 2
	v_cvt_f16_f32_e32 v19, v64
	v_cvt_f16_f32_e32 v20, v65
	v_cvt_f16_f32_e32 v28, v66
	v_cvt_f16_f32_e32 v59, v67
	v_cvt_f32_f16_e32 v64, v22
	v_pack_b32_f16 v20, v19, v20
	v_cvt_f32_f16_sdwa v65, v22 dst_sel:DWORD dst_unused:UNUSED_PAD src0_sel:WORD_1
	v_pack_b32_f16 v19, v28, v59
	ds_read_u16 v28, v98 offset:64
	ds_read_u16 v59, v228 offset:528
	ds_read_u16 v61, v228 offset:1056
	ds_read_u16 v63, v100 offset:64
	v_cvt_f32_f16_e32 v66, v21
	v_cvt_f32_f16_sdwa v67, v21 dst_sel:DWORD dst_unused:UNUSED_PAD src0_sel:WORD_1
	s_waitcnt lgkmcnt(2)
	v_perm_b32 v68, v59, v28, s55
	s_waitcnt lgkmcnt(0)
	v_perm_b32 v69, v63, v61, s55
	s_nop 1
	v_mfma_f32_16x16x16f16 v[64:67], v[68:69], v[36:37], v[64:67]
	ds_read_u16 v61, v103 offset:16896
	ds_read_u16 v63, v132 offset:528
	ds_read_u16 v68, v229 offset:1056
	ds_read_u16 v69, v104 offset:16896
	s_waitcnt lgkmcnt(0)
	v_perm_b32 v69, v69, v68, s55
	v_perm_b32 v68, v63, v61, s55
	s_nop 3
	v_cvt_f16_f32_e32 v21, v64
	v_cvt_f16_f32_e32 v22, v65
	v_cvt_f16_f32_e32 v28, v66
	v_cvt_f16_f32_e32 v59, v67
	v_cvt_f32_f16_e32 v64, v21
	v_cvt_f32_f16_e32 v65, v22
	v_cvt_f32_f16_e32 v66, v28
	v_cvt_f32_f16_e32 v67, v59
	s_nop 1
	v_mfma_f32_16x16x16f16 v[64:67], v[68:69], v[24:25], v[64:67]
	s_nop 7
	s_nop 2
	v_cvt_f16_f32_e32 v21, v64
	v_cvt_f16_f32_e32 v22, v65
	v_cvt_f16_f32_e32 v28, v66
	v_cvt_f16_f32_e32 v59, v67
	v_cvt_f32_f16_e32 v64, v26
	v_pack_b32_f16 v22, v21, v22
	v_cvt_f32_f16_sdwa v65, v26 dst_sel:DWORD dst_unused:UNUSED_PAD src0_sel:WORD_1
	v_pack_b32_f16 v21, v28, v59
	ds_read_u16 v28, v98 offset:96
	ds_read_u16 v59, v230 offset:528
	;; [unrolled: 40-line block ×7, first 2 shown]
	ds_read_u16 v61, v240 offset:1056
	ds_read_u16 v63, v100 offset:256
	v_cvt_f32_f16_e32 v64, v2
	v_cvt_f32_f16_sdwa v65, v2 dst_sel:DWORD dst_unused:UNUSED_PAD src0_sel:WORD_1
	s_waitcnt lgkmcnt(2)
	v_perm_b32 v0, v59, v0, s55
	s_waitcnt lgkmcnt(0)
	v_perm_b32 v1, v63, v61, s55
	ds_read_u16 v61, v115 offset:16896
	ds_read_u16 v63, v138 offset:528
	;; [unrolled: 1-line block ×4, first 2 shown]
	v_mfma_f32_16x16x16f16 v[64:67], v[0:1], v[36:37], v[64:67]
	s_nop 7
	s_nop 2
	v_cvt_f16_f32_e32 v0, v64
	v_cvt_f16_f32_e32 v1, v65
	;; [unrolled: 1-line block ×4, first 2 shown]
	v_cvt_f32_f16_e32 v64, v0
	v_cvt_f32_f16_e32 v65, v1
	s_waitcnt lgkmcnt(0)
	v_perm_b32 v1, v69, v68, s55
	v_perm_b32 v0, v63, v61, s55
	v_cvt_f32_f16_e32 v66, v2
	v_cvt_f32_f16_e32 v67, v59
	s_nop 1
	v_mfma_f32_16x16x16f16 v[64:67], v[0:1], v[24:25], v[64:67]
	s_nop 7
	s_nop 2
	v_cvt_f16_f32_e32 v0, v64
	v_cvt_f16_f32_e32 v1, v65
	v_cvt_f16_f32_e32 v59, v66
	v_cvt_f16_f32_e32 v61, v67
	v_cvt_f32_f16_e32 v64, v4
	v_pack_b32_f16 v2, v0, v1
	v_cvt_f32_f16_sdwa v65, v4 dst_sel:DWORD dst_unused:UNUSED_PAD src0_sel:WORD_1
	v_pack_b32_f16 v1, v59, v61
	ds_read_u16 v0, v98 offset:288
	ds_read_u16 v59, v242 offset:528
	ds_read_u16 v61, v242 offset:1056
	ds_read_u16 v63, v100 offset:288
	v_cvt_f32_f16_e32 v66, v3
	v_cvt_f32_f16_sdwa v67, v3 dst_sel:DWORD dst_unused:UNUSED_PAD src0_sel:WORD_1
	s_waitcnt lgkmcnt(2)
	v_perm_b32 v68, v59, v0, s55
	s_waitcnt lgkmcnt(0)
	v_perm_b32 v69, v63, v61, s55
	s_nop 1
	v_mfma_f32_16x16x16f16 v[64:67], v[68:69], v[36:37], v[64:67]
	ds_read_u16 v61, v117 offset:16896
	ds_read_u16 v63, v139 offset:528
	ds_read_u16 v68, v243 offset:1056
	ds_read_u16 v69, v118 offset:16896
	s_waitcnt lgkmcnt(0)
	v_perm_b32 v69, v69, v68, s55
	v_perm_b32 v68, v63, v61, s55
	s_nop 3
	v_cvt_f16_f32_e32 v0, v64
	v_cvt_f16_f32_e32 v3, v65
	v_cvt_f16_f32_e32 v4, v66
	v_cvt_f16_f32_e32 v59, v67
	v_cvt_f32_f16_e32 v64, v0
	v_cvt_f32_f16_e32 v65, v3
	v_cvt_f32_f16_e32 v66, v4
	v_cvt_f32_f16_e32 v67, v59
	s_nop 1
	v_mfma_f32_16x16x16f16 v[64:67], v[68:69], v[24:25], v[64:67]
	s_nop 7
	s_nop 2
	v_cvt_f16_f32_e32 v0, v64
	v_cvt_f16_f32_e32 v3, v65
	v_cvt_f16_f32_e32 v59, v66
	v_cvt_f16_f32_e32 v61, v67
	v_cvt_f32_f16_e32 v64, v6
	v_pack_b32_f16 v4, v0, v3
	v_cvt_f32_f16_sdwa v65, v6 dst_sel:DWORD dst_unused:UNUSED_PAD src0_sel:WORD_1
	v_pack_b32_f16 v3, v59, v61
	ds_read_u16 v0, v98 offset:320
	ds_read_u16 v59, v244 offset:528
	ds_read_u16 v61, v244 offset:1056
	ds_read_u16 v63, v100 offset:320
	v_cvt_f32_f16_e32 v66, v5
	v_cvt_f32_f16_sdwa v67, v5 dst_sel:DWORD dst_unused:UNUSED_PAD src0_sel:WORD_1
	s_waitcnt lgkmcnt(2)
	v_perm_b32 v68, v59, v0, s55
	s_waitcnt lgkmcnt(0)
	v_perm_b32 v69, v63, v61, s55
	s_nop 1
	v_mfma_f32_16x16x16f16 v[64:67], v[68:69], v[36:37], v[64:67]
	ds_read_u16 v61, v119 offset:16896
	ds_read_u16 v63, v140 offset:528
	ds_read_u16 v68, v245 offset:1056
	ds_read_u16 v69, v120 offset:16896
	s_waitcnt lgkmcnt(0)
	v_perm_b32 v69, v69, v68, s55
	v_perm_b32 v68, v63, v61, s55
	s_nop 3
	v_cvt_f16_f32_e32 v0, v64
	v_cvt_f16_f32_e32 v5, v65
	v_cvt_f16_f32_e32 v6, v66
	v_cvt_f16_f32_e32 v59, v67
	v_cvt_f32_f16_e32 v64, v0
	v_cvt_f32_f16_e32 v65, v5
	v_cvt_f32_f16_e32 v66, v6
	v_cvt_f32_f16_e32 v67, v59
	s_nop 1
	v_mfma_f32_16x16x16f16 v[64:67], v[68:69], v[24:25], v[64:67]
	s_nop 7
	s_nop 2
	v_cvt_f16_f32_e32 v0, v64
	v_cvt_f16_f32_e32 v5, v65
	v_cvt_f16_f32_e32 v59, v66
	v_cvt_f16_f32_e32 v61, v67
	v_cvt_f32_f16_e32 v64, v8
	v_pack_b32_f16 v6, v0, v5
	v_cvt_f32_f16_sdwa v65, v8 dst_sel:DWORD dst_unused:UNUSED_PAD src0_sel:WORD_1
	v_pack_b32_f16 v5, v59, v61
	ds_read_u16 v0, v98 offset:352
	ds_read_u16 v59, v246 offset:528
	ds_read_u16 v61, v246 offset:1056
	ds_read_u16 v63, v100 offset:352
	v_cvt_f32_f16_e32 v66, v7
	v_cvt_f32_f16_sdwa v67, v7 dst_sel:DWORD dst_unused:UNUSED_PAD src0_sel:WORD_1
	s_waitcnt lgkmcnt(2)
	v_perm_b32 v68, v59, v0, s55
	s_waitcnt lgkmcnt(0)
	v_perm_b32 v69, v63, v61, s55
	s_nop 1
	v_mfma_f32_16x16x16f16 v[64:67], v[68:69], v[36:37], v[64:67]
	ds_read_u16 v61, v121 offset:16896
	ds_read_u16 v63, v141 offset:528
	ds_read_u16 v68, v247 offset:1056
	ds_read_u16 v69, v122 offset:16896
	s_waitcnt lgkmcnt(0)
	v_perm_b32 v69, v69, v68, s55
	v_perm_b32 v68, v63, v61, s55
	s_nop 3
	v_cvt_f16_f32_e32 v0, v64
	v_cvt_f16_f32_e32 v7, v65
	v_cvt_f16_f32_e32 v8, v66
	v_cvt_f16_f32_e32 v59, v67
	v_cvt_f32_f16_e32 v64, v0
	v_cvt_f32_f16_e32 v65, v7
	v_cvt_f32_f16_e32 v66, v8
	v_cvt_f32_f16_e32 v67, v59
	s_nop 1
	v_mfma_f32_16x16x16f16 v[64:67], v[68:69], v[24:25], v[64:67]
	s_nop 7
	s_nop 2
	v_cvt_f16_f32_e32 v0, v64
	v_cvt_f16_f32_e32 v7, v65
	v_cvt_f16_f32_e32 v59, v66
	v_cvt_f16_f32_e32 v61, v67
	v_cvt_f32_f16_e32 v64, v10
	v_pack_b32_f16 v8, v0, v7
	v_cvt_f32_f16_sdwa v65, v10 dst_sel:DWORD dst_unused:UNUSED_PAD src0_sel:WORD_1
	v_pack_b32_f16 v7, v59, v61
	ds_read_u16 v0, v98 offset:384
	ds_read_u16 v59, v248 offset:528
	ds_read_u16 v61, v248 offset:1056
	ds_read_u16 v63, v100 offset:384
	v_cvt_f32_f16_e32 v66, v9
	v_cvt_f32_f16_sdwa v67, v9 dst_sel:DWORD dst_unused:UNUSED_PAD src0_sel:WORD_1
	s_waitcnt lgkmcnt(2)
	v_perm_b32 v68, v59, v0, s55
	s_waitcnt lgkmcnt(0)
	v_perm_b32 v69, v63, v61, s55
	s_nop 1
	v_mfma_f32_16x16x16f16 v[64:67], v[68:69], v[36:37], v[64:67]
	ds_read_u16 v61, v123 offset:16896
	ds_read_u16 v63, v142 offset:528
	ds_read_u16 v68, v249 offset:1056
	ds_read_u16 v69, v124 offset:16896
	s_waitcnt lgkmcnt(0)
	v_perm_b32 v69, v69, v68, s55
	v_perm_b32 v68, v63, v61, s55
	s_nop 3
	v_cvt_f16_f32_e32 v0, v64
	v_cvt_f16_f32_e32 v9, v65
	v_cvt_f16_f32_e32 v10, v66
	v_cvt_f16_f32_e32 v59, v67
	v_cvt_f32_f16_e32 v64, v0
	v_cvt_f32_f16_e32 v65, v9
	v_cvt_f32_f16_e32 v66, v10
	v_cvt_f32_f16_e32 v67, v59
	s_nop 1
	v_mfma_f32_16x16x16f16 v[64:67], v[68:69], v[24:25], v[64:67]
	s_nop 7
	s_nop 2
	v_cvt_f16_f32_e32 v0, v64
	v_cvt_f16_f32_e32 v9, v65
	v_cvt_f16_f32_e32 v59, v66
	v_cvt_f16_f32_e32 v61, v67
	v_cvt_f32_f16_e32 v64, v14
	v_pack_b32_f16 v10, v0, v9
	v_cvt_f32_f16_sdwa v65, v14 dst_sel:DWORD dst_unused:UNUSED_PAD src0_sel:WORD_1
	v_pack_b32_f16 v9, v59, v61
	ds_read_u16 v0, v98 offset:416
	ds_read_u16 v59, v250 offset:528
	ds_read_u16 v61, v250 offset:1056
	ds_read_u16 v63, v100 offset:416
	v_cvt_f32_f16_e32 v66, v11
	v_cvt_f32_f16_sdwa v67, v11 dst_sel:DWORD dst_unused:UNUSED_PAD src0_sel:WORD_1
	s_waitcnt lgkmcnt(2)
	v_perm_b32 v68, v59, v0, s55
	s_waitcnt lgkmcnt(0)
	v_perm_b32 v69, v63, v61, s55
	s_nop 1
	v_mfma_f32_16x16x16f16 v[64:67], v[68:69], v[36:37], v[64:67]
	ds_read_u16 v61, v125 offset:16896
	ds_read_u16 v63, v143 offset:528
	ds_read_u16 v68, v251 offset:1056
	ds_read_u16 v69, v126 offset:16896
	s_waitcnt lgkmcnt(0)
	v_perm_b32 v69, v69, v68, s55
	v_perm_b32 v68, v63, v61, s55
	s_nop 3
	v_cvt_f16_f32_e32 v0, v64
	v_cvt_f16_f32_e32 v11, v65
	v_cvt_f16_f32_e32 v14, v66
	v_cvt_f16_f32_e32 v59, v67
	v_cvt_f32_f16_e32 v64, v0
	v_cvt_f32_f16_e32 v65, v11
	v_cvt_f32_f16_e32 v66, v14
	v_cvt_f32_f16_e32 v67, v59
	s_nop 1
	v_mfma_f32_16x16x16f16 v[64:67], v[68:69], v[24:25], v[64:67]
	s_nop 7
	s_nop 2
	v_cvt_f16_f32_e32 v0, v64
	v_cvt_f16_f32_e32 v11, v65
	v_cvt_f16_f32_e32 v59, v66
	v_cvt_f16_f32_e32 v61, v67
	v_cvt_f32_f16_e32 v64, v16
	v_pack_b32_f16 v14, v0, v11
	v_cvt_f32_f16_sdwa v65, v16 dst_sel:DWORD dst_unused:UNUSED_PAD src0_sel:WORD_1
	v_pack_b32_f16 v11, v59, v61
	ds_read_u16 v0, v98 offset:448
	ds_read_u16 v59, v252 offset:528
	ds_read_u16 v61, v252 offset:1056
	ds_read_u16 v63, v100 offset:448
	v_cvt_f32_f16_e32 v66, v15
	v_cvt_f32_f16_sdwa v67, v15 dst_sel:DWORD dst_unused:UNUSED_PAD src0_sel:WORD_1
	s_waitcnt lgkmcnt(2)
	v_perm_b32 v68, v59, v0, s55
	s_waitcnt lgkmcnt(0)
	v_perm_b32 v69, v63, v61, s55
	s_nop 1
	v_mfma_f32_16x16x16f16 v[64:67], v[68:69], v[36:37], v[64:67]
	ds_read_u16 v61, v127 offset:16896
	ds_read_u16 v63, v144 offset:528
	ds_read_u16 v68, v253 offset:1056
	ds_read_u16 v69, v128 offset:16896
	s_waitcnt lgkmcnt(0)
	v_perm_b32 v69, v69, v68, s55
	v_perm_b32 v68, v63, v61, s55
	s_nop 3
	v_cvt_f16_f32_e32 v0, v64
	v_cvt_f16_f32_e32 v15, v65
	v_cvt_f16_f32_e32 v16, v66
	v_cvt_f16_f32_e32 v59, v67
	v_cvt_f32_f16_e32 v64, v0
	v_cvt_f32_f16_e32 v65, v15
	v_cvt_f32_f16_e32 v66, v16
	v_cvt_f32_f16_e32 v67, v59
	s_nop 1
	v_mfma_f32_16x16x16f16 v[64:67], v[68:69], v[24:25], v[64:67]
	s_nop 7
	s_nop 2
	v_cvt_f16_f32_e32 v0, v64
	v_cvt_f16_f32_e32 v15, v65
	;; [unrolled: 1-line block ×4, first 2 shown]
	v_cvt_f32_f16_e32 v64, v39
	v_pack_b32_f16 v16, v0, v15
	v_cvt_f32_f16_sdwa v65, v39 dst_sel:DWORD dst_unused:UNUSED_PAD src0_sel:WORD_1
	v_pack_b32_f16 v15, v59, v61
	ds_read_u16 v0, v98 offset:480
	ds_read_u16 v59, v254 offset:528
	;; [unrolled: 1-line block ×4, first 2 shown]
	v_cvt_f32_f16_e32 v66, v38
	v_cvt_f32_f16_sdwa v67, v38 dst_sel:DWORD dst_unused:UNUSED_PAD src0_sel:WORD_1
	s_waitcnt lgkmcnt(2)
	v_perm_b32 v38, v59, v0, s55
	s_waitcnt lgkmcnt(0)
	v_perm_b32 v39, v63, v61, s55
	s_nop 1
	v_mfma_f32_16x16x16f16 v[36:39], v[38:39], v[36:37], v[64:67]
	s_nop 7
	s_nop 2
	v_cvt_f16_f32_e32 v0, v36
	v_cvt_f16_f32_e32 v36, v37
	;; [unrolled: 1-line block ×4, first 2 shown]
	ds_read_u16 v39, v129 offset:16896
	ds_read_u16 v59, v145 offset:528
	;; [unrolled: 1-line block ×4, first 2 shown]
	v_cvt_f32_f16_e32 v65, v36
	v_cvt_f32_f16_e32 v66, v37
	s_waitcnt lgkmcnt(2)
	v_perm_b32 v36, v59, v39, s55
	v_cvt_f32_f16_e32 v64, v0
	s_waitcnt lgkmcnt(0)
	v_perm_b32 v37, v63, v61, s55
	v_cvt_f32_f16_e32 v67, v38
	s_barrier
	s_nop 0
	v_mfma_f32_16x16x16f16 v[36:39], v[36:37], v[24:25], v[64:67]
	s_nop 7
	s_nop 2
	v_cvt_f16_f32_e32 v0, v36
	v_cvt_f16_f32_e32 v24, v37
	;; [unrolled: 1-line block ×4, first 2 shown]
	v_pack_b32_f16 v24, v0, v24
	ds_bpermute_b32 v0, v13, v35
	v_pack_b32_f16 v25, v25, v36
	s_waitcnt lgkmcnt(0)
	v_add_f32_e32 v0, v35, v0
	ds_bpermute_b32 v13, v41, v0
	s_waitcnt lgkmcnt(0)
	v_add_f32_e32 v13, v0, v13
	s_and_saveexec_b64 s[10:11], s[8:9]
	s_xor_b64 s[8:9], exec, s[10:11]
	s_andn2_saveexec_b64 s[8:9], s[8:9]
	s_cbranch_execz .LBB29_265
; %bb.264:                              ;   in Loop: Header=BB29_14 Depth=1
	v_lshlrev_b32_e32 v0, 2, v60
	global_load_dword v0, v0, s[72:73]
	v_max_f32_e32 v36, v12, v12
	s_waitcnt vmcnt(0)
	v_max_f32_e32 v35, v0, v0
	v_max_f32_e32 v36, v36, v35
	v_sub_f32_e32 v12, v12, v36
	v_mul_f32_e32 v35, 0x3fb8aa3b, v12
	v_fma_f32 v37, v12, s43, -v35
	v_rndne_f32_e32 v38, v35
	v_fmac_f32_e32 v37, 0x32a5705f, v12
	v_sub_f32_e32 v35, v35, v38
	v_add_f32_e32 v35, v35, v37
	v_exp_f32_e32 v35, v35
	v_cvt_i32_f32_e32 v37, v38
	v_cmp_ngt_f32_e32 vcc, s67, v12
	v_sub_f32_e32 v0, v0, v36
	v_ldexp_f32 v35, v35, v37
	v_cndmask_b32_e32 v35, 0, v35, vcc
	v_cmp_nlt_f32_e32 vcc, s34, v12
	v_cndmask_b32_e32 v35, v190, v35, vcc
	v_cmp_le_f32_e32 vcc, s35, v12
	v_cndmask_b32_e32 v12, 0, v35, vcc
	v_cvt_f16_f32_e32 v35, v12
	v_cmp_ngt_f32_e32 vcc, s67, v0
	v_pk_mul_f16 v18, v35, v18 op_sel_hi:[0,1]
	v_pk_mul_f16 v17, v35, v17 op_sel_hi:[0,1]
	;; [unrolled: 1-line block ×32, first 2 shown]
	v_mul_f32_e32 v35, 0x3fb8aa3b, v0
	v_fma_f32 v37, v0, s43, -v35
	v_rndne_f32_e32 v38, v35
	v_fmac_f32_e32 v37, 0x32a5705f, v0
	v_sub_f32_e32 v35, v35, v38
	v_add_f32_e32 v35, v35, v37
	v_exp_f32_e32 v35, v35
	v_cvt_i32_f32_e32 v37, v38
	v_ldexp_f32 v35, v35, v37
	v_cndmask_b32_e32 v35, 0, v35, vcc
	v_cmp_nlt_f32_e32 vcc, s34, v0
	v_cndmask_b32_e32 v37, v190, v35, vcc
	v_fmac_f32_e32 v37, v13, v12
	v_pk_mov_b32 v[12:13], v[36:37], v[36:37] op_sel:[0,1]
.LBB29_265:                             ;   in Loop: Header=BB29_14 Depth=1
	s_or_b64 exec, exec, s[8:9]
	s_and_saveexec_b64 s[8:9], s[4:5]
	s_cbranch_execz .LBB29_267
; %bb.266:                              ;   in Loop: Header=BB29_14 Depth=1
	v_add_u32_e32 v0, 0, v152
	ds_write2_b32 v0, v12, v13 offset0:64 offset1:65
.LBB29_267:                             ;   in Loop: Header=BB29_14 Depth=1
	s_or_b64 exec, exec, s[8:9]
	s_waitcnt lgkmcnt(0)
	s_barrier
	s_and_saveexec_b64 s[8:9], s[2:3]
	s_xor_b64 s[8:9], exec, s[8:9]
	s_cbranch_execz .LBB29_269
; %bb.268:                              ;   in Loop: Header=BB29_14 Depth=1
	s_barrier
	s_waitcnt lgkmcnt(0)
                                        ; implicit-def: $vgpr41
.LBB29_269:                             ;   in Loop: Header=BB29_14 Depth=1
	s_andn2_saveexec_b64 s[8:9], s[8:9]
	s_cbranch_execz .LBB29_273
; %bb.270:                              ;   in Loop: Header=BB29_14 Depth=1
	v_add_u32_e32 v0, 0, v153
	ds_read_b64 v[12:13], v0 offset:256
	s_waitcnt lgkmcnt(0)
	s_barrier
	ds_bpermute_b32 v35, v41, v12
	v_max_f32_e32 v36, v12, v12
	s_waitcnt lgkmcnt(0)
	v_max_f32_e32 v35, v35, v35
	v_max_f32_e32 v35, v36, v35
	v_sub_f32_e32 v12, v12, v35
	v_mul_f32_e32 v35, 0x3fb8aa3b, v12
	v_fma_f32 v36, v12, s43, -v35
	v_rndne_f32_e32 v37, v35
	v_fmac_f32_e32 v36, 0x32a5705f, v12
	v_sub_f32_e32 v35, v35, v37
	v_add_f32_e32 v35, v35, v36
	v_cvt_i32_f32_e32 v37, v37
	v_exp_f32_e32 v35, v35
	v_cmp_ngt_f32_e32 vcc, s67, v12
	v_ldexp_f32 v35, v35, v37
	v_cndmask_b32_e32 v35, 0, v35, vcc
	v_cmp_nlt_f32_e32 vcc, s34, v12
	v_cndmask_b32_e32 v12, v190, v35, vcc
	v_mul_f32_e32 v13, v13, v12
	ds_bpermute_b32 v35, v41, v13
	s_mov_b64 s[72:73], exec
	v_readlane_b32 s10, v255, 16
	v_readlane_b32 s11, v255, 17
	s_and_b64 s[10:11], s[72:73], s[10:11]
	s_mov_b64 exec, s[10:11]
	s_cbranch_execz .LBB29_272
; %bb.271:                              ;   in Loop: Header=BB29_14 Depth=1
	s_waitcnt lgkmcnt(0)
	v_add_f32_e32 v13, v13, v35
	ds_write_b64 v0, v[12:13] offset:256
.LBB29_272:                             ;   in Loop: Header=BB29_14 Depth=1
	s_or_b64 exec, exec, s[72:73]
.LBB29_273:                             ;   in Loop: Header=BB29_14 Depth=1
	s_or_b64 exec, exec, s[8:9]
	ds_write2_b32 v154, v18, v17 offset1:1
	ds_write2_b32 v154, v20, v19 offset0:8 offset1:9
	ds_write2_b32 v154, v22, v21 offset0:16 offset1:17
	;; [unrolled: 1-line block ×7, first 2 shown]
	s_waitcnt lgkmcnt(0)
	s_barrier
	s_and_saveexec_b64 s[72:73], s[0:1]
	s_cbranch_execz .LBB29_351
; %bb.274:                              ;   in Loop: Header=BB29_14 Depth=1
	v_add_u32_e32 v12, s78, v193
	v_or_b32_e32 v0, s89, v62
	v_cmp_gt_i32_e32 vcc, s28, v12
	v_cmp_gt_i32_e64 s[8:9], s80, v0
	s_and_b64 s[10:11], vcc, s[8:9]
	v_mov_b32_e32 v0, 0x47
	s_and_saveexec_b64 s[74:75], s[10:11]
	s_cbranch_execz .LBB29_276
; %bb.275:                              ;   in Loop: Header=BB29_14 Depth=1
	v_add_u32_e32 v0, 0, v155
	ds_read2_b32 v[18:19], v0 offset0:64 offset1:65
	ds_read2st64_b32 v[20:21], v156 offset1:17
	ds_read_b32 v0, v0 offset:4608
	v_mad_u64_u32 v[12:13], s[10:11], v12, s29, v[62:63]
	v_lshl_add_u32 v12, v12, 7, v92
	s_waitcnt lgkmcnt(1)
	v_cvt_f32_f16_sdwa v23, v20 dst_sel:DWORD dst_unused:UNUSED_PAD src0_sel:WORD_1
	v_cvt_f32_f16_e32 v22, v20
	v_cvt_f32_f16_sdwa v27, v21 dst_sel:DWORD dst_unused:UNUSED_PAD src0_sel:WORD_1
	v_cvt_f32_f16_e32 v26, v21
	v_ashrrev_i32_e32 v13, 31, v12
	v_pk_fma_f32 v[22:23], v[18:19], v[22:23], 0 op_sel_hi:[0,1,0]
	v_lshlrev_b64 v[12:13], 3, v[12:13]
	s_waitcnt lgkmcnt(0)
	v_pk_fma_f32 v[20:21], v[0:1], v[26:27], v[22:23] op_sel_hi:[0,1,1]
	v_add_co_u32_e32 v12, vcc, s7, v12
	v_mov_b32_e32 v17, s6
	v_div_scale_f32 v0, s[10:11], v19, v19, v21
	v_addc_co_u32_e32 v13, vcc, v17, v13, vcc
	v_rcp_f32_e32 v17, v0
	v_fma_f32 v18, -v0, v17, 1.0
	v_fmac_f32_e32 v17, v18, v17
	v_div_scale_f32 v18, vcc, v21, v19, v21
	v_mul_f32_e32 v22, v18, v17
	v_fma_f32 v23, -v0, v22, v18
	v_fmac_f32_e32 v22, v23, v17
	v_fma_f32 v0, -v0, v22, v18
	v_div_fmas_f32 v0, v0, v17, v22
	v_div_fixup_f32 v21, v0, v19, v21
	v_div_scale_f32 v0, s[10:11], v19, v19, v20
	v_rcp_f32_e32 v17, v0
	v_fma_f32 v18, -v0, v17, 1.0
	v_fmac_f32_e32 v17, v18, v17
	v_div_scale_f32 v18, vcc, v20, v19, v20
	v_mul_f32_e32 v22, v18, v17
	v_fma_f32 v23, -v0, v22, v18
	v_fmac_f32_e32 v22, v23, v17
	v_fma_f32 v0, -v0, v22, v18
	v_div_fmas_f32 v0, v0, v17, v22
	v_div_fixup_f32 v20, v0, v19, v20
	v_mov_b32_e32 v0, 0
	global_store_dwordx2 v[12:13], v[20:21], off
.LBB29_276:                             ;   in Loop: Header=BB29_14 Depth=1
	s_or_b64 exec, exec, s[74:75]
	v_cmp_gt_i32_e32 vcc, s66, v0
	s_mov_b64 s[74:75], -1
	s_and_saveexec_b64 s[76:77], vcc
; %bb.277:                              ;   in Loop: Header=BB29_14 Depth=1
	v_cmp_eq_u32_e32 vcc, 0, v0
	s_orn2_b64 s[74:75], vcc, exec
; %bb.278:                              ;   in Loop: Header=BB29_14 Depth=1
	s_or_b64 exec, exec, s[76:77]
	s_and_b64 exec, exec, s[74:75]
	s_cbranch_execz .LBB29_351
; %bb.279:                              ;   in Loop: Header=BB29_14 Depth=1
	v_add_u32_e32 v12, s78, v157
	v_cmp_gt_i32_e32 vcc, s28, v12
	s_and_b64 s[10:11], vcc, s[8:9]
	v_mov_b32_e32 v0, 0x47
	s_and_saveexec_b64 s[74:75], s[10:11]
	s_cbranch_execz .LBB29_281
; %bb.280:                              ;   in Loop: Header=BB29_14 Depth=1
	buffer_load_dword v0, off, s[96:99], 0  ; 4-byte Folded Reload
	v_mad_u64_u32 v[12:13], s[10:11], v12, s29, v[62:63]
	buffer_load_dword v13, off, s[96:99], 0 offset:4 ; 4-byte Folded Reload
	v_lshl_add_u32 v12, v12, 7, v92
	v_mov_b32_e32 v17, s6
	s_waitcnt vmcnt(1)
	v_add_u32_e32 v0, 0, v0
	ds_read2_b32 v[18:19], v0 offset0:64 offset1:65
	s_waitcnt vmcnt(0)
	ds_read2st64_b32 v[20:21], v13 offset1:17
	ds_read_b32 v0, v0 offset:4608
	v_ashrrev_i32_e32 v13, 31, v12
	v_lshlrev_b64 v[12:13], 3, v[12:13]
	v_add_co_u32_e32 v12, vcc, s7, v12
	s_waitcnt lgkmcnt(1)
	v_cvt_f32_f16_sdwa v23, v20 dst_sel:DWORD dst_unused:UNUSED_PAD src0_sel:WORD_1
	v_cvt_f32_f16_e32 v22, v20
	v_cvt_f32_f16_sdwa v27, v21 dst_sel:DWORD dst_unused:UNUSED_PAD src0_sel:WORD_1
	v_cvt_f32_f16_e32 v26, v21
	v_addc_co_u32_e32 v13, vcc, v17, v13, vcc
	v_pk_fma_f32 v[22:23], v[18:19], v[22:23], 0 op_sel_hi:[0,1,0]
	s_waitcnt lgkmcnt(0)
	v_pk_fma_f32 v[20:21], v[0:1], v[26:27], v[22:23] op_sel_hi:[0,1,1]
	v_div_scale_f32 v0, s[10:11], v19, v19, v21
	v_rcp_f32_e32 v17, v0
	v_fma_f32 v18, -v0, v17, 1.0
	v_fmac_f32_e32 v17, v18, v17
	v_div_scale_f32 v18, vcc, v21, v19, v21
	v_mul_f32_e32 v22, v18, v17
	v_fma_f32 v23, -v0, v22, v18
	v_fmac_f32_e32 v22, v23, v17
	v_fma_f32 v0, -v0, v22, v18
	v_div_fmas_f32 v0, v0, v17, v22
	v_div_fixup_f32 v21, v0, v19, v21
	v_div_scale_f32 v0, s[10:11], v19, v19, v20
	v_rcp_f32_e32 v17, v0
	v_fma_f32 v18, -v0, v17, 1.0
	v_fmac_f32_e32 v17, v18, v17
	v_div_scale_f32 v18, vcc, v20, v19, v20
	v_mul_f32_e32 v22, v18, v17
	v_fma_f32 v23, -v0, v22, v18
	v_fmac_f32_e32 v22, v23, v17
	v_fma_f32 v0, -v0, v22, v18
	v_div_fmas_f32 v0, v0, v17, v22
	v_div_fixup_f32 v20, v0, v19, v20
	v_mov_b32_e32 v0, 0
	global_store_dwordx2 v[12:13], v[20:21], off
.LBB29_281:                             ;   in Loop: Header=BB29_14 Depth=1
	s_or_b64 exec, exec, s[74:75]
	v_cmp_gt_i32_e32 vcc, s66, v0
	s_mov_b64 s[74:75], -1
	s_and_saveexec_b64 s[76:77], vcc
; %bb.282:                              ;   in Loop: Header=BB29_14 Depth=1
	v_cmp_eq_u32_e32 vcc, 0, v0
	s_orn2_b64 s[74:75], vcc, exec
; %bb.283:                              ;   in Loop: Header=BB29_14 Depth=1
	s_or_b64 exec, exec, s[76:77]
	s_and_b64 exec, exec, s[74:75]
	s_cbranch_execz .LBB29_351
; %bb.284:                              ;   in Loop: Header=BB29_14 Depth=1
	buffer_load_dword v0, off, s[96:99], 0 offset:8 ; 4-byte Folded Reload
	s_waitcnt vmcnt(0)
	v_add_u32_e32 v12, s78, v0
	v_cmp_gt_i32_e32 vcc, s28, v12
	s_and_b64 s[10:11], vcc, s[8:9]
	v_mov_b32_e32 v0, 0x47
	s_and_saveexec_b64 s[74:75], s[10:11]
	s_cbranch_execz .LBB29_286
; %bb.285:                              ;   in Loop: Header=BB29_14 Depth=1
	buffer_load_dword v0, off, s[96:99], 0 offset:84 ; 4-byte Folded Reload
	v_mad_u64_u32 v[12:13], s[10:11], v12, s29, v[62:63]
	buffer_load_dword v13, off, s[96:99], 0 offset:88 ; 4-byte Folded Reload
	v_lshl_add_u32 v12, v12, 7, v92
	v_mov_b32_e32 v17, s6
	s_waitcnt vmcnt(1)
	v_add_u32_e32 v0, 0, v0
	ds_read2_b32 v[18:19], v0 offset0:64 offset1:65
	s_waitcnt vmcnt(0)
	ds_read2st64_b32 v[20:21], v13 offset1:17
	ds_read_b32 v0, v0 offset:4608
	v_ashrrev_i32_e32 v13, 31, v12
	v_lshlrev_b64 v[12:13], 3, v[12:13]
	v_add_co_u32_e32 v12, vcc, s7, v12
	s_waitcnt lgkmcnt(1)
	v_cvt_f32_f16_sdwa v23, v20 dst_sel:DWORD dst_unused:UNUSED_PAD src0_sel:WORD_1
	v_cvt_f32_f16_e32 v22, v20
	v_cvt_f32_f16_sdwa v27, v21 dst_sel:DWORD dst_unused:UNUSED_PAD src0_sel:WORD_1
	v_cvt_f32_f16_e32 v26, v21
	v_addc_co_u32_e32 v13, vcc, v17, v13, vcc
	v_pk_fma_f32 v[22:23], v[18:19], v[22:23], 0 op_sel_hi:[0,1,0]
	s_waitcnt lgkmcnt(0)
	v_pk_fma_f32 v[20:21], v[0:1], v[26:27], v[22:23] op_sel_hi:[0,1,1]
	v_div_scale_f32 v0, s[10:11], v19, v19, v21
	v_rcp_f32_e32 v17, v0
	v_fma_f32 v18, -v0, v17, 1.0
	v_fmac_f32_e32 v17, v18, v17
	v_div_scale_f32 v18, vcc, v21, v19, v21
	v_mul_f32_e32 v22, v18, v17
	v_fma_f32 v23, -v0, v22, v18
	v_fmac_f32_e32 v22, v23, v17
	v_fma_f32 v0, -v0, v22, v18
	v_div_fmas_f32 v0, v0, v17, v22
	v_div_fixup_f32 v21, v0, v19, v21
	v_div_scale_f32 v0, s[10:11], v19, v19, v20
	v_rcp_f32_e32 v17, v0
	v_fma_f32 v18, -v0, v17, 1.0
	v_fmac_f32_e32 v17, v18, v17
	v_div_scale_f32 v18, vcc, v20, v19, v20
	v_mul_f32_e32 v22, v18, v17
	v_fma_f32 v23, -v0, v22, v18
	v_fmac_f32_e32 v22, v23, v17
	v_fma_f32 v0, -v0, v22, v18
	v_div_fmas_f32 v0, v0, v17, v22
	v_div_fixup_f32 v20, v0, v19, v20
	v_mov_b32_e32 v0, 0
	global_store_dwordx2 v[12:13], v[20:21], off
.LBB29_286:                             ;   in Loop: Header=BB29_14 Depth=1
	s_or_b64 exec, exec, s[74:75]
	v_cmp_gt_i32_e32 vcc, s66, v0
	s_mov_b64 s[74:75], -1
	s_and_saveexec_b64 s[76:77], vcc
; %bb.287:                              ;   in Loop: Header=BB29_14 Depth=1
	v_cmp_eq_u32_e32 vcc, 0, v0
	s_orn2_b64 s[74:75], vcc, exec
; %bb.288:                              ;   in Loop: Header=BB29_14 Depth=1
	s_or_b64 exec, exec, s[76:77]
	s_and_b64 exec, exec, s[74:75]
	s_cbranch_execz .LBB29_351
; %bb.289:                              ;   in Loop: Header=BB29_14 Depth=1
	buffer_load_dword v0, off, s[96:99], 0 offset:92 ; 4-byte Folded Reload
	s_waitcnt vmcnt(0)
	v_add_u32_e32 v12, s78, v0
	v_cmp_gt_i32_e32 vcc, s28, v12
	s_and_b64 s[10:11], vcc, s[8:9]
	v_mov_b32_e32 v0, 0x47
	s_and_saveexec_b64 s[74:75], s[10:11]
	s_cbranch_execz .LBB29_291
; %bb.290:                              ;   in Loop: Header=BB29_14 Depth=1
	buffer_load_dword v0, off, s[96:99], 0 offset:96 ; 4-byte Folded Reload
	v_mad_u64_u32 v[12:13], s[10:11], v12, s29, v[62:63]
	buffer_load_dword v13, off, s[96:99], 0 offset:100 ; 4-byte Folded Reload
	v_lshl_add_u32 v12, v12, 7, v92
	v_mov_b32_e32 v17, s6
	s_waitcnt vmcnt(1)
	v_add_u32_e32 v0, 0, v0
	ds_read2_b32 v[18:19], v0 offset0:64 offset1:65
	s_waitcnt vmcnt(0)
	ds_read2st64_b32 v[20:21], v13 offset1:17
	ds_read_b32 v0, v0 offset:4608
	v_ashrrev_i32_e32 v13, 31, v12
	v_lshlrev_b64 v[12:13], 3, v[12:13]
	v_add_co_u32_e32 v12, vcc, s7, v12
	s_waitcnt lgkmcnt(1)
	v_cvt_f32_f16_sdwa v23, v20 dst_sel:DWORD dst_unused:UNUSED_PAD src0_sel:WORD_1
	v_cvt_f32_f16_e32 v22, v20
	v_cvt_f32_f16_sdwa v27, v21 dst_sel:DWORD dst_unused:UNUSED_PAD src0_sel:WORD_1
	v_cvt_f32_f16_e32 v26, v21
	v_addc_co_u32_e32 v13, vcc, v17, v13, vcc
	v_pk_fma_f32 v[22:23], v[18:19], v[22:23], 0 op_sel_hi:[0,1,0]
	s_waitcnt lgkmcnt(0)
	v_pk_fma_f32 v[20:21], v[0:1], v[26:27], v[22:23] op_sel_hi:[0,1,1]
	v_div_scale_f32 v0, s[10:11], v19, v19, v21
	v_rcp_f32_e32 v17, v0
	v_fma_f32 v18, -v0, v17, 1.0
	v_fmac_f32_e32 v17, v18, v17
	v_div_scale_f32 v18, vcc, v21, v19, v21
	v_mul_f32_e32 v22, v18, v17
	v_fma_f32 v23, -v0, v22, v18
	v_fmac_f32_e32 v22, v23, v17
	v_fma_f32 v0, -v0, v22, v18
	v_div_fmas_f32 v0, v0, v17, v22
	v_div_fixup_f32 v21, v0, v19, v21
	v_div_scale_f32 v0, s[10:11], v19, v19, v20
	v_rcp_f32_e32 v17, v0
	v_fma_f32 v18, -v0, v17, 1.0
	v_fmac_f32_e32 v17, v18, v17
	v_div_scale_f32 v18, vcc, v20, v19, v20
	v_mul_f32_e32 v22, v18, v17
	v_fma_f32 v23, -v0, v22, v18
	v_fmac_f32_e32 v22, v23, v17
	v_fma_f32 v0, -v0, v22, v18
	v_div_fmas_f32 v0, v0, v17, v22
	v_div_fixup_f32 v20, v0, v19, v20
	v_mov_b32_e32 v0, 0
	global_store_dwordx2 v[12:13], v[20:21], off
.LBB29_291:                             ;   in Loop: Header=BB29_14 Depth=1
	s_or_b64 exec, exec, s[74:75]
	v_cmp_gt_i32_e32 vcc, s66, v0
	s_mov_b64 s[74:75], -1
	s_and_saveexec_b64 s[76:77], vcc
; %bb.292:                              ;   in Loop: Header=BB29_14 Depth=1
	v_cmp_eq_u32_e32 vcc, 0, v0
	s_orn2_b64 s[74:75], vcc, exec
; %bb.293:                              ;   in Loop: Header=BB29_14 Depth=1
	s_or_b64 exec, exec, s[76:77]
	s_and_b64 exec, exec, s[74:75]
	s_cbranch_execz .LBB29_351
; %bb.294:                              ;   in Loop: Header=BB29_14 Depth=1
	buffer_load_dword v0, off, s[96:99], 0 offset:104 ; 4-byte Folded Reload
	s_waitcnt vmcnt(0)
	v_add_u32_e32 v12, s78, v0
	v_cmp_gt_i32_e32 vcc, s28, v12
	s_and_b64 s[10:11], vcc, s[8:9]
	v_mov_b32_e32 v0, 0x47
	s_and_saveexec_b64 s[74:75], s[10:11]
	s_cbranch_execz .LBB29_296
; %bb.295:                              ;   in Loop: Header=BB29_14 Depth=1
	buffer_load_dword v0, off, s[96:99], 0 offset:108 ; 4-byte Folded Reload
	v_mad_u64_u32 v[12:13], s[10:11], v12, s29, v[62:63]
	buffer_load_dword v13, off, s[96:99], 0 offset:112 ; 4-byte Folded Reload
	v_lshl_add_u32 v12, v12, 7, v92
	v_mov_b32_e32 v17, s6
	s_waitcnt vmcnt(1)
	v_add_u32_e32 v0, 0, v0
	ds_read2_b32 v[18:19], v0 offset0:64 offset1:65
	s_waitcnt vmcnt(0)
	ds_read2st64_b32 v[20:21], v13 offset1:17
	ds_read_b32 v0, v0 offset:4608
	v_ashrrev_i32_e32 v13, 31, v12
	v_lshlrev_b64 v[12:13], 3, v[12:13]
	v_add_co_u32_e32 v12, vcc, s7, v12
	s_waitcnt lgkmcnt(1)
	v_cvt_f32_f16_sdwa v23, v20 dst_sel:DWORD dst_unused:UNUSED_PAD src0_sel:WORD_1
	v_cvt_f32_f16_e32 v22, v20
	v_cvt_f32_f16_sdwa v27, v21 dst_sel:DWORD dst_unused:UNUSED_PAD src0_sel:WORD_1
	v_cvt_f32_f16_e32 v26, v21
	v_addc_co_u32_e32 v13, vcc, v17, v13, vcc
	v_pk_fma_f32 v[22:23], v[18:19], v[22:23], 0 op_sel_hi:[0,1,0]
	s_waitcnt lgkmcnt(0)
	v_pk_fma_f32 v[20:21], v[0:1], v[26:27], v[22:23] op_sel_hi:[0,1,1]
	v_div_scale_f32 v0, s[10:11], v19, v19, v21
	v_rcp_f32_e32 v17, v0
	v_fma_f32 v18, -v0, v17, 1.0
	v_fmac_f32_e32 v17, v18, v17
	v_div_scale_f32 v18, vcc, v21, v19, v21
	v_mul_f32_e32 v22, v18, v17
	v_fma_f32 v23, -v0, v22, v18
	v_fmac_f32_e32 v22, v23, v17
	v_fma_f32 v0, -v0, v22, v18
	v_div_fmas_f32 v0, v0, v17, v22
	v_div_fixup_f32 v21, v0, v19, v21
	v_div_scale_f32 v0, s[10:11], v19, v19, v20
	v_rcp_f32_e32 v17, v0
	v_fma_f32 v18, -v0, v17, 1.0
	v_fmac_f32_e32 v17, v18, v17
	v_div_scale_f32 v18, vcc, v20, v19, v20
	v_mul_f32_e32 v22, v18, v17
	v_fma_f32 v23, -v0, v22, v18
	v_fmac_f32_e32 v22, v23, v17
	v_fma_f32 v0, -v0, v22, v18
	v_div_fmas_f32 v0, v0, v17, v22
	v_div_fixup_f32 v20, v0, v19, v20
	v_mov_b32_e32 v0, 0
	global_store_dwordx2 v[12:13], v[20:21], off
.LBB29_296:                             ;   in Loop: Header=BB29_14 Depth=1
	s_or_b64 exec, exec, s[74:75]
	v_cmp_gt_i32_e32 vcc, s66, v0
	s_mov_b64 s[74:75], -1
	s_and_saveexec_b64 s[76:77], vcc
; %bb.297:                              ;   in Loop: Header=BB29_14 Depth=1
	v_cmp_eq_u32_e32 vcc, 0, v0
	s_orn2_b64 s[74:75], vcc, exec
; %bb.298:                              ;   in Loop: Header=BB29_14 Depth=1
	s_or_b64 exec, exec, s[76:77]
	s_and_b64 exec, exec, s[74:75]
	s_cbranch_execz .LBB29_351
; %bb.299:                              ;   in Loop: Header=BB29_14 Depth=1
	buffer_load_dword v0, off, s[96:99], 0 offset:116 ; 4-byte Folded Reload
	s_waitcnt vmcnt(0)
	v_add_u32_e32 v12, s78, v0
	v_cmp_gt_i32_e32 vcc, s28, v12
	s_and_b64 s[10:11], vcc, s[8:9]
	v_mov_b32_e32 v0, 0x47
	s_and_saveexec_b64 s[74:75], s[10:11]
	s_cbranch_execz .LBB29_301
; %bb.300:                              ;   in Loop: Header=BB29_14 Depth=1
	buffer_load_dword v0, off, s[96:99], 0 offset:124 ; 4-byte Folded Reload
	v_mad_u64_u32 v[12:13], s[10:11], v12, s29, v[62:63]
	buffer_load_dword v13, off, s[96:99], 0 offset:128 ; 4-byte Folded Reload
	v_lshl_add_u32 v12, v12, 7, v92
	v_mov_b32_e32 v17, s6
	s_waitcnt vmcnt(1)
	v_add_u32_e32 v0, 0, v0
	ds_read2_b32 v[18:19], v0 offset0:64 offset1:65
	s_waitcnt vmcnt(0)
	ds_read2st64_b32 v[20:21], v13 offset1:17
	ds_read_b32 v0, v0 offset:4608
	v_ashrrev_i32_e32 v13, 31, v12
	v_lshlrev_b64 v[12:13], 3, v[12:13]
	v_add_co_u32_e32 v12, vcc, s7, v12
	s_waitcnt lgkmcnt(1)
	v_cvt_f32_f16_sdwa v23, v20 dst_sel:DWORD dst_unused:UNUSED_PAD src0_sel:WORD_1
	v_cvt_f32_f16_e32 v22, v20
	v_cvt_f32_f16_sdwa v27, v21 dst_sel:DWORD dst_unused:UNUSED_PAD src0_sel:WORD_1
	v_cvt_f32_f16_e32 v26, v21
	v_addc_co_u32_e32 v13, vcc, v17, v13, vcc
	v_pk_fma_f32 v[22:23], v[18:19], v[22:23], 0 op_sel_hi:[0,1,0]
	s_waitcnt lgkmcnt(0)
	v_pk_fma_f32 v[20:21], v[0:1], v[26:27], v[22:23] op_sel_hi:[0,1,1]
	v_div_scale_f32 v0, s[10:11], v19, v19, v21
	v_rcp_f32_e32 v17, v0
	v_fma_f32 v18, -v0, v17, 1.0
	v_fmac_f32_e32 v17, v18, v17
	v_div_scale_f32 v18, vcc, v21, v19, v21
	v_mul_f32_e32 v22, v18, v17
	v_fma_f32 v23, -v0, v22, v18
	v_fmac_f32_e32 v22, v23, v17
	v_fma_f32 v0, -v0, v22, v18
	v_div_fmas_f32 v0, v0, v17, v22
	v_div_fixup_f32 v21, v0, v19, v21
	v_div_scale_f32 v0, s[10:11], v19, v19, v20
	v_rcp_f32_e32 v17, v0
	v_fma_f32 v18, -v0, v17, 1.0
	v_fmac_f32_e32 v17, v18, v17
	v_div_scale_f32 v18, vcc, v20, v19, v20
	v_mul_f32_e32 v22, v18, v17
	v_fma_f32 v23, -v0, v22, v18
	v_fmac_f32_e32 v22, v23, v17
	v_fma_f32 v0, -v0, v22, v18
	v_div_fmas_f32 v0, v0, v17, v22
	v_div_fixup_f32 v20, v0, v19, v20
	v_mov_b32_e32 v0, 0
	global_store_dwordx2 v[12:13], v[20:21], off
.LBB29_301:                             ;   in Loop: Header=BB29_14 Depth=1
	s_or_b64 exec, exec, s[74:75]
	v_cmp_gt_i32_e32 vcc, s66, v0
	s_mov_b64 s[74:75], -1
	s_and_saveexec_b64 s[76:77], vcc
; %bb.302:                              ;   in Loop: Header=BB29_14 Depth=1
	v_cmp_eq_u32_e32 vcc, 0, v0
	s_orn2_b64 s[74:75], vcc, exec
; %bb.303:                              ;   in Loop: Header=BB29_14 Depth=1
	s_or_b64 exec, exec, s[76:77]
	s_and_b64 exec, exec, s[74:75]
	s_cbranch_execz .LBB29_351
; %bb.304:                              ;   in Loop: Header=BB29_14 Depth=1
	buffer_load_dword v0, off, s[96:99], 0 offset:132 ; 4-byte Folded Reload
	s_waitcnt vmcnt(0)
	v_add_u32_e32 v12, s78, v0
	v_cmp_gt_i32_e32 vcc, s28, v12
	s_and_b64 s[10:11], vcc, s[8:9]
	v_mov_b32_e32 v0, 0x47
	s_and_saveexec_b64 s[74:75], s[10:11]
	s_cbranch_execz .LBB29_306
; %bb.305:                              ;   in Loop: Header=BB29_14 Depth=1
	buffer_load_dword v0, off, s[96:99], 0 offset:136 ; 4-byte Folded Reload
	v_mad_u64_u32 v[12:13], s[10:11], v12, s29, v[62:63]
	buffer_load_dword v13, off, s[96:99], 0 offset:140 ; 4-byte Folded Reload
	v_lshl_add_u32 v12, v12, 7, v92
	v_mov_b32_e32 v17, s6
	s_waitcnt vmcnt(1)
	v_add_u32_e32 v0, 0, v0
	ds_read2_b32 v[18:19], v0 offset0:64 offset1:65
	s_waitcnt vmcnt(0)
	ds_read2st64_b32 v[20:21], v13 offset1:17
	ds_read_b32 v0, v0 offset:4608
	v_ashrrev_i32_e32 v13, 31, v12
	v_lshlrev_b64 v[12:13], 3, v[12:13]
	v_add_co_u32_e32 v12, vcc, s7, v12
	s_waitcnt lgkmcnt(1)
	v_cvt_f32_f16_sdwa v23, v20 dst_sel:DWORD dst_unused:UNUSED_PAD src0_sel:WORD_1
	v_cvt_f32_f16_e32 v22, v20
	v_cvt_f32_f16_sdwa v27, v21 dst_sel:DWORD dst_unused:UNUSED_PAD src0_sel:WORD_1
	v_cvt_f32_f16_e32 v26, v21
	v_addc_co_u32_e32 v13, vcc, v17, v13, vcc
	v_pk_fma_f32 v[22:23], v[18:19], v[22:23], 0 op_sel_hi:[0,1,0]
	s_waitcnt lgkmcnt(0)
	v_pk_fma_f32 v[20:21], v[0:1], v[26:27], v[22:23] op_sel_hi:[0,1,1]
	v_div_scale_f32 v0, s[10:11], v19, v19, v21
	v_rcp_f32_e32 v17, v0
	v_fma_f32 v18, -v0, v17, 1.0
	v_fmac_f32_e32 v17, v18, v17
	v_div_scale_f32 v18, vcc, v21, v19, v21
	v_mul_f32_e32 v22, v18, v17
	v_fma_f32 v23, -v0, v22, v18
	v_fmac_f32_e32 v22, v23, v17
	v_fma_f32 v0, -v0, v22, v18
	v_div_fmas_f32 v0, v0, v17, v22
	v_div_fixup_f32 v21, v0, v19, v21
	v_div_scale_f32 v0, s[10:11], v19, v19, v20
	v_rcp_f32_e32 v17, v0
	v_fma_f32 v18, -v0, v17, 1.0
	v_fmac_f32_e32 v17, v18, v17
	v_div_scale_f32 v18, vcc, v20, v19, v20
	v_mul_f32_e32 v22, v18, v17
	v_fma_f32 v23, -v0, v22, v18
	v_fmac_f32_e32 v22, v23, v17
	v_fma_f32 v0, -v0, v22, v18
	v_div_fmas_f32 v0, v0, v17, v22
	v_div_fixup_f32 v20, v0, v19, v20
	v_mov_b32_e32 v0, 0
	global_store_dwordx2 v[12:13], v[20:21], off
.LBB29_306:                             ;   in Loop: Header=BB29_14 Depth=1
	s_or_b64 exec, exec, s[74:75]
	v_cmp_gt_i32_e32 vcc, s66, v0
	s_mov_b64 s[74:75], -1
	s_and_saveexec_b64 s[76:77], vcc
; %bb.307:                              ;   in Loop: Header=BB29_14 Depth=1
	v_cmp_eq_u32_e32 vcc, 0, v0
	s_orn2_b64 s[74:75], vcc, exec
; %bb.308:                              ;   in Loop: Header=BB29_14 Depth=1
	s_or_b64 exec, exec, s[76:77]
	s_and_b64 exec, exec, s[74:75]
	s_cbranch_execz .LBB29_351
; %bb.309:                              ;   in Loop: Header=BB29_14 Depth=1
	buffer_load_dword v0, off, s[96:99], 0 offset:144 ; 4-byte Folded Reload
	s_waitcnt vmcnt(0)
	v_add_u32_e32 v12, s78, v0
	v_cmp_gt_i32_e32 vcc, s28, v12
	s_and_b64 s[10:11], vcc, s[8:9]
	v_mov_b32_e32 v0, 0x47
	s_and_saveexec_b64 s[74:75], s[10:11]
	s_cbranch_execz .LBB29_311
; %bb.310:                              ;   in Loop: Header=BB29_14 Depth=1
	buffer_load_dword v0, off, s[96:99], 0 offset:148 ; 4-byte Folded Reload
	v_mad_u64_u32 v[12:13], s[10:11], v12, s29, v[62:63]
	buffer_load_dword v13, off, s[96:99], 0 offset:152 ; 4-byte Folded Reload
	v_lshl_add_u32 v12, v12, 7, v92
	v_mov_b32_e32 v17, s6
	s_waitcnt vmcnt(1)
	v_add_u32_e32 v0, 0, v0
	ds_read2_b32 v[18:19], v0 offset0:64 offset1:65
	s_waitcnt vmcnt(0)
	ds_read2st64_b32 v[20:21], v13 offset1:17
	ds_read_b32 v0, v0 offset:4608
	v_ashrrev_i32_e32 v13, 31, v12
	v_lshlrev_b64 v[12:13], 3, v[12:13]
	v_add_co_u32_e32 v12, vcc, s7, v12
	s_waitcnt lgkmcnt(1)
	v_cvt_f32_f16_sdwa v23, v20 dst_sel:DWORD dst_unused:UNUSED_PAD src0_sel:WORD_1
	v_cvt_f32_f16_e32 v22, v20
	v_cvt_f32_f16_sdwa v27, v21 dst_sel:DWORD dst_unused:UNUSED_PAD src0_sel:WORD_1
	v_cvt_f32_f16_e32 v26, v21
	v_addc_co_u32_e32 v13, vcc, v17, v13, vcc
	v_pk_fma_f32 v[22:23], v[18:19], v[22:23], 0 op_sel_hi:[0,1,0]
	s_waitcnt lgkmcnt(0)
	v_pk_fma_f32 v[20:21], v[0:1], v[26:27], v[22:23] op_sel_hi:[0,1,1]
	v_div_scale_f32 v0, s[10:11], v19, v19, v21
	v_rcp_f32_e32 v17, v0
	v_fma_f32 v18, -v0, v17, 1.0
	v_fmac_f32_e32 v17, v18, v17
	v_div_scale_f32 v18, vcc, v21, v19, v21
	v_mul_f32_e32 v22, v18, v17
	v_fma_f32 v23, -v0, v22, v18
	v_fmac_f32_e32 v22, v23, v17
	v_fma_f32 v0, -v0, v22, v18
	v_div_fmas_f32 v0, v0, v17, v22
	v_div_fixup_f32 v21, v0, v19, v21
	v_div_scale_f32 v0, s[10:11], v19, v19, v20
	v_rcp_f32_e32 v17, v0
	v_fma_f32 v18, -v0, v17, 1.0
	v_fmac_f32_e32 v17, v18, v17
	v_div_scale_f32 v18, vcc, v20, v19, v20
	v_mul_f32_e32 v22, v18, v17
	v_fma_f32 v23, -v0, v22, v18
	v_fmac_f32_e32 v22, v23, v17
	v_fma_f32 v0, -v0, v22, v18
	v_div_fmas_f32 v0, v0, v17, v22
	v_div_fixup_f32 v20, v0, v19, v20
	v_mov_b32_e32 v0, 0
	global_store_dwordx2 v[12:13], v[20:21], off
.LBB29_311:                             ;   in Loop: Header=BB29_14 Depth=1
	s_or_b64 exec, exec, s[74:75]
	v_cmp_gt_i32_e32 vcc, s66, v0
	s_mov_b64 s[74:75], -1
	s_and_saveexec_b64 s[76:77], vcc
; %bb.312:                              ;   in Loop: Header=BB29_14 Depth=1
	v_cmp_eq_u32_e32 vcc, 0, v0
	s_orn2_b64 s[74:75], vcc, exec
; %bb.313:                              ;   in Loop: Header=BB29_14 Depth=1
	s_or_b64 exec, exec, s[76:77]
	s_and_b64 exec, exec, s[74:75]
	s_cbranch_execz .LBB29_351
; %bb.314:                              ;   in Loop: Header=BB29_14 Depth=1
	buffer_load_dword v0, off, s[96:99], 0 offset:156 ; 4-byte Folded Reload
	s_waitcnt vmcnt(0)
	v_add_u32_e32 v12, s78, v0
	v_cmp_gt_i32_e32 vcc, s28, v12
	s_and_b64 s[10:11], vcc, s[8:9]
	v_mov_b32_e32 v0, 0x47
	s_and_saveexec_b64 s[74:75], s[10:11]
	s_cbranch_execz .LBB29_316
; %bb.315:                              ;   in Loop: Header=BB29_14 Depth=1
	buffer_load_dword v0, off, s[96:99], 0 offset:160 ; 4-byte Folded Reload
	v_mad_u64_u32 v[12:13], s[10:11], v12, s29, v[62:63]
	buffer_load_dword v13, off, s[96:99], 0 offset:164 ; 4-byte Folded Reload
	v_lshl_add_u32 v12, v12, 7, v92
	v_mov_b32_e32 v17, s6
	s_waitcnt vmcnt(1)
	v_add_u32_e32 v0, 0, v0
	ds_read2_b32 v[18:19], v0 offset0:64 offset1:65
	s_waitcnt vmcnt(0)
	ds_read2st64_b32 v[20:21], v13 offset1:17
	ds_read_b32 v0, v0 offset:4608
	v_ashrrev_i32_e32 v13, 31, v12
	v_lshlrev_b64 v[12:13], 3, v[12:13]
	v_add_co_u32_e32 v12, vcc, s7, v12
	s_waitcnt lgkmcnt(1)
	v_cvt_f32_f16_sdwa v23, v20 dst_sel:DWORD dst_unused:UNUSED_PAD src0_sel:WORD_1
	v_cvt_f32_f16_e32 v22, v20
	v_cvt_f32_f16_sdwa v27, v21 dst_sel:DWORD dst_unused:UNUSED_PAD src0_sel:WORD_1
	v_cvt_f32_f16_e32 v26, v21
	v_addc_co_u32_e32 v13, vcc, v17, v13, vcc
	v_pk_fma_f32 v[22:23], v[18:19], v[22:23], 0 op_sel_hi:[0,1,0]
	s_waitcnt lgkmcnt(0)
	v_pk_fma_f32 v[20:21], v[0:1], v[26:27], v[22:23] op_sel_hi:[0,1,1]
	v_div_scale_f32 v0, s[10:11], v19, v19, v21
	v_rcp_f32_e32 v17, v0
	v_fma_f32 v18, -v0, v17, 1.0
	v_fmac_f32_e32 v17, v18, v17
	v_div_scale_f32 v18, vcc, v21, v19, v21
	v_mul_f32_e32 v22, v18, v17
	v_fma_f32 v23, -v0, v22, v18
	v_fmac_f32_e32 v22, v23, v17
	v_fma_f32 v0, -v0, v22, v18
	v_div_fmas_f32 v0, v0, v17, v22
	v_div_fixup_f32 v21, v0, v19, v21
	v_div_scale_f32 v0, s[10:11], v19, v19, v20
	v_rcp_f32_e32 v17, v0
	v_fma_f32 v18, -v0, v17, 1.0
	v_fmac_f32_e32 v17, v18, v17
	v_div_scale_f32 v18, vcc, v20, v19, v20
	v_mul_f32_e32 v22, v18, v17
	v_fma_f32 v23, -v0, v22, v18
	v_fmac_f32_e32 v22, v23, v17
	v_fma_f32 v0, -v0, v22, v18
	v_div_fmas_f32 v0, v0, v17, v22
	v_div_fixup_f32 v20, v0, v19, v20
	v_mov_b32_e32 v0, 0
	global_store_dwordx2 v[12:13], v[20:21], off
.LBB29_316:                             ;   in Loop: Header=BB29_14 Depth=1
	s_or_b64 exec, exec, s[74:75]
	v_cmp_gt_i32_e32 vcc, s66, v0
	s_mov_b64 s[74:75], -1
	s_and_saveexec_b64 s[76:77], vcc
; %bb.317:                              ;   in Loop: Header=BB29_14 Depth=1
	v_cmp_eq_u32_e32 vcc, 0, v0
	s_orn2_b64 s[74:75], vcc, exec
; %bb.318:                              ;   in Loop: Header=BB29_14 Depth=1
	s_or_b64 exec, exec, s[76:77]
	s_and_b64 exec, exec, s[74:75]
	s_cbranch_execz .LBB29_351
; %bb.319:                              ;   in Loop: Header=BB29_14 Depth=1
	buffer_load_dword v0, off, s[96:99], 0 offset:168 ; 4-byte Folded Reload
	s_waitcnt vmcnt(0)
	v_add_u32_e32 v12, s78, v0
	v_cmp_gt_i32_e32 vcc, s28, v12
	s_and_b64 s[10:11], vcc, s[8:9]
	v_mov_b32_e32 v0, 0x47
	s_and_saveexec_b64 s[74:75], s[10:11]
	s_cbranch_execz .LBB29_321
; %bb.320:                              ;   in Loop: Header=BB29_14 Depth=1
	buffer_load_dword v0, off, s[96:99], 0 offset:172 ; 4-byte Folded Reload
	v_mad_u64_u32 v[12:13], s[10:11], v12, s29, v[62:63]
	buffer_load_dword v13, off, s[96:99], 0 offset:176 ; 4-byte Folded Reload
	v_lshl_add_u32 v12, v12, 7, v92
	v_mov_b32_e32 v17, s6
	s_waitcnt vmcnt(1)
	v_add_u32_e32 v0, 0, v0
	ds_read2_b32 v[18:19], v0 offset0:64 offset1:65
	s_waitcnt vmcnt(0)
	ds_read2st64_b32 v[20:21], v13 offset1:17
	ds_read_b32 v0, v0 offset:4608
	v_ashrrev_i32_e32 v13, 31, v12
	v_lshlrev_b64 v[12:13], 3, v[12:13]
	v_add_co_u32_e32 v12, vcc, s7, v12
	s_waitcnt lgkmcnt(1)
	v_cvt_f32_f16_sdwa v23, v20 dst_sel:DWORD dst_unused:UNUSED_PAD src0_sel:WORD_1
	v_cvt_f32_f16_e32 v22, v20
	v_cvt_f32_f16_sdwa v27, v21 dst_sel:DWORD dst_unused:UNUSED_PAD src0_sel:WORD_1
	v_cvt_f32_f16_e32 v26, v21
	v_addc_co_u32_e32 v13, vcc, v17, v13, vcc
	v_pk_fma_f32 v[22:23], v[18:19], v[22:23], 0 op_sel_hi:[0,1,0]
	s_waitcnt lgkmcnt(0)
	v_pk_fma_f32 v[20:21], v[0:1], v[26:27], v[22:23] op_sel_hi:[0,1,1]
	v_div_scale_f32 v0, s[10:11], v19, v19, v21
	v_rcp_f32_e32 v17, v0
	v_fma_f32 v18, -v0, v17, 1.0
	v_fmac_f32_e32 v17, v18, v17
	v_div_scale_f32 v18, vcc, v21, v19, v21
	v_mul_f32_e32 v22, v18, v17
	v_fma_f32 v23, -v0, v22, v18
	v_fmac_f32_e32 v22, v23, v17
	v_fma_f32 v0, -v0, v22, v18
	v_div_fmas_f32 v0, v0, v17, v22
	v_div_fixup_f32 v21, v0, v19, v21
	v_div_scale_f32 v0, s[10:11], v19, v19, v20
	v_rcp_f32_e32 v17, v0
	v_fma_f32 v18, -v0, v17, 1.0
	v_fmac_f32_e32 v17, v18, v17
	v_div_scale_f32 v18, vcc, v20, v19, v20
	v_mul_f32_e32 v22, v18, v17
	v_fma_f32 v23, -v0, v22, v18
	v_fmac_f32_e32 v22, v23, v17
	v_fma_f32 v0, -v0, v22, v18
	v_div_fmas_f32 v0, v0, v17, v22
	v_div_fixup_f32 v20, v0, v19, v20
	v_mov_b32_e32 v0, 0
	global_store_dwordx2 v[12:13], v[20:21], off
.LBB29_321:                             ;   in Loop: Header=BB29_14 Depth=1
	s_or_b64 exec, exec, s[74:75]
	v_cmp_gt_i32_e32 vcc, s66, v0
	s_mov_b64 s[74:75], -1
	s_and_saveexec_b64 s[76:77], vcc
; %bb.322:                              ;   in Loop: Header=BB29_14 Depth=1
	v_cmp_eq_u32_e32 vcc, 0, v0
	s_orn2_b64 s[74:75], vcc, exec
; %bb.323:                              ;   in Loop: Header=BB29_14 Depth=1
	s_or_b64 exec, exec, s[76:77]
	s_and_b64 exec, exec, s[74:75]
	s_cbranch_execz .LBB29_351
; %bb.324:                              ;   in Loop: Header=BB29_14 Depth=1
	buffer_load_dword v0, off, s[96:99], 0 offset:180 ; 4-byte Folded Reload
	s_waitcnt vmcnt(0)
	v_add_u32_e32 v12, s78, v0
	v_cmp_gt_i32_e32 vcc, s28, v12
	s_and_b64 s[10:11], vcc, s[8:9]
	v_mov_b32_e32 v0, 0x47
	s_and_saveexec_b64 s[74:75], s[10:11]
	s_cbranch_execz .LBB29_326
; %bb.325:                              ;   in Loop: Header=BB29_14 Depth=1
	buffer_load_dword v0, off, s[96:99], 0 offset:184 ; 4-byte Folded Reload
	v_mad_u64_u32 v[12:13], s[10:11], v12, s29, v[62:63]
	buffer_load_dword v13, off, s[96:99], 0 offset:188 ; 4-byte Folded Reload
	v_lshl_add_u32 v12, v12, 7, v92
	v_mov_b32_e32 v17, s6
	s_waitcnt vmcnt(1)
	v_add_u32_e32 v0, 0, v0
	ds_read2_b32 v[18:19], v0 offset0:64 offset1:65
	s_waitcnt vmcnt(0)
	ds_read2st64_b32 v[20:21], v13 offset1:17
	ds_read_b32 v0, v0 offset:4608
	v_ashrrev_i32_e32 v13, 31, v12
	v_lshlrev_b64 v[12:13], 3, v[12:13]
	v_add_co_u32_e32 v12, vcc, s7, v12
	s_waitcnt lgkmcnt(1)
	v_cvt_f32_f16_sdwa v23, v20 dst_sel:DWORD dst_unused:UNUSED_PAD src0_sel:WORD_1
	v_cvt_f32_f16_e32 v22, v20
	v_cvt_f32_f16_sdwa v27, v21 dst_sel:DWORD dst_unused:UNUSED_PAD src0_sel:WORD_1
	v_cvt_f32_f16_e32 v26, v21
	v_addc_co_u32_e32 v13, vcc, v17, v13, vcc
	v_pk_fma_f32 v[22:23], v[18:19], v[22:23], 0 op_sel_hi:[0,1,0]
	s_waitcnt lgkmcnt(0)
	v_pk_fma_f32 v[20:21], v[0:1], v[26:27], v[22:23] op_sel_hi:[0,1,1]
	v_div_scale_f32 v0, s[10:11], v19, v19, v21
	v_rcp_f32_e32 v17, v0
	v_fma_f32 v18, -v0, v17, 1.0
	v_fmac_f32_e32 v17, v18, v17
	v_div_scale_f32 v18, vcc, v21, v19, v21
	v_mul_f32_e32 v22, v18, v17
	v_fma_f32 v23, -v0, v22, v18
	v_fmac_f32_e32 v22, v23, v17
	v_fma_f32 v0, -v0, v22, v18
	v_div_fmas_f32 v0, v0, v17, v22
	v_div_fixup_f32 v21, v0, v19, v21
	v_div_scale_f32 v0, s[10:11], v19, v19, v20
	v_rcp_f32_e32 v17, v0
	v_fma_f32 v18, -v0, v17, 1.0
	v_fmac_f32_e32 v17, v18, v17
	v_div_scale_f32 v18, vcc, v20, v19, v20
	v_mul_f32_e32 v22, v18, v17
	v_fma_f32 v23, -v0, v22, v18
	v_fmac_f32_e32 v22, v23, v17
	v_fma_f32 v0, -v0, v22, v18
	v_div_fmas_f32 v0, v0, v17, v22
	v_div_fixup_f32 v20, v0, v19, v20
	v_mov_b32_e32 v0, 0
	global_store_dwordx2 v[12:13], v[20:21], off
.LBB29_326:                             ;   in Loop: Header=BB29_14 Depth=1
	s_or_b64 exec, exec, s[74:75]
	v_cmp_gt_i32_e32 vcc, s66, v0
	s_mov_b64 s[74:75], -1
	s_and_saveexec_b64 s[76:77], vcc
; %bb.327:                              ;   in Loop: Header=BB29_14 Depth=1
	v_cmp_eq_u32_e32 vcc, 0, v0
	s_orn2_b64 s[74:75], vcc, exec
; %bb.328:                              ;   in Loop: Header=BB29_14 Depth=1
	s_or_b64 exec, exec, s[76:77]
	s_and_b64 exec, exec, s[74:75]
	s_cbranch_execz .LBB29_351
; %bb.329:                              ;   in Loop: Header=BB29_14 Depth=1
	buffer_load_dword v0, off, s[96:99], 0 offset:192 ; 4-byte Folded Reload
	s_waitcnt vmcnt(0)
	v_add_u32_e32 v12, s78, v0
	v_cmp_gt_i32_e32 vcc, s28, v12
	s_and_b64 s[10:11], vcc, s[8:9]
	v_mov_b32_e32 v0, 0x47
	s_and_saveexec_b64 s[74:75], s[10:11]
	s_cbranch_execz .LBB29_331
; %bb.330:                              ;   in Loop: Header=BB29_14 Depth=1
	buffer_load_dword v0, off, s[96:99], 0 offset:196 ; 4-byte Folded Reload
	v_mad_u64_u32 v[12:13], s[10:11], v12, s29, v[62:63]
	buffer_load_dword v13, off, s[96:99], 0 offset:200 ; 4-byte Folded Reload
	v_lshl_add_u32 v12, v12, 7, v92
	v_mov_b32_e32 v17, s6
	s_waitcnt vmcnt(1)
	v_add_u32_e32 v0, 0, v0
	ds_read2_b32 v[18:19], v0 offset0:64 offset1:65
	s_waitcnt vmcnt(0)
	ds_read2st64_b32 v[20:21], v13 offset1:17
	ds_read_b32 v0, v0 offset:4608
	v_ashrrev_i32_e32 v13, 31, v12
	v_lshlrev_b64 v[12:13], 3, v[12:13]
	v_add_co_u32_e32 v12, vcc, s7, v12
	s_waitcnt lgkmcnt(1)
	v_cvt_f32_f16_sdwa v23, v20 dst_sel:DWORD dst_unused:UNUSED_PAD src0_sel:WORD_1
	v_cvt_f32_f16_e32 v22, v20
	v_cvt_f32_f16_sdwa v27, v21 dst_sel:DWORD dst_unused:UNUSED_PAD src0_sel:WORD_1
	v_cvt_f32_f16_e32 v26, v21
	v_addc_co_u32_e32 v13, vcc, v17, v13, vcc
	v_pk_fma_f32 v[22:23], v[18:19], v[22:23], 0 op_sel_hi:[0,1,0]
	s_waitcnt lgkmcnt(0)
	v_pk_fma_f32 v[20:21], v[0:1], v[26:27], v[22:23] op_sel_hi:[0,1,1]
	v_div_scale_f32 v0, s[10:11], v19, v19, v21
	v_rcp_f32_e32 v17, v0
	v_fma_f32 v18, -v0, v17, 1.0
	v_fmac_f32_e32 v17, v18, v17
	v_div_scale_f32 v18, vcc, v21, v19, v21
	v_mul_f32_e32 v22, v18, v17
	v_fma_f32 v23, -v0, v22, v18
	v_fmac_f32_e32 v22, v23, v17
	v_fma_f32 v0, -v0, v22, v18
	v_div_fmas_f32 v0, v0, v17, v22
	v_div_fixup_f32 v21, v0, v19, v21
	v_div_scale_f32 v0, s[10:11], v19, v19, v20
	v_rcp_f32_e32 v17, v0
	v_fma_f32 v18, -v0, v17, 1.0
	v_fmac_f32_e32 v17, v18, v17
	v_div_scale_f32 v18, vcc, v20, v19, v20
	v_mul_f32_e32 v22, v18, v17
	v_fma_f32 v23, -v0, v22, v18
	v_fmac_f32_e32 v22, v23, v17
	v_fma_f32 v0, -v0, v22, v18
	v_div_fmas_f32 v0, v0, v17, v22
	v_div_fixup_f32 v20, v0, v19, v20
	v_mov_b32_e32 v0, 0
	global_store_dwordx2 v[12:13], v[20:21], off
.LBB29_331:                             ;   in Loop: Header=BB29_14 Depth=1
	s_or_b64 exec, exec, s[74:75]
	v_cmp_gt_i32_e32 vcc, s66, v0
	s_mov_b64 s[74:75], -1
	s_and_saveexec_b64 s[76:77], vcc
; %bb.332:                              ;   in Loop: Header=BB29_14 Depth=1
	v_cmp_eq_u32_e32 vcc, 0, v0
	s_orn2_b64 s[74:75], vcc, exec
; %bb.333:                              ;   in Loop: Header=BB29_14 Depth=1
	s_or_b64 exec, exec, s[76:77]
	s_and_b64 exec, exec, s[74:75]
	s_cbranch_execz .LBB29_351
; %bb.334:                              ;   in Loop: Header=BB29_14 Depth=1
	buffer_load_dword v0, off, s[96:99], 0 offset:204 ; 4-byte Folded Reload
	s_waitcnt vmcnt(0)
	v_add_u32_e32 v12, s78, v0
	v_cmp_gt_i32_e32 vcc, s28, v12
	s_and_b64 s[10:11], vcc, s[8:9]
	v_mov_b32_e32 v0, 0x47
	s_and_saveexec_b64 s[74:75], s[10:11]
	s_cbranch_execz .LBB29_336
; %bb.335:                              ;   in Loop: Header=BB29_14 Depth=1
	buffer_load_dword v0, off, s[96:99], 0 offset:208 ; 4-byte Folded Reload
	v_mad_u64_u32 v[12:13], s[10:11], v12, s29, v[62:63]
	buffer_load_dword v13, off, s[96:99], 0 offset:212 ; 4-byte Folded Reload
	v_lshl_add_u32 v12, v12, 7, v92
	v_mov_b32_e32 v17, s6
	s_waitcnt vmcnt(1)
	v_add_u32_e32 v0, 0, v0
	ds_read2_b32 v[18:19], v0 offset0:64 offset1:65
	s_waitcnt vmcnt(0)
	ds_read2st64_b32 v[20:21], v13 offset1:17
	ds_read_b32 v0, v0 offset:4608
	v_ashrrev_i32_e32 v13, 31, v12
	v_lshlrev_b64 v[12:13], 3, v[12:13]
	v_add_co_u32_e32 v12, vcc, s7, v12
	s_waitcnt lgkmcnt(1)
	v_cvt_f32_f16_sdwa v23, v20 dst_sel:DWORD dst_unused:UNUSED_PAD src0_sel:WORD_1
	v_cvt_f32_f16_e32 v22, v20
	v_cvt_f32_f16_sdwa v27, v21 dst_sel:DWORD dst_unused:UNUSED_PAD src0_sel:WORD_1
	v_cvt_f32_f16_e32 v26, v21
	v_addc_co_u32_e32 v13, vcc, v17, v13, vcc
	v_pk_fma_f32 v[22:23], v[18:19], v[22:23], 0 op_sel_hi:[0,1,0]
	s_waitcnt lgkmcnt(0)
	v_pk_fma_f32 v[20:21], v[0:1], v[26:27], v[22:23] op_sel_hi:[0,1,1]
	v_div_scale_f32 v0, s[10:11], v19, v19, v21
	v_rcp_f32_e32 v17, v0
	v_fma_f32 v18, -v0, v17, 1.0
	v_fmac_f32_e32 v17, v18, v17
	v_div_scale_f32 v18, vcc, v21, v19, v21
	v_mul_f32_e32 v22, v18, v17
	v_fma_f32 v23, -v0, v22, v18
	v_fmac_f32_e32 v22, v23, v17
	v_fma_f32 v0, -v0, v22, v18
	v_div_fmas_f32 v0, v0, v17, v22
	v_div_fixup_f32 v21, v0, v19, v21
	v_div_scale_f32 v0, s[10:11], v19, v19, v20
	v_rcp_f32_e32 v17, v0
	v_fma_f32 v18, -v0, v17, 1.0
	v_fmac_f32_e32 v17, v18, v17
	v_div_scale_f32 v18, vcc, v20, v19, v20
	v_mul_f32_e32 v22, v18, v17
	v_fma_f32 v23, -v0, v22, v18
	v_fmac_f32_e32 v22, v23, v17
	v_fma_f32 v0, -v0, v22, v18
	v_div_fmas_f32 v0, v0, v17, v22
	v_div_fixup_f32 v20, v0, v19, v20
	v_mov_b32_e32 v0, 0
	global_store_dwordx2 v[12:13], v[20:21], off
.LBB29_336:                             ;   in Loop: Header=BB29_14 Depth=1
	s_or_b64 exec, exec, s[74:75]
	v_cmp_gt_i32_e32 vcc, s66, v0
	s_mov_b64 s[74:75], -1
	s_and_saveexec_b64 s[76:77], vcc
; %bb.337:                              ;   in Loop: Header=BB29_14 Depth=1
	v_cmp_eq_u32_e32 vcc, 0, v0
	s_orn2_b64 s[74:75], vcc, exec
; %bb.338:                              ;   in Loop: Header=BB29_14 Depth=1
	s_or_b64 exec, exec, s[76:77]
	s_and_b64 exec, exec, s[74:75]
	s_cbranch_execz .LBB29_351
; %bb.339:                              ;   in Loop: Header=BB29_14 Depth=1
	buffer_load_dword v0, off, s[96:99], 0 offset:216 ; 4-byte Folded Reload
	s_waitcnt vmcnt(0)
	v_add_u32_e32 v12, s78, v0
	v_cmp_gt_i32_e32 vcc, s28, v12
	s_and_b64 s[10:11], vcc, s[8:9]
	v_mov_b32_e32 v0, 0x47
	s_and_saveexec_b64 s[74:75], s[10:11]
	s_cbranch_execz .LBB29_341
; %bb.340:                              ;   in Loop: Header=BB29_14 Depth=1
	buffer_load_dword v0, off, s[96:99], 0 offset:220 ; 4-byte Folded Reload
	v_mad_u64_u32 v[12:13], s[10:11], v12, s29, v[62:63]
	buffer_load_dword v13, off, s[96:99], 0 offset:224 ; 4-byte Folded Reload
	v_lshl_add_u32 v12, v12, 7, v92
	v_mov_b32_e32 v17, s6
	s_waitcnt vmcnt(1)
	v_add_u32_e32 v0, 0, v0
	ds_read2_b32 v[18:19], v0 offset0:64 offset1:65
	s_waitcnt vmcnt(0)
	ds_read2st64_b32 v[20:21], v13 offset1:17
	ds_read_b32 v0, v0 offset:4608
	v_ashrrev_i32_e32 v13, 31, v12
	v_lshlrev_b64 v[12:13], 3, v[12:13]
	v_add_co_u32_e32 v12, vcc, s7, v12
	s_waitcnt lgkmcnt(1)
	v_cvt_f32_f16_sdwa v23, v20 dst_sel:DWORD dst_unused:UNUSED_PAD src0_sel:WORD_1
	v_cvt_f32_f16_e32 v22, v20
	v_cvt_f32_f16_sdwa v27, v21 dst_sel:DWORD dst_unused:UNUSED_PAD src0_sel:WORD_1
	v_cvt_f32_f16_e32 v26, v21
	v_addc_co_u32_e32 v13, vcc, v17, v13, vcc
	v_pk_fma_f32 v[22:23], v[18:19], v[22:23], 0 op_sel_hi:[0,1,0]
	s_waitcnt lgkmcnt(0)
	v_pk_fma_f32 v[20:21], v[0:1], v[26:27], v[22:23] op_sel_hi:[0,1,1]
	v_div_scale_f32 v0, s[10:11], v19, v19, v21
	v_rcp_f32_e32 v17, v0
	v_fma_f32 v18, -v0, v17, 1.0
	v_fmac_f32_e32 v17, v18, v17
	v_div_scale_f32 v18, vcc, v21, v19, v21
	v_mul_f32_e32 v22, v18, v17
	v_fma_f32 v23, -v0, v22, v18
	v_fmac_f32_e32 v22, v23, v17
	v_fma_f32 v0, -v0, v22, v18
	v_div_fmas_f32 v0, v0, v17, v22
	v_div_fixup_f32 v21, v0, v19, v21
	v_div_scale_f32 v0, s[10:11], v19, v19, v20
	v_rcp_f32_e32 v17, v0
	v_fma_f32 v18, -v0, v17, 1.0
	v_fmac_f32_e32 v17, v18, v17
	v_div_scale_f32 v18, vcc, v20, v19, v20
	v_mul_f32_e32 v22, v18, v17
	v_fma_f32 v23, -v0, v22, v18
	v_fmac_f32_e32 v22, v23, v17
	v_fma_f32 v0, -v0, v22, v18
	v_div_fmas_f32 v0, v0, v17, v22
	v_div_fixup_f32 v20, v0, v19, v20
	v_mov_b32_e32 v0, 0
	global_store_dwordx2 v[12:13], v[20:21], off
.LBB29_341:                             ;   in Loop: Header=BB29_14 Depth=1
	s_or_b64 exec, exec, s[74:75]
	v_cmp_gt_i32_e32 vcc, s66, v0
	s_mov_b64 s[74:75], -1
	s_and_saveexec_b64 s[76:77], vcc
; %bb.342:                              ;   in Loop: Header=BB29_14 Depth=1
	v_cmp_eq_u32_e32 vcc, 0, v0
	s_orn2_b64 s[74:75], vcc, exec
; %bb.343:                              ;   in Loop: Header=BB29_14 Depth=1
	s_or_b64 exec, exec, s[76:77]
	s_and_b64 exec, exec, s[74:75]
	s_cbranch_execz .LBB29_351
; %bb.344:                              ;   in Loop: Header=BB29_14 Depth=1
	buffer_load_dword v0, off, s[96:99], 0 offset:228 ; 4-byte Folded Reload
	s_waitcnt vmcnt(0)
	v_add_u32_e32 v12, s78, v0
	v_cmp_gt_i32_e32 vcc, s28, v12
	s_and_b64 s[10:11], vcc, s[8:9]
	v_mov_b32_e32 v0, 0x47
	s_and_saveexec_b64 s[74:75], s[10:11]
	s_cbranch_execz .LBB29_346
; %bb.345:                              ;   in Loop: Header=BB29_14 Depth=1
	buffer_load_dword v0, off, s[96:99], 0 offset:232 ; 4-byte Folded Reload
	v_mad_u64_u32 v[12:13], s[10:11], v12, s29, v[62:63]
	buffer_load_dword v13, off, s[96:99], 0 offset:236 ; 4-byte Folded Reload
	v_lshl_add_u32 v12, v12, 7, v92
	v_mov_b32_e32 v17, s6
	s_waitcnt vmcnt(1)
	v_add_u32_e32 v0, 0, v0
	ds_read2_b32 v[18:19], v0 offset0:64 offset1:65
	s_waitcnt vmcnt(0)
	ds_read2st64_b32 v[20:21], v13 offset1:17
	ds_read_b32 v0, v0 offset:4608
	v_ashrrev_i32_e32 v13, 31, v12
	v_lshlrev_b64 v[12:13], 3, v[12:13]
	v_add_co_u32_e32 v12, vcc, s7, v12
	s_waitcnt lgkmcnt(1)
	v_cvt_f32_f16_sdwa v23, v20 dst_sel:DWORD dst_unused:UNUSED_PAD src0_sel:WORD_1
	v_cvt_f32_f16_e32 v22, v20
	v_cvt_f32_f16_sdwa v27, v21 dst_sel:DWORD dst_unused:UNUSED_PAD src0_sel:WORD_1
	v_cvt_f32_f16_e32 v26, v21
	v_addc_co_u32_e32 v13, vcc, v17, v13, vcc
	v_pk_fma_f32 v[22:23], v[18:19], v[22:23], 0 op_sel_hi:[0,1,0]
	s_waitcnt lgkmcnt(0)
	v_pk_fma_f32 v[20:21], v[0:1], v[26:27], v[22:23] op_sel_hi:[0,1,1]
	v_div_scale_f32 v0, s[10:11], v19, v19, v21
	v_rcp_f32_e32 v17, v0
	v_fma_f32 v18, -v0, v17, 1.0
	v_fmac_f32_e32 v17, v18, v17
	v_div_scale_f32 v18, vcc, v21, v19, v21
	v_mul_f32_e32 v22, v18, v17
	v_fma_f32 v23, -v0, v22, v18
	v_fmac_f32_e32 v22, v23, v17
	v_fma_f32 v0, -v0, v22, v18
	v_div_fmas_f32 v0, v0, v17, v22
	v_div_fixup_f32 v21, v0, v19, v21
	v_div_scale_f32 v0, s[10:11], v19, v19, v20
	v_rcp_f32_e32 v17, v0
	v_fma_f32 v18, -v0, v17, 1.0
	v_fmac_f32_e32 v17, v18, v17
	v_div_scale_f32 v18, vcc, v20, v19, v20
	v_mul_f32_e32 v22, v18, v17
	v_fma_f32 v23, -v0, v22, v18
	v_fmac_f32_e32 v22, v23, v17
	v_fma_f32 v0, -v0, v22, v18
	v_div_fmas_f32 v0, v0, v17, v22
	v_div_fixup_f32 v20, v0, v19, v20
	v_mov_b32_e32 v0, 0
	global_store_dwordx2 v[12:13], v[20:21], off
.LBB29_346:                             ;   in Loop: Header=BB29_14 Depth=1
	s_or_b64 exec, exec, s[74:75]
	v_cmp_gt_i32_e32 vcc, s66, v0
	s_mov_b64 s[74:75], -1
	s_and_saveexec_b64 s[76:77], vcc
; %bb.347:                              ;   in Loop: Header=BB29_14 Depth=1
	v_cmp_eq_u32_e32 vcc, 0, v0
	s_orn2_b64 s[74:75], vcc, exec
; %bb.348:                              ;   in Loop: Header=BB29_14 Depth=1
	s_or_b64 exec, exec, s[76:77]
	s_and_b64 exec, exec, s[74:75]
	s_cbranch_execz .LBB29_351
; %bb.349:                              ;   in Loop: Header=BB29_14 Depth=1
	buffer_load_dword v0, off, s[96:99], 0 offset:240 ; 4-byte Folded Reload
	s_waitcnt vmcnt(0)
	v_add_u32_e32 v0, s78, v0
	v_cmp_gt_i32_e32 vcc, s28, v0
	s_and_b64 s[8:9], vcc, s[8:9]
	s_and_b64 exec, exec, s[8:9]
	s_cbranch_execz .LBB29_351
; %bb.350:                              ;   in Loop: Header=BB29_14 Depth=1
	buffer_load_dword v12, off, s[96:99], 0 offset:244 ; 4-byte Folded Reload
	s_waitcnt vmcnt(0)
	v_add_u32_e32 v17, 0, v12
	v_mad_u64_u32 v[12:13], s[8:9], v0, s29, v[62:63]
	buffer_load_dword v0, off, s[96:99], 0 offset:248 ; 4-byte Folded Reload
	v_lshl_add_u32 v12, v12, 7, v92
	v_ashrrev_i32_e32 v13, 31, v12
	v_lshlrev_b64 v[12:13], 3, v[12:13]
	v_add_co_u32_e32 v12, vcc, s7, v12
	s_waitcnt vmcnt(0)
	ds_read2st64_b32 v[18:19], v0 offset1:17
	ds_read2_b32 v[20:21], v17 offset0:64 offset1:65
	ds_read_b32 v0, v17 offset:4608
	v_mov_b32_e32 v17, s6
	v_addc_co_u32_e32 v13, vcc, v17, v13, vcc
	s_waitcnt lgkmcnt(2)
	v_cvt_f32_f16_sdwa v23, v18 dst_sel:DWORD dst_unused:UNUSED_PAD src0_sel:WORD_1
	v_cvt_f32_f16_e32 v22, v18
	v_cvt_f32_f16_sdwa v27, v19 dst_sel:DWORD dst_unused:UNUSED_PAD src0_sel:WORD_1
	v_cvt_f32_f16_e32 v26, v19
	s_waitcnt lgkmcnt(1)
	v_pk_fma_f32 v[18:19], v[20:21], v[22:23], 0 op_sel_hi:[0,1,0]
	s_waitcnt lgkmcnt(0)
	v_pk_fma_f32 v[18:19], v[0:1], v[26:27], v[18:19] op_sel_hi:[0,1,1]
	v_div_scale_f32 v0, s[8:9], v21, v21, v19
	v_rcp_f32_e32 v20, v0
	v_fma_f32 v17, -v0, v20, 1.0
	v_fmac_f32_e32 v20, v17, v20
	v_div_scale_f32 v17, vcc, v19, v21, v19
	v_mul_f32_e32 v22, v17, v20
	v_fma_f32 v23, -v0, v22, v17
	v_fmac_f32_e32 v22, v23, v20
	v_fma_f32 v0, -v0, v22, v17
	v_div_scale_f32 v17, s[8:9], v21, v21, v18
	v_rcp_f32_e32 v23, v17
	v_div_fmas_f32 v0, v0, v20, v22
	v_div_fixup_f32 v19, v0, v21, v19
	v_fma_f32 v0, -v17, v23, 1.0
	v_fmac_f32_e32 v23, v0, v23
	v_div_scale_f32 v0, vcc, v18, v21, v18
	v_mul_f32_e32 v20, v0, v23
	v_fma_f32 v22, -v17, v20, v0
	v_fmac_f32_e32 v20, v22, v23
	v_fma_f32 v0, -v17, v20, v0
	v_div_fmas_f32 v0, v0, v23, v20
	v_div_fixup_f32 v18, v0, v21, v18
	global_store_dwordx2 v[12:13], v[18:19], off
.LBB29_351:                             ;   in Loop: Header=BB29_14 Depth=1
	s_or_b64 exec, exec, s[72:73]
	s_barrier
	ds_write2_b32 v154, v2, v1 offset1:1
	ds_write2_b32 v154, v4, v3 offset0:8 offset1:9
	ds_write2_b32 v154, v6, v5 offset0:16 offset1:17
	;; [unrolled: 1-line block ×7, first 2 shown]
	s_waitcnt lgkmcnt(0)
	s_barrier
	s_and_saveexec_b64 s[72:73], s[0:1]
	s_cbranch_execz .LBB29_12
; %bb.352:                              ;   in Loop: Header=BB29_14 Depth=1
	v_add_u32_e32 v1, s78, v193
	v_or_b32_e32 v0, s89, v62
	v_cmp_gt_i32_e32 vcc, s28, v1
	v_cmp_gt_i32_e64 s[8:9], s80, v0
	s_and_b64 s[10:11], vcc, s[8:9]
	v_mov_b32_e32 v0, 0x47
	s_and_saveexec_b64 s[74:75], s[10:11]
	s_cbranch_execz .LBB29_354
; %bb.353:                              ;   in Loop: Header=BB29_14 Depth=1
	v_add_u32_e32 v6, 0, v155
	ds_read2st64_b32 v[2:3], v156 offset1:17
	ds_read2_b32 v[4:5], v6 offset0:64 offset1:65
	ds_read_b32 v6, v6 offset:4608
	v_mov_b32_e32 v7, s6
	v_mad_u64_u32 v[0:1], s[10:11], v1, s29, v[62:63]
	s_waitcnt lgkmcnt(2)
	v_cvt_f32_f16_sdwa v9, v2 dst_sel:DWORD dst_unused:UNUSED_PAD src0_sel:WORD_1
	v_cvt_f32_f16_e32 v8, v2
	v_cvt_f32_f16_sdwa v11, v3 dst_sel:DWORD dst_unused:UNUSED_PAD src0_sel:WORD_1
	v_cvt_f32_f16_e32 v10, v3
	v_lshl_add_u32 v0, v0, 7, v220
	s_waitcnt lgkmcnt(1)
	v_pk_fma_f32 v[2:3], v[4:5], v[8:9], 0 op_sel_hi:[0,1,0]
	v_ashrrev_i32_e32 v1, 31, v0
	s_waitcnt lgkmcnt(0)
	v_pk_fma_f32 v[2:3], v[6:7], v[10:11], v[2:3] op_sel_hi:[0,1,1]
	v_div_scale_f32 v4, s[10:11], v5, v5, v3
	v_rcp_f32_e32 v6, v4
	v_lshlrev_b64 v[0:1], 3, v[0:1]
	v_add_co_u32_e32 v0, vcc, s7, v0
	v_addc_co_u32_e32 v1, vcc, v7, v1, vcc
	v_fma_f32 v7, -v4, v6, 1.0
	v_fmac_f32_e32 v6, v7, v6
	v_div_scale_f32 v7, vcc, v3, v5, v3
	v_mul_f32_e32 v8, v7, v6
	v_fma_f32 v9, -v4, v8, v7
	v_fmac_f32_e32 v8, v9, v6
	v_fma_f32 v4, -v4, v8, v7
	v_div_scale_f32 v7, s[10:11], v5, v5, v2
	v_rcp_f32_e32 v9, v7
	v_div_fmas_f32 v4, v4, v6, v8
	v_div_fixup_f32 v3, v4, v5, v3
	v_fma_f32 v4, -v7, v9, 1.0
	v_fmac_f32_e32 v9, v4, v9
	v_div_scale_f32 v4, vcc, v2, v5, v2
	v_mul_f32_e32 v6, v4, v9
	v_fma_f32 v8, -v7, v6, v4
	v_fmac_f32_e32 v6, v8, v9
	v_fma_f32 v4, -v7, v6, v4
	v_div_fmas_f32 v4, v4, v9, v6
	v_div_fixup_f32 v2, v4, v5, v2
	global_store_dwordx2 v[0:1], v[2:3], off
	v_mov_b32_e32 v0, 0
.LBB29_354:                             ;   in Loop: Header=BB29_14 Depth=1
	s_or_b64 exec, exec, s[74:75]
	v_cmp_gt_i32_e32 vcc, s66, v0
	s_mov_b64 s[74:75], -1
	s_and_saveexec_b64 s[76:77], vcc
; %bb.355:                              ;   in Loop: Header=BB29_14 Depth=1
	v_cmp_eq_u32_e32 vcc, 0, v0
	s_orn2_b64 s[74:75], vcc, exec
; %bb.356:                              ;   in Loop: Header=BB29_14 Depth=1
	s_or_b64 exec, exec, s[76:77]
	s_and_b64 exec, exec, s[74:75]
	s_cbranch_execz .LBB29_12
; %bb.357:                              ;   in Loop: Header=BB29_14 Depth=1
	v_add_u32_e32 v1, s78, v157
	v_cmp_gt_i32_e32 vcc, s28, v1
	s_and_b64 s[10:11], vcc, s[8:9]
	v_mov_b32_e32 v0, 0x47
	s_and_saveexec_b64 s[74:75], s[10:11]
	s_cbranch_execz .LBB29_359
; %bb.358:                              ;   in Loop: Header=BB29_14 Depth=1
	buffer_load_dword v0, off, s[96:99], 0  ; 4-byte Folded Reload
	v_mov_b32_e32 v7, s6
	s_waitcnt vmcnt(0)
	v_add_u32_e32 v6, 0, v0
	v_mad_u64_u32 v[0:1], s[10:11], v1, s29, v[62:63]
	buffer_load_dword v1, off, s[96:99], 0 offset:4 ; 4-byte Folded Reload
	v_lshl_add_u32 v0, v0, 7, v220
	s_waitcnt vmcnt(0)
	ds_read2st64_b32 v[2:3], v1 offset1:17
	ds_read2_b32 v[4:5], v6 offset0:64 offset1:65
	ds_read_b32 v6, v6 offset:4608
	v_ashrrev_i32_e32 v1, 31, v0
	v_lshlrev_b64 v[0:1], 3, v[0:1]
	s_waitcnt lgkmcnt(2)
	v_cvt_f32_f16_sdwa v9, v2 dst_sel:DWORD dst_unused:UNUSED_PAD src0_sel:WORD_1
	v_cvt_f32_f16_e32 v8, v2
	v_cvt_f32_f16_sdwa v11, v3 dst_sel:DWORD dst_unused:UNUSED_PAD src0_sel:WORD_1
	v_cvt_f32_f16_e32 v10, v3
	v_add_co_u32_e32 v0, vcc, s7, v0
	s_waitcnt lgkmcnt(1)
	v_pk_fma_f32 v[2:3], v[4:5], v[8:9], 0 op_sel_hi:[0,1,0]
	s_waitcnt lgkmcnt(0)
	v_pk_fma_f32 v[2:3], v[6:7], v[10:11], v[2:3] op_sel_hi:[0,1,1]
	v_div_scale_f32 v4, s[10:11], v5, v5, v3
	v_rcp_f32_e32 v6, v4
	v_addc_co_u32_e32 v1, vcc, v7, v1, vcc
	v_fma_f32 v7, -v4, v6, 1.0
	v_fmac_f32_e32 v6, v7, v6
	v_div_scale_f32 v7, vcc, v3, v5, v3
	v_mul_f32_e32 v8, v7, v6
	v_fma_f32 v9, -v4, v8, v7
	v_fmac_f32_e32 v8, v9, v6
	v_fma_f32 v4, -v4, v8, v7
	v_div_scale_f32 v7, s[10:11], v5, v5, v2
	v_rcp_f32_e32 v9, v7
	v_div_fmas_f32 v4, v4, v6, v8
	v_div_fixup_f32 v3, v4, v5, v3
	v_fma_f32 v4, -v7, v9, 1.0
	v_fmac_f32_e32 v9, v4, v9
	v_div_scale_f32 v4, vcc, v2, v5, v2
	v_mul_f32_e32 v6, v4, v9
	v_fma_f32 v8, -v7, v6, v4
	v_fmac_f32_e32 v6, v8, v9
	v_fma_f32 v4, -v7, v6, v4
	v_div_fmas_f32 v4, v4, v9, v6
	v_div_fixup_f32 v2, v4, v5, v2
	global_store_dwordx2 v[0:1], v[2:3], off
	v_mov_b32_e32 v0, 0
.LBB29_359:                             ;   in Loop: Header=BB29_14 Depth=1
	s_or_b64 exec, exec, s[74:75]
	v_cmp_gt_i32_e32 vcc, s66, v0
	s_mov_b64 s[74:75], -1
	s_and_saveexec_b64 s[76:77], vcc
; %bb.360:                              ;   in Loop: Header=BB29_14 Depth=1
	v_cmp_eq_u32_e32 vcc, 0, v0
	s_orn2_b64 s[74:75], vcc, exec
; %bb.361:                              ;   in Loop: Header=BB29_14 Depth=1
	s_or_b64 exec, exec, s[76:77]
	s_and_b64 exec, exec, s[74:75]
	s_cbranch_execz .LBB29_12
; %bb.362:                              ;   in Loop: Header=BB29_14 Depth=1
	buffer_load_dword v0, off, s[96:99], 0 offset:8 ; 4-byte Folded Reload
	s_waitcnt vmcnt(0)
	v_add_u32_e32 v1, s78, v0
	v_cmp_gt_i32_e32 vcc, s28, v1
	s_and_b64 s[10:11], vcc, s[8:9]
	v_mov_b32_e32 v0, 0x47
	s_and_saveexec_b64 s[74:75], s[10:11]
	s_cbranch_execz .LBB29_364
; %bb.363:                              ;   in Loop: Header=BB29_14 Depth=1
	buffer_load_dword v0, off, s[96:99], 0 offset:84 ; 4-byte Folded Reload
	v_mov_b32_e32 v7, s6
	s_waitcnt vmcnt(0)
	v_add_u32_e32 v6, 0, v0
	v_mad_u64_u32 v[0:1], s[10:11], v1, s29, v[62:63]
	buffer_load_dword v1, off, s[96:99], 0 offset:88 ; 4-byte Folded Reload
	v_lshl_add_u32 v0, v0, 7, v220
	s_waitcnt vmcnt(0)
	ds_read2st64_b32 v[2:3], v1 offset1:17
	ds_read2_b32 v[4:5], v6 offset0:64 offset1:65
	ds_read_b32 v6, v6 offset:4608
	v_ashrrev_i32_e32 v1, 31, v0
	v_lshlrev_b64 v[0:1], 3, v[0:1]
	s_waitcnt lgkmcnt(2)
	v_cvt_f32_f16_sdwa v9, v2 dst_sel:DWORD dst_unused:UNUSED_PAD src0_sel:WORD_1
	v_cvt_f32_f16_e32 v8, v2
	v_cvt_f32_f16_sdwa v11, v3 dst_sel:DWORD dst_unused:UNUSED_PAD src0_sel:WORD_1
	v_cvt_f32_f16_e32 v10, v3
	v_add_co_u32_e32 v0, vcc, s7, v0
	s_waitcnt lgkmcnt(1)
	v_pk_fma_f32 v[2:3], v[4:5], v[8:9], 0 op_sel_hi:[0,1,0]
	s_waitcnt lgkmcnt(0)
	v_pk_fma_f32 v[2:3], v[6:7], v[10:11], v[2:3] op_sel_hi:[0,1,1]
	v_div_scale_f32 v4, s[10:11], v5, v5, v3
	v_rcp_f32_e32 v6, v4
	v_addc_co_u32_e32 v1, vcc, v7, v1, vcc
	v_fma_f32 v7, -v4, v6, 1.0
	v_fmac_f32_e32 v6, v7, v6
	v_div_scale_f32 v7, vcc, v3, v5, v3
	v_mul_f32_e32 v8, v7, v6
	v_fma_f32 v9, -v4, v8, v7
	v_fmac_f32_e32 v8, v9, v6
	v_fma_f32 v4, -v4, v8, v7
	v_div_scale_f32 v7, s[10:11], v5, v5, v2
	v_rcp_f32_e32 v9, v7
	v_div_fmas_f32 v4, v4, v6, v8
	v_div_fixup_f32 v3, v4, v5, v3
	v_fma_f32 v4, -v7, v9, 1.0
	v_fmac_f32_e32 v9, v4, v9
	v_div_scale_f32 v4, vcc, v2, v5, v2
	v_mul_f32_e32 v6, v4, v9
	v_fma_f32 v8, -v7, v6, v4
	v_fmac_f32_e32 v6, v8, v9
	v_fma_f32 v4, -v7, v6, v4
	v_div_fmas_f32 v4, v4, v9, v6
	v_div_fixup_f32 v2, v4, v5, v2
	global_store_dwordx2 v[0:1], v[2:3], off
	v_mov_b32_e32 v0, 0
.LBB29_364:                             ;   in Loop: Header=BB29_14 Depth=1
	s_or_b64 exec, exec, s[74:75]
	v_cmp_gt_i32_e32 vcc, s66, v0
	s_mov_b64 s[74:75], -1
	s_and_saveexec_b64 s[76:77], vcc
; %bb.365:                              ;   in Loop: Header=BB29_14 Depth=1
	v_cmp_eq_u32_e32 vcc, 0, v0
	s_orn2_b64 s[74:75], vcc, exec
; %bb.366:                              ;   in Loop: Header=BB29_14 Depth=1
	s_or_b64 exec, exec, s[76:77]
	s_and_b64 exec, exec, s[74:75]
	s_cbranch_execz .LBB29_12
; %bb.367:                              ;   in Loop: Header=BB29_14 Depth=1
	buffer_load_dword v0, off, s[96:99], 0 offset:92 ; 4-byte Folded Reload
	s_waitcnt vmcnt(0)
	v_add_u32_e32 v1, s78, v0
	v_cmp_gt_i32_e32 vcc, s28, v1
	s_and_b64 s[10:11], vcc, s[8:9]
	v_mov_b32_e32 v0, 0x47
	s_and_saveexec_b64 s[74:75], s[10:11]
	s_cbranch_execz .LBB29_369
; %bb.368:                              ;   in Loop: Header=BB29_14 Depth=1
	buffer_load_dword v0, off, s[96:99], 0 offset:96 ; 4-byte Folded Reload
	v_mov_b32_e32 v7, s6
	s_waitcnt vmcnt(0)
	v_add_u32_e32 v6, 0, v0
	v_mad_u64_u32 v[0:1], s[10:11], v1, s29, v[62:63]
	buffer_load_dword v1, off, s[96:99], 0 offset:100 ; 4-byte Folded Reload
	v_lshl_add_u32 v0, v0, 7, v220
	s_waitcnt vmcnt(0)
	ds_read2st64_b32 v[2:3], v1 offset1:17
	ds_read2_b32 v[4:5], v6 offset0:64 offset1:65
	ds_read_b32 v6, v6 offset:4608
	v_ashrrev_i32_e32 v1, 31, v0
	v_lshlrev_b64 v[0:1], 3, v[0:1]
	s_waitcnt lgkmcnt(2)
	v_cvt_f32_f16_sdwa v9, v2 dst_sel:DWORD dst_unused:UNUSED_PAD src0_sel:WORD_1
	v_cvt_f32_f16_e32 v8, v2
	v_cvt_f32_f16_sdwa v11, v3 dst_sel:DWORD dst_unused:UNUSED_PAD src0_sel:WORD_1
	v_cvt_f32_f16_e32 v10, v3
	v_add_co_u32_e32 v0, vcc, s7, v0
	s_waitcnt lgkmcnt(1)
	v_pk_fma_f32 v[2:3], v[4:5], v[8:9], 0 op_sel_hi:[0,1,0]
	s_waitcnt lgkmcnt(0)
	v_pk_fma_f32 v[2:3], v[6:7], v[10:11], v[2:3] op_sel_hi:[0,1,1]
	v_div_scale_f32 v4, s[10:11], v5, v5, v3
	v_rcp_f32_e32 v6, v4
	v_addc_co_u32_e32 v1, vcc, v7, v1, vcc
	v_fma_f32 v7, -v4, v6, 1.0
	v_fmac_f32_e32 v6, v7, v6
	v_div_scale_f32 v7, vcc, v3, v5, v3
	v_mul_f32_e32 v8, v7, v6
	v_fma_f32 v9, -v4, v8, v7
	v_fmac_f32_e32 v8, v9, v6
	v_fma_f32 v4, -v4, v8, v7
	v_div_scale_f32 v7, s[10:11], v5, v5, v2
	v_rcp_f32_e32 v9, v7
	v_div_fmas_f32 v4, v4, v6, v8
	v_div_fixup_f32 v3, v4, v5, v3
	v_fma_f32 v4, -v7, v9, 1.0
	v_fmac_f32_e32 v9, v4, v9
	v_div_scale_f32 v4, vcc, v2, v5, v2
	v_mul_f32_e32 v6, v4, v9
	v_fma_f32 v8, -v7, v6, v4
	v_fmac_f32_e32 v6, v8, v9
	v_fma_f32 v4, -v7, v6, v4
	v_div_fmas_f32 v4, v4, v9, v6
	v_div_fixup_f32 v2, v4, v5, v2
	global_store_dwordx2 v[0:1], v[2:3], off
	v_mov_b32_e32 v0, 0
.LBB29_369:                             ;   in Loop: Header=BB29_14 Depth=1
	s_or_b64 exec, exec, s[74:75]
	v_cmp_gt_i32_e32 vcc, s66, v0
	s_mov_b64 s[74:75], -1
	s_and_saveexec_b64 s[76:77], vcc
; %bb.370:                              ;   in Loop: Header=BB29_14 Depth=1
	v_cmp_eq_u32_e32 vcc, 0, v0
	s_orn2_b64 s[74:75], vcc, exec
; %bb.371:                              ;   in Loop: Header=BB29_14 Depth=1
	s_or_b64 exec, exec, s[76:77]
	s_and_b64 exec, exec, s[74:75]
	s_cbranch_execz .LBB29_12
; %bb.372:                              ;   in Loop: Header=BB29_14 Depth=1
	buffer_load_dword v0, off, s[96:99], 0 offset:104 ; 4-byte Folded Reload
	s_waitcnt vmcnt(0)
	v_add_u32_e32 v1, s78, v0
	v_cmp_gt_i32_e32 vcc, s28, v1
	s_and_b64 s[10:11], vcc, s[8:9]
	v_mov_b32_e32 v0, 0x47
	s_and_saveexec_b64 s[74:75], s[10:11]
	s_cbranch_execz .LBB29_374
; %bb.373:                              ;   in Loop: Header=BB29_14 Depth=1
	buffer_load_dword v0, off, s[96:99], 0 offset:108 ; 4-byte Folded Reload
	v_mov_b32_e32 v7, s6
	s_waitcnt vmcnt(0)
	v_add_u32_e32 v6, 0, v0
	v_mad_u64_u32 v[0:1], s[10:11], v1, s29, v[62:63]
	buffer_load_dword v1, off, s[96:99], 0 offset:112 ; 4-byte Folded Reload
	v_lshl_add_u32 v0, v0, 7, v220
	s_waitcnt vmcnt(0)
	ds_read2st64_b32 v[2:3], v1 offset1:17
	ds_read2_b32 v[4:5], v6 offset0:64 offset1:65
	ds_read_b32 v6, v6 offset:4608
	v_ashrrev_i32_e32 v1, 31, v0
	v_lshlrev_b64 v[0:1], 3, v[0:1]
	s_waitcnt lgkmcnt(2)
	v_cvt_f32_f16_sdwa v9, v2 dst_sel:DWORD dst_unused:UNUSED_PAD src0_sel:WORD_1
	v_cvt_f32_f16_e32 v8, v2
	v_cvt_f32_f16_sdwa v11, v3 dst_sel:DWORD dst_unused:UNUSED_PAD src0_sel:WORD_1
	v_cvt_f32_f16_e32 v10, v3
	v_add_co_u32_e32 v0, vcc, s7, v0
	s_waitcnt lgkmcnt(1)
	v_pk_fma_f32 v[2:3], v[4:5], v[8:9], 0 op_sel_hi:[0,1,0]
	s_waitcnt lgkmcnt(0)
	v_pk_fma_f32 v[2:3], v[6:7], v[10:11], v[2:3] op_sel_hi:[0,1,1]
	v_div_scale_f32 v4, s[10:11], v5, v5, v3
	v_rcp_f32_e32 v6, v4
	v_addc_co_u32_e32 v1, vcc, v7, v1, vcc
	v_fma_f32 v7, -v4, v6, 1.0
	v_fmac_f32_e32 v6, v7, v6
	v_div_scale_f32 v7, vcc, v3, v5, v3
	v_mul_f32_e32 v8, v7, v6
	v_fma_f32 v9, -v4, v8, v7
	v_fmac_f32_e32 v8, v9, v6
	v_fma_f32 v4, -v4, v8, v7
	v_div_scale_f32 v7, s[10:11], v5, v5, v2
	v_rcp_f32_e32 v9, v7
	v_div_fmas_f32 v4, v4, v6, v8
	v_div_fixup_f32 v3, v4, v5, v3
	v_fma_f32 v4, -v7, v9, 1.0
	v_fmac_f32_e32 v9, v4, v9
	v_div_scale_f32 v4, vcc, v2, v5, v2
	v_mul_f32_e32 v6, v4, v9
	v_fma_f32 v8, -v7, v6, v4
	v_fmac_f32_e32 v6, v8, v9
	v_fma_f32 v4, -v7, v6, v4
	v_div_fmas_f32 v4, v4, v9, v6
	v_div_fixup_f32 v2, v4, v5, v2
	global_store_dwordx2 v[0:1], v[2:3], off
	v_mov_b32_e32 v0, 0
.LBB29_374:                             ;   in Loop: Header=BB29_14 Depth=1
	s_or_b64 exec, exec, s[74:75]
	v_cmp_gt_i32_e32 vcc, s66, v0
	s_mov_b64 s[74:75], -1
	s_and_saveexec_b64 s[76:77], vcc
; %bb.375:                              ;   in Loop: Header=BB29_14 Depth=1
	v_cmp_eq_u32_e32 vcc, 0, v0
	s_orn2_b64 s[74:75], vcc, exec
; %bb.376:                              ;   in Loop: Header=BB29_14 Depth=1
	s_or_b64 exec, exec, s[76:77]
	s_and_b64 exec, exec, s[74:75]
	s_cbranch_execz .LBB29_12
; %bb.377:                              ;   in Loop: Header=BB29_14 Depth=1
	buffer_load_dword v0, off, s[96:99], 0 offset:116 ; 4-byte Folded Reload
	s_waitcnt vmcnt(0)
	v_add_u32_e32 v1, s78, v0
	v_cmp_gt_i32_e32 vcc, s28, v1
	s_and_b64 s[10:11], vcc, s[8:9]
	v_mov_b32_e32 v0, 0x47
	s_and_saveexec_b64 s[74:75], s[10:11]
	s_cbranch_execz .LBB29_379
; %bb.378:                              ;   in Loop: Header=BB29_14 Depth=1
	buffer_load_dword v0, off, s[96:99], 0 offset:124 ; 4-byte Folded Reload
	v_mov_b32_e32 v7, s6
	s_waitcnt vmcnt(0)
	v_add_u32_e32 v6, 0, v0
	v_mad_u64_u32 v[0:1], s[10:11], v1, s29, v[62:63]
	buffer_load_dword v1, off, s[96:99], 0 offset:128 ; 4-byte Folded Reload
	v_lshl_add_u32 v0, v0, 7, v220
	s_waitcnt vmcnt(0)
	ds_read2st64_b32 v[2:3], v1 offset1:17
	ds_read2_b32 v[4:5], v6 offset0:64 offset1:65
	ds_read_b32 v6, v6 offset:4608
	v_ashrrev_i32_e32 v1, 31, v0
	v_lshlrev_b64 v[0:1], 3, v[0:1]
	s_waitcnt lgkmcnt(2)
	v_cvt_f32_f16_sdwa v9, v2 dst_sel:DWORD dst_unused:UNUSED_PAD src0_sel:WORD_1
	v_cvt_f32_f16_e32 v8, v2
	v_cvt_f32_f16_sdwa v11, v3 dst_sel:DWORD dst_unused:UNUSED_PAD src0_sel:WORD_1
	v_cvt_f32_f16_e32 v10, v3
	v_add_co_u32_e32 v0, vcc, s7, v0
	s_waitcnt lgkmcnt(1)
	v_pk_fma_f32 v[2:3], v[4:5], v[8:9], 0 op_sel_hi:[0,1,0]
	s_waitcnt lgkmcnt(0)
	v_pk_fma_f32 v[2:3], v[6:7], v[10:11], v[2:3] op_sel_hi:[0,1,1]
	v_div_scale_f32 v4, s[10:11], v5, v5, v3
	v_rcp_f32_e32 v6, v4
	v_addc_co_u32_e32 v1, vcc, v7, v1, vcc
	v_fma_f32 v7, -v4, v6, 1.0
	v_fmac_f32_e32 v6, v7, v6
	v_div_scale_f32 v7, vcc, v3, v5, v3
	v_mul_f32_e32 v8, v7, v6
	v_fma_f32 v9, -v4, v8, v7
	v_fmac_f32_e32 v8, v9, v6
	v_fma_f32 v4, -v4, v8, v7
	v_div_scale_f32 v7, s[10:11], v5, v5, v2
	v_rcp_f32_e32 v9, v7
	v_div_fmas_f32 v4, v4, v6, v8
	v_div_fixup_f32 v3, v4, v5, v3
	v_fma_f32 v4, -v7, v9, 1.0
	v_fmac_f32_e32 v9, v4, v9
	v_div_scale_f32 v4, vcc, v2, v5, v2
	v_mul_f32_e32 v6, v4, v9
	v_fma_f32 v8, -v7, v6, v4
	v_fmac_f32_e32 v6, v8, v9
	v_fma_f32 v4, -v7, v6, v4
	v_div_fmas_f32 v4, v4, v9, v6
	v_div_fixup_f32 v2, v4, v5, v2
	global_store_dwordx2 v[0:1], v[2:3], off
	v_mov_b32_e32 v0, 0
.LBB29_379:                             ;   in Loop: Header=BB29_14 Depth=1
	s_or_b64 exec, exec, s[74:75]
	v_cmp_gt_i32_e32 vcc, s66, v0
	s_mov_b64 s[74:75], -1
	s_and_saveexec_b64 s[76:77], vcc
; %bb.380:                              ;   in Loop: Header=BB29_14 Depth=1
	v_cmp_eq_u32_e32 vcc, 0, v0
	s_orn2_b64 s[74:75], vcc, exec
; %bb.381:                              ;   in Loop: Header=BB29_14 Depth=1
	s_or_b64 exec, exec, s[76:77]
	s_and_b64 exec, exec, s[74:75]
	s_cbranch_execz .LBB29_12
; %bb.382:                              ;   in Loop: Header=BB29_14 Depth=1
	buffer_load_dword v0, off, s[96:99], 0 offset:132 ; 4-byte Folded Reload
	s_waitcnt vmcnt(0)
	v_add_u32_e32 v1, s78, v0
	v_cmp_gt_i32_e32 vcc, s28, v1
	s_and_b64 s[10:11], vcc, s[8:9]
	v_mov_b32_e32 v0, 0x47
	s_and_saveexec_b64 s[74:75], s[10:11]
	s_cbranch_execz .LBB29_384
; %bb.383:                              ;   in Loop: Header=BB29_14 Depth=1
	buffer_load_dword v0, off, s[96:99], 0 offset:136 ; 4-byte Folded Reload
	v_mov_b32_e32 v7, s6
	s_waitcnt vmcnt(0)
	v_add_u32_e32 v6, 0, v0
	v_mad_u64_u32 v[0:1], s[10:11], v1, s29, v[62:63]
	buffer_load_dword v1, off, s[96:99], 0 offset:140 ; 4-byte Folded Reload
	v_lshl_add_u32 v0, v0, 7, v220
	s_waitcnt vmcnt(0)
	ds_read2st64_b32 v[2:3], v1 offset1:17
	ds_read2_b32 v[4:5], v6 offset0:64 offset1:65
	ds_read_b32 v6, v6 offset:4608
	v_ashrrev_i32_e32 v1, 31, v0
	v_lshlrev_b64 v[0:1], 3, v[0:1]
	s_waitcnt lgkmcnt(2)
	v_cvt_f32_f16_sdwa v9, v2 dst_sel:DWORD dst_unused:UNUSED_PAD src0_sel:WORD_1
	v_cvt_f32_f16_e32 v8, v2
	v_cvt_f32_f16_sdwa v11, v3 dst_sel:DWORD dst_unused:UNUSED_PAD src0_sel:WORD_1
	v_cvt_f32_f16_e32 v10, v3
	v_add_co_u32_e32 v0, vcc, s7, v0
	s_waitcnt lgkmcnt(1)
	v_pk_fma_f32 v[2:3], v[4:5], v[8:9], 0 op_sel_hi:[0,1,0]
	s_waitcnt lgkmcnt(0)
	v_pk_fma_f32 v[2:3], v[6:7], v[10:11], v[2:3] op_sel_hi:[0,1,1]
	v_div_scale_f32 v4, s[10:11], v5, v5, v3
	v_rcp_f32_e32 v6, v4
	v_addc_co_u32_e32 v1, vcc, v7, v1, vcc
	v_fma_f32 v7, -v4, v6, 1.0
	v_fmac_f32_e32 v6, v7, v6
	v_div_scale_f32 v7, vcc, v3, v5, v3
	v_mul_f32_e32 v8, v7, v6
	v_fma_f32 v9, -v4, v8, v7
	v_fmac_f32_e32 v8, v9, v6
	v_fma_f32 v4, -v4, v8, v7
	v_div_scale_f32 v7, s[10:11], v5, v5, v2
	v_rcp_f32_e32 v9, v7
	v_div_fmas_f32 v4, v4, v6, v8
	v_div_fixup_f32 v3, v4, v5, v3
	v_fma_f32 v4, -v7, v9, 1.0
	v_fmac_f32_e32 v9, v4, v9
	v_div_scale_f32 v4, vcc, v2, v5, v2
	v_mul_f32_e32 v6, v4, v9
	v_fma_f32 v8, -v7, v6, v4
	v_fmac_f32_e32 v6, v8, v9
	v_fma_f32 v4, -v7, v6, v4
	v_div_fmas_f32 v4, v4, v9, v6
	v_div_fixup_f32 v2, v4, v5, v2
	global_store_dwordx2 v[0:1], v[2:3], off
	v_mov_b32_e32 v0, 0
.LBB29_384:                             ;   in Loop: Header=BB29_14 Depth=1
	s_or_b64 exec, exec, s[74:75]
	v_cmp_gt_i32_e32 vcc, s66, v0
	s_mov_b64 s[74:75], -1
	s_and_saveexec_b64 s[76:77], vcc
; %bb.385:                              ;   in Loop: Header=BB29_14 Depth=1
	v_cmp_eq_u32_e32 vcc, 0, v0
	s_orn2_b64 s[74:75], vcc, exec
; %bb.386:                              ;   in Loop: Header=BB29_14 Depth=1
	s_or_b64 exec, exec, s[76:77]
	s_and_b64 exec, exec, s[74:75]
	s_cbranch_execz .LBB29_12
; %bb.387:                              ;   in Loop: Header=BB29_14 Depth=1
	buffer_load_dword v0, off, s[96:99], 0 offset:144 ; 4-byte Folded Reload
	s_waitcnt vmcnt(0)
	v_add_u32_e32 v1, s78, v0
	v_cmp_gt_i32_e32 vcc, s28, v1
	s_and_b64 s[10:11], vcc, s[8:9]
	v_mov_b32_e32 v0, 0x47
	s_and_saveexec_b64 s[74:75], s[10:11]
	s_cbranch_execz .LBB29_389
; %bb.388:                              ;   in Loop: Header=BB29_14 Depth=1
	buffer_load_dword v0, off, s[96:99], 0 offset:148 ; 4-byte Folded Reload
	v_mov_b32_e32 v7, s6
	s_waitcnt vmcnt(0)
	v_add_u32_e32 v6, 0, v0
	v_mad_u64_u32 v[0:1], s[10:11], v1, s29, v[62:63]
	buffer_load_dword v1, off, s[96:99], 0 offset:152 ; 4-byte Folded Reload
	v_lshl_add_u32 v0, v0, 7, v220
	s_waitcnt vmcnt(0)
	ds_read2st64_b32 v[2:3], v1 offset1:17
	ds_read2_b32 v[4:5], v6 offset0:64 offset1:65
	ds_read_b32 v6, v6 offset:4608
	v_ashrrev_i32_e32 v1, 31, v0
	v_lshlrev_b64 v[0:1], 3, v[0:1]
	s_waitcnt lgkmcnt(2)
	v_cvt_f32_f16_sdwa v9, v2 dst_sel:DWORD dst_unused:UNUSED_PAD src0_sel:WORD_1
	v_cvt_f32_f16_e32 v8, v2
	v_cvt_f32_f16_sdwa v11, v3 dst_sel:DWORD dst_unused:UNUSED_PAD src0_sel:WORD_1
	v_cvt_f32_f16_e32 v10, v3
	v_add_co_u32_e32 v0, vcc, s7, v0
	s_waitcnt lgkmcnt(1)
	v_pk_fma_f32 v[2:3], v[4:5], v[8:9], 0 op_sel_hi:[0,1,0]
	s_waitcnt lgkmcnt(0)
	v_pk_fma_f32 v[2:3], v[6:7], v[10:11], v[2:3] op_sel_hi:[0,1,1]
	v_div_scale_f32 v4, s[10:11], v5, v5, v3
	v_rcp_f32_e32 v6, v4
	v_addc_co_u32_e32 v1, vcc, v7, v1, vcc
	v_fma_f32 v7, -v4, v6, 1.0
	v_fmac_f32_e32 v6, v7, v6
	v_div_scale_f32 v7, vcc, v3, v5, v3
	v_mul_f32_e32 v8, v7, v6
	v_fma_f32 v9, -v4, v8, v7
	v_fmac_f32_e32 v8, v9, v6
	v_fma_f32 v4, -v4, v8, v7
	v_div_scale_f32 v7, s[10:11], v5, v5, v2
	v_rcp_f32_e32 v9, v7
	v_div_fmas_f32 v4, v4, v6, v8
	v_div_fixup_f32 v3, v4, v5, v3
	v_fma_f32 v4, -v7, v9, 1.0
	v_fmac_f32_e32 v9, v4, v9
	v_div_scale_f32 v4, vcc, v2, v5, v2
	v_mul_f32_e32 v6, v4, v9
	v_fma_f32 v8, -v7, v6, v4
	v_fmac_f32_e32 v6, v8, v9
	v_fma_f32 v4, -v7, v6, v4
	v_div_fmas_f32 v4, v4, v9, v6
	v_div_fixup_f32 v2, v4, v5, v2
	global_store_dwordx2 v[0:1], v[2:3], off
	v_mov_b32_e32 v0, 0
.LBB29_389:                             ;   in Loop: Header=BB29_14 Depth=1
	s_or_b64 exec, exec, s[74:75]
	v_cmp_gt_i32_e32 vcc, s66, v0
	s_mov_b64 s[74:75], -1
	s_and_saveexec_b64 s[76:77], vcc
; %bb.390:                              ;   in Loop: Header=BB29_14 Depth=1
	v_cmp_eq_u32_e32 vcc, 0, v0
	s_orn2_b64 s[74:75], vcc, exec
; %bb.391:                              ;   in Loop: Header=BB29_14 Depth=1
	s_or_b64 exec, exec, s[76:77]
	s_and_b64 exec, exec, s[74:75]
	s_cbranch_execz .LBB29_12
; %bb.392:                              ;   in Loop: Header=BB29_14 Depth=1
	buffer_load_dword v0, off, s[96:99], 0 offset:156 ; 4-byte Folded Reload
	s_waitcnt vmcnt(0)
	v_add_u32_e32 v1, s78, v0
	v_cmp_gt_i32_e32 vcc, s28, v1
	s_and_b64 s[10:11], vcc, s[8:9]
	v_mov_b32_e32 v0, 0x47
	s_and_saveexec_b64 s[74:75], s[10:11]
	s_cbranch_execz .LBB29_394
; %bb.393:                              ;   in Loop: Header=BB29_14 Depth=1
	buffer_load_dword v0, off, s[96:99], 0 offset:160 ; 4-byte Folded Reload
	v_mov_b32_e32 v7, s6
	s_waitcnt vmcnt(0)
	v_add_u32_e32 v6, 0, v0
	v_mad_u64_u32 v[0:1], s[10:11], v1, s29, v[62:63]
	buffer_load_dword v1, off, s[96:99], 0 offset:164 ; 4-byte Folded Reload
	v_lshl_add_u32 v0, v0, 7, v220
	s_waitcnt vmcnt(0)
	ds_read2st64_b32 v[2:3], v1 offset1:17
	ds_read2_b32 v[4:5], v6 offset0:64 offset1:65
	ds_read_b32 v6, v6 offset:4608
	v_ashrrev_i32_e32 v1, 31, v0
	v_lshlrev_b64 v[0:1], 3, v[0:1]
	s_waitcnt lgkmcnt(2)
	v_cvt_f32_f16_sdwa v9, v2 dst_sel:DWORD dst_unused:UNUSED_PAD src0_sel:WORD_1
	v_cvt_f32_f16_e32 v8, v2
	v_cvt_f32_f16_sdwa v11, v3 dst_sel:DWORD dst_unused:UNUSED_PAD src0_sel:WORD_1
	v_cvt_f32_f16_e32 v10, v3
	v_add_co_u32_e32 v0, vcc, s7, v0
	s_waitcnt lgkmcnt(1)
	v_pk_fma_f32 v[2:3], v[4:5], v[8:9], 0 op_sel_hi:[0,1,0]
	s_waitcnt lgkmcnt(0)
	v_pk_fma_f32 v[2:3], v[6:7], v[10:11], v[2:3] op_sel_hi:[0,1,1]
	v_div_scale_f32 v4, s[10:11], v5, v5, v3
	v_rcp_f32_e32 v6, v4
	v_addc_co_u32_e32 v1, vcc, v7, v1, vcc
	v_fma_f32 v7, -v4, v6, 1.0
	v_fmac_f32_e32 v6, v7, v6
	v_div_scale_f32 v7, vcc, v3, v5, v3
	v_mul_f32_e32 v8, v7, v6
	v_fma_f32 v9, -v4, v8, v7
	v_fmac_f32_e32 v8, v9, v6
	v_fma_f32 v4, -v4, v8, v7
	v_div_scale_f32 v7, s[10:11], v5, v5, v2
	v_rcp_f32_e32 v9, v7
	v_div_fmas_f32 v4, v4, v6, v8
	v_div_fixup_f32 v3, v4, v5, v3
	v_fma_f32 v4, -v7, v9, 1.0
	v_fmac_f32_e32 v9, v4, v9
	v_div_scale_f32 v4, vcc, v2, v5, v2
	v_mul_f32_e32 v6, v4, v9
	v_fma_f32 v8, -v7, v6, v4
	v_fmac_f32_e32 v6, v8, v9
	v_fma_f32 v4, -v7, v6, v4
	v_div_fmas_f32 v4, v4, v9, v6
	v_div_fixup_f32 v2, v4, v5, v2
	global_store_dwordx2 v[0:1], v[2:3], off
	v_mov_b32_e32 v0, 0
.LBB29_394:                             ;   in Loop: Header=BB29_14 Depth=1
	s_or_b64 exec, exec, s[74:75]
	v_cmp_gt_i32_e32 vcc, s66, v0
	s_mov_b64 s[74:75], -1
	s_and_saveexec_b64 s[76:77], vcc
; %bb.395:                              ;   in Loop: Header=BB29_14 Depth=1
	v_cmp_eq_u32_e32 vcc, 0, v0
	s_orn2_b64 s[74:75], vcc, exec
; %bb.396:                              ;   in Loop: Header=BB29_14 Depth=1
	s_or_b64 exec, exec, s[76:77]
	s_and_b64 exec, exec, s[74:75]
	s_cbranch_execz .LBB29_12
; %bb.397:                              ;   in Loop: Header=BB29_14 Depth=1
	buffer_load_dword v0, off, s[96:99], 0 offset:168 ; 4-byte Folded Reload
	s_waitcnt vmcnt(0)
	v_add_u32_e32 v1, s78, v0
	v_cmp_gt_i32_e32 vcc, s28, v1
	s_and_b64 s[10:11], vcc, s[8:9]
	v_mov_b32_e32 v0, 0x47
	s_and_saveexec_b64 s[74:75], s[10:11]
	s_cbranch_execz .LBB29_399
; %bb.398:                              ;   in Loop: Header=BB29_14 Depth=1
	buffer_load_dword v0, off, s[96:99], 0 offset:172 ; 4-byte Folded Reload
	v_mov_b32_e32 v7, s6
	s_waitcnt vmcnt(0)
	v_add_u32_e32 v6, 0, v0
	v_mad_u64_u32 v[0:1], s[10:11], v1, s29, v[62:63]
	buffer_load_dword v1, off, s[96:99], 0 offset:176 ; 4-byte Folded Reload
	v_lshl_add_u32 v0, v0, 7, v220
	s_waitcnt vmcnt(0)
	ds_read2st64_b32 v[2:3], v1 offset1:17
	ds_read2_b32 v[4:5], v6 offset0:64 offset1:65
	ds_read_b32 v6, v6 offset:4608
	v_ashrrev_i32_e32 v1, 31, v0
	v_lshlrev_b64 v[0:1], 3, v[0:1]
	s_waitcnt lgkmcnt(2)
	v_cvt_f32_f16_sdwa v9, v2 dst_sel:DWORD dst_unused:UNUSED_PAD src0_sel:WORD_1
	v_cvt_f32_f16_e32 v8, v2
	v_cvt_f32_f16_sdwa v11, v3 dst_sel:DWORD dst_unused:UNUSED_PAD src0_sel:WORD_1
	v_cvt_f32_f16_e32 v10, v3
	v_add_co_u32_e32 v0, vcc, s7, v0
	s_waitcnt lgkmcnt(1)
	v_pk_fma_f32 v[2:3], v[4:5], v[8:9], 0 op_sel_hi:[0,1,0]
	s_waitcnt lgkmcnt(0)
	v_pk_fma_f32 v[2:3], v[6:7], v[10:11], v[2:3] op_sel_hi:[0,1,1]
	v_div_scale_f32 v4, s[10:11], v5, v5, v3
	v_rcp_f32_e32 v6, v4
	v_addc_co_u32_e32 v1, vcc, v7, v1, vcc
	v_fma_f32 v7, -v4, v6, 1.0
	v_fmac_f32_e32 v6, v7, v6
	v_div_scale_f32 v7, vcc, v3, v5, v3
	v_mul_f32_e32 v8, v7, v6
	v_fma_f32 v9, -v4, v8, v7
	v_fmac_f32_e32 v8, v9, v6
	v_fma_f32 v4, -v4, v8, v7
	v_div_scale_f32 v7, s[10:11], v5, v5, v2
	v_rcp_f32_e32 v9, v7
	v_div_fmas_f32 v4, v4, v6, v8
	v_div_fixup_f32 v3, v4, v5, v3
	v_fma_f32 v4, -v7, v9, 1.0
	v_fmac_f32_e32 v9, v4, v9
	v_div_scale_f32 v4, vcc, v2, v5, v2
	v_mul_f32_e32 v6, v4, v9
	v_fma_f32 v8, -v7, v6, v4
	v_fmac_f32_e32 v6, v8, v9
	v_fma_f32 v4, -v7, v6, v4
	v_div_fmas_f32 v4, v4, v9, v6
	v_div_fixup_f32 v2, v4, v5, v2
	global_store_dwordx2 v[0:1], v[2:3], off
	v_mov_b32_e32 v0, 0
.LBB29_399:                             ;   in Loop: Header=BB29_14 Depth=1
	s_or_b64 exec, exec, s[74:75]
	v_cmp_gt_i32_e32 vcc, s66, v0
	s_mov_b64 s[74:75], -1
	s_and_saveexec_b64 s[76:77], vcc
; %bb.400:                              ;   in Loop: Header=BB29_14 Depth=1
	v_cmp_eq_u32_e32 vcc, 0, v0
	s_orn2_b64 s[74:75], vcc, exec
; %bb.401:                              ;   in Loop: Header=BB29_14 Depth=1
	s_or_b64 exec, exec, s[76:77]
	s_and_b64 exec, exec, s[74:75]
	s_cbranch_execz .LBB29_12
; %bb.402:                              ;   in Loop: Header=BB29_14 Depth=1
	buffer_load_dword v0, off, s[96:99], 0 offset:180 ; 4-byte Folded Reload
	s_waitcnt vmcnt(0)
	v_add_u32_e32 v1, s78, v0
	v_cmp_gt_i32_e32 vcc, s28, v1
	s_and_b64 s[10:11], vcc, s[8:9]
	v_mov_b32_e32 v0, 0x47
	s_and_saveexec_b64 s[74:75], s[10:11]
	s_cbranch_execz .LBB29_404
; %bb.403:                              ;   in Loop: Header=BB29_14 Depth=1
	buffer_load_dword v0, off, s[96:99], 0 offset:184 ; 4-byte Folded Reload
	v_mov_b32_e32 v7, s6
	s_waitcnt vmcnt(0)
	v_add_u32_e32 v6, 0, v0
	v_mad_u64_u32 v[0:1], s[10:11], v1, s29, v[62:63]
	buffer_load_dword v1, off, s[96:99], 0 offset:188 ; 4-byte Folded Reload
	v_lshl_add_u32 v0, v0, 7, v220
	s_waitcnt vmcnt(0)
	ds_read2st64_b32 v[2:3], v1 offset1:17
	ds_read2_b32 v[4:5], v6 offset0:64 offset1:65
	ds_read_b32 v6, v6 offset:4608
	v_ashrrev_i32_e32 v1, 31, v0
	v_lshlrev_b64 v[0:1], 3, v[0:1]
	s_waitcnt lgkmcnt(2)
	v_cvt_f32_f16_sdwa v9, v2 dst_sel:DWORD dst_unused:UNUSED_PAD src0_sel:WORD_1
	v_cvt_f32_f16_e32 v8, v2
	v_cvt_f32_f16_sdwa v11, v3 dst_sel:DWORD dst_unused:UNUSED_PAD src0_sel:WORD_1
	v_cvt_f32_f16_e32 v10, v3
	v_add_co_u32_e32 v0, vcc, s7, v0
	s_waitcnt lgkmcnt(1)
	v_pk_fma_f32 v[2:3], v[4:5], v[8:9], 0 op_sel_hi:[0,1,0]
	s_waitcnt lgkmcnt(0)
	v_pk_fma_f32 v[2:3], v[6:7], v[10:11], v[2:3] op_sel_hi:[0,1,1]
	v_div_scale_f32 v4, s[10:11], v5, v5, v3
	v_rcp_f32_e32 v6, v4
	v_addc_co_u32_e32 v1, vcc, v7, v1, vcc
	v_fma_f32 v7, -v4, v6, 1.0
	v_fmac_f32_e32 v6, v7, v6
	v_div_scale_f32 v7, vcc, v3, v5, v3
	v_mul_f32_e32 v8, v7, v6
	v_fma_f32 v9, -v4, v8, v7
	v_fmac_f32_e32 v8, v9, v6
	v_fma_f32 v4, -v4, v8, v7
	v_div_scale_f32 v7, s[10:11], v5, v5, v2
	v_rcp_f32_e32 v9, v7
	v_div_fmas_f32 v4, v4, v6, v8
	v_div_fixup_f32 v3, v4, v5, v3
	v_fma_f32 v4, -v7, v9, 1.0
	v_fmac_f32_e32 v9, v4, v9
	v_div_scale_f32 v4, vcc, v2, v5, v2
	v_mul_f32_e32 v6, v4, v9
	v_fma_f32 v8, -v7, v6, v4
	v_fmac_f32_e32 v6, v8, v9
	v_fma_f32 v4, -v7, v6, v4
	v_div_fmas_f32 v4, v4, v9, v6
	v_div_fixup_f32 v2, v4, v5, v2
	global_store_dwordx2 v[0:1], v[2:3], off
	v_mov_b32_e32 v0, 0
.LBB29_404:                             ;   in Loop: Header=BB29_14 Depth=1
	s_or_b64 exec, exec, s[74:75]
	v_cmp_gt_i32_e32 vcc, s66, v0
	s_mov_b64 s[74:75], -1
	s_and_saveexec_b64 s[76:77], vcc
; %bb.405:                              ;   in Loop: Header=BB29_14 Depth=1
	v_cmp_eq_u32_e32 vcc, 0, v0
	s_orn2_b64 s[74:75], vcc, exec
; %bb.406:                              ;   in Loop: Header=BB29_14 Depth=1
	s_or_b64 exec, exec, s[76:77]
	s_and_b64 exec, exec, s[74:75]
	s_cbranch_execz .LBB29_12
; %bb.407:                              ;   in Loop: Header=BB29_14 Depth=1
	buffer_load_dword v0, off, s[96:99], 0 offset:192 ; 4-byte Folded Reload
	s_waitcnt vmcnt(0)
	v_add_u32_e32 v1, s78, v0
	v_cmp_gt_i32_e32 vcc, s28, v1
	s_and_b64 s[10:11], vcc, s[8:9]
	v_mov_b32_e32 v0, 0x47
	s_and_saveexec_b64 s[74:75], s[10:11]
	s_cbranch_execz .LBB29_409
; %bb.408:                              ;   in Loop: Header=BB29_14 Depth=1
	buffer_load_dword v0, off, s[96:99], 0 offset:196 ; 4-byte Folded Reload
	v_mov_b32_e32 v7, s6
	s_waitcnt vmcnt(0)
	v_add_u32_e32 v6, 0, v0
	v_mad_u64_u32 v[0:1], s[10:11], v1, s29, v[62:63]
	buffer_load_dword v1, off, s[96:99], 0 offset:200 ; 4-byte Folded Reload
	v_lshl_add_u32 v0, v0, 7, v220
	s_waitcnt vmcnt(0)
	ds_read2st64_b32 v[2:3], v1 offset1:17
	ds_read2_b32 v[4:5], v6 offset0:64 offset1:65
	ds_read_b32 v6, v6 offset:4608
	v_ashrrev_i32_e32 v1, 31, v0
	v_lshlrev_b64 v[0:1], 3, v[0:1]
	s_waitcnt lgkmcnt(2)
	v_cvt_f32_f16_sdwa v9, v2 dst_sel:DWORD dst_unused:UNUSED_PAD src0_sel:WORD_1
	v_cvt_f32_f16_e32 v8, v2
	v_cvt_f32_f16_sdwa v11, v3 dst_sel:DWORD dst_unused:UNUSED_PAD src0_sel:WORD_1
	v_cvt_f32_f16_e32 v10, v3
	v_add_co_u32_e32 v0, vcc, s7, v0
	s_waitcnt lgkmcnt(1)
	v_pk_fma_f32 v[2:3], v[4:5], v[8:9], 0 op_sel_hi:[0,1,0]
	s_waitcnt lgkmcnt(0)
	v_pk_fma_f32 v[2:3], v[6:7], v[10:11], v[2:3] op_sel_hi:[0,1,1]
	v_div_scale_f32 v4, s[10:11], v5, v5, v3
	v_rcp_f32_e32 v6, v4
	v_addc_co_u32_e32 v1, vcc, v7, v1, vcc
	v_fma_f32 v7, -v4, v6, 1.0
	v_fmac_f32_e32 v6, v7, v6
	v_div_scale_f32 v7, vcc, v3, v5, v3
	v_mul_f32_e32 v8, v7, v6
	v_fma_f32 v9, -v4, v8, v7
	v_fmac_f32_e32 v8, v9, v6
	v_fma_f32 v4, -v4, v8, v7
	v_div_scale_f32 v7, s[10:11], v5, v5, v2
	v_rcp_f32_e32 v9, v7
	v_div_fmas_f32 v4, v4, v6, v8
	v_div_fixup_f32 v3, v4, v5, v3
	v_fma_f32 v4, -v7, v9, 1.0
	v_fmac_f32_e32 v9, v4, v9
	v_div_scale_f32 v4, vcc, v2, v5, v2
	v_mul_f32_e32 v6, v4, v9
	v_fma_f32 v8, -v7, v6, v4
	v_fmac_f32_e32 v6, v8, v9
	v_fma_f32 v4, -v7, v6, v4
	v_div_fmas_f32 v4, v4, v9, v6
	v_div_fixup_f32 v2, v4, v5, v2
	global_store_dwordx2 v[0:1], v[2:3], off
	v_mov_b32_e32 v0, 0
.LBB29_409:                             ;   in Loop: Header=BB29_14 Depth=1
	s_or_b64 exec, exec, s[74:75]
	v_cmp_gt_i32_e32 vcc, s66, v0
	s_mov_b64 s[74:75], -1
	s_and_saveexec_b64 s[76:77], vcc
; %bb.410:                              ;   in Loop: Header=BB29_14 Depth=1
	v_cmp_eq_u32_e32 vcc, 0, v0
	s_orn2_b64 s[74:75], vcc, exec
; %bb.411:                              ;   in Loop: Header=BB29_14 Depth=1
	s_or_b64 exec, exec, s[76:77]
	s_and_b64 exec, exec, s[74:75]
	s_cbranch_execz .LBB29_12
; %bb.412:                              ;   in Loop: Header=BB29_14 Depth=1
	buffer_load_dword v0, off, s[96:99], 0 offset:204 ; 4-byte Folded Reload
	s_waitcnt vmcnt(0)
	v_add_u32_e32 v1, s78, v0
	v_cmp_gt_i32_e32 vcc, s28, v1
	s_and_b64 s[10:11], vcc, s[8:9]
	v_mov_b32_e32 v0, 0x47
	s_and_saveexec_b64 s[74:75], s[10:11]
	s_cbranch_execz .LBB29_414
; %bb.413:                              ;   in Loop: Header=BB29_14 Depth=1
	buffer_load_dword v0, off, s[96:99], 0 offset:208 ; 4-byte Folded Reload
	v_mov_b32_e32 v7, s6
	s_waitcnt vmcnt(0)
	v_add_u32_e32 v6, 0, v0
	v_mad_u64_u32 v[0:1], s[10:11], v1, s29, v[62:63]
	buffer_load_dword v1, off, s[96:99], 0 offset:212 ; 4-byte Folded Reload
	v_lshl_add_u32 v0, v0, 7, v220
	s_waitcnt vmcnt(0)
	ds_read2st64_b32 v[2:3], v1 offset1:17
	ds_read2_b32 v[4:5], v6 offset0:64 offset1:65
	ds_read_b32 v6, v6 offset:4608
	v_ashrrev_i32_e32 v1, 31, v0
	v_lshlrev_b64 v[0:1], 3, v[0:1]
	s_waitcnt lgkmcnt(2)
	v_cvt_f32_f16_sdwa v9, v2 dst_sel:DWORD dst_unused:UNUSED_PAD src0_sel:WORD_1
	v_cvt_f32_f16_e32 v8, v2
	v_cvt_f32_f16_sdwa v11, v3 dst_sel:DWORD dst_unused:UNUSED_PAD src0_sel:WORD_1
	v_cvt_f32_f16_e32 v10, v3
	v_add_co_u32_e32 v0, vcc, s7, v0
	s_waitcnt lgkmcnt(1)
	v_pk_fma_f32 v[2:3], v[4:5], v[8:9], 0 op_sel_hi:[0,1,0]
	s_waitcnt lgkmcnt(0)
	v_pk_fma_f32 v[2:3], v[6:7], v[10:11], v[2:3] op_sel_hi:[0,1,1]
	v_div_scale_f32 v4, s[10:11], v5, v5, v3
	v_rcp_f32_e32 v6, v4
	v_addc_co_u32_e32 v1, vcc, v7, v1, vcc
	v_fma_f32 v7, -v4, v6, 1.0
	v_fmac_f32_e32 v6, v7, v6
	v_div_scale_f32 v7, vcc, v3, v5, v3
	v_mul_f32_e32 v8, v7, v6
	v_fma_f32 v9, -v4, v8, v7
	v_fmac_f32_e32 v8, v9, v6
	v_fma_f32 v4, -v4, v8, v7
	v_div_scale_f32 v7, s[10:11], v5, v5, v2
	v_rcp_f32_e32 v9, v7
	v_div_fmas_f32 v4, v4, v6, v8
	v_div_fixup_f32 v3, v4, v5, v3
	v_fma_f32 v4, -v7, v9, 1.0
	v_fmac_f32_e32 v9, v4, v9
	v_div_scale_f32 v4, vcc, v2, v5, v2
	v_mul_f32_e32 v6, v4, v9
	v_fma_f32 v8, -v7, v6, v4
	v_fmac_f32_e32 v6, v8, v9
	v_fma_f32 v4, -v7, v6, v4
	v_div_fmas_f32 v4, v4, v9, v6
	v_div_fixup_f32 v2, v4, v5, v2
	global_store_dwordx2 v[0:1], v[2:3], off
	v_mov_b32_e32 v0, 0
.LBB29_414:                             ;   in Loop: Header=BB29_14 Depth=1
	s_or_b64 exec, exec, s[74:75]
	v_cmp_gt_i32_e32 vcc, s66, v0
	s_mov_b64 s[74:75], -1
	s_and_saveexec_b64 s[76:77], vcc
; %bb.415:                              ;   in Loop: Header=BB29_14 Depth=1
	v_cmp_eq_u32_e32 vcc, 0, v0
	s_orn2_b64 s[74:75], vcc, exec
; %bb.416:                              ;   in Loop: Header=BB29_14 Depth=1
	s_or_b64 exec, exec, s[76:77]
	s_and_b64 exec, exec, s[74:75]
	s_cbranch_execz .LBB29_12
; %bb.417:                              ;   in Loop: Header=BB29_14 Depth=1
	buffer_load_dword v0, off, s[96:99], 0 offset:216 ; 4-byte Folded Reload
	s_waitcnt vmcnt(0)
	v_add_u32_e32 v1, s78, v0
	v_cmp_gt_i32_e32 vcc, s28, v1
	s_and_b64 s[10:11], vcc, s[8:9]
	v_mov_b32_e32 v0, 0x47
	s_and_saveexec_b64 s[74:75], s[10:11]
	s_cbranch_execz .LBB29_419
; %bb.418:                              ;   in Loop: Header=BB29_14 Depth=1
	buffer_load_dword v0, off, s[96:99], 0 offset:220 ; 4-byte Folded Reload
	v_mov_b32_e32 v7, s6
	s_waitcnt vmcnt(0)
	v_add_u32_e32 v6, 0, v0
	v_mad_u64_u32 v[0:1], s[10:11], v1, s29, v[62:63]
	buffer_load_dword v1, off, s[96:99], 0 offset:224 ; 4-byte Folded Reload
	v_lshl_add_u32 v0, v0, 7, v220
	s_waitcnt vmcnt(0)
	ds_read2st64_b32 v[2:3], v1 offset1:17
	ds_read2_b32 v[4:5], v6 offset0:64 offset1:65
	ds_read_b32 v6, v6 offset:4608
	v_ashrrev_i32_e32 v1, 31, v0
	v_lshlrev_b64 v[0:1], 3, v[0:1]
	s_waitcnt lgkmcnt(2)
	v_cvt_f32_f16_sdwa v9, v2 dst_sel:DWORD dst_unused:UNUSED_PAD src0_sel:WORD_1
	v_cvt_f32_f16_e32 v8, v2
	v_cvt_f32_f16_sdwa v11, v3 dst_sel:DWORD dst_unused:UNUSED_PAD src0_sel:WORD_1
	v_cvt_f32_f16_e32 v10, v3
	v_add_co_u32_e32 v0, vcc, s7, v0
	s_waitcnt lgkmcnt(1)
	v_pk_fma_f32 v[2:3], v[4:5], v[8:9], 0 op_sel_hi:[0,1,0]
	s_waitcnt lgkmcnt(0)
	v_pk_fma_f32 v[2:3], v[6:7], v[10:11], v[2:3] op_sel_hi:[0,1,1]
	v_div_scale_f32 v4, s[10:11], v5, v5, v3
	v_rcp_f32_e32 v6, v4
	v_addc_co_u32_e32 v1, vcc, v7, v1, vcc
	v_fma_f32 v7, -v4, v6, 1.0
	v_fmac_f32_e32 v6, v7, v6
	v_div_scale_f32 v7, vcc, v3, v5, v3
	v_mul_f32_e32 v8, v7, v6
	v_fma_f32 v9, -v4, v8, v7
	v_fmac_f32_e32 v8, v9, v6
	v_fma_f32 v4, -v4, v8, v7
	v_div_scale_f32 v7, s[10:11], v5, v5, v2
	v_rcp_f32_e32 v9, v7
	v_div_fmas_f32 v4, v4, v6, v8
	v_div_fixup_f32 v3, v4, v5, v3
	v_fma_f32 v4, -v7, v9, 1.0
	v_fmac_f32_e32 v9, v4, v9
	v_div_scale_f32 v4, vcc, v2, v5, v2
	v_mul_f32_e32 v6, v4, v9
	v_fma_f32 v8, -v7, v6, v4
	v_fmac_f32_e32 v6, v8, v9
	v_fma_f32 v4, -v7, v6, v4
	v_div_fmas_f32 v4, v4, v9, v6
	v_div_fixup_f32 v2, v4, v5, v2
	global_store_dwordx2 v[0:1], v[2:3], off
	v_mov_b32_e32 v0, 0
.LBB29_419:                             ;   in Loop: Header=BB29_14 Depth=1
	s_or_b64 exec, exec, s[74:75]
	v_cmp_gt_i32_e32 vcc, s66, v0
	s_mov_b64 s[74:75], -1
	s_and_saveexec_b64 s[76:77], vcc
; %bb.420:                              ;   in Loop: Header=BB29_14 Depth=1
	v_cmp_eq_u32_e32 vcc, 0, v0
	s_orn2_b64 s[74:75], vcc, exec
; %bb.421:                              ;   in Loop: Header=BB29_14 Depth=1
	s_or_b64 exec, exec, s[76:77]
	s_and_b64 exec, exec, s[74:75]
	s_cbranch_execz .LBB29_12
; %bb.422:                              ;   in Loop: Header=BB29_14 Depth=1
	buffer_load_dword v0, off, s[96:99], 0 offset:228 ; 4-byte Folded Reload
	s_waitcnt vmcnt(0)
	v_add_u32_e32 v1, s78, v0
	v_cmp_gt_i32_e32 vcc, s28, v1
	s_and_b64 s[10:11], vcc, s[8:9]
	v_mov_b32_e32 v0, 0x47
	s_and_saveexec_b64 s[74:75], s[10:11]
	s_cbranch_execz .LBB29_424
; %bb.423:                              ;   in Loop: Header=BB29_14 Depth=1
	buffer_load_dword v0, off, s[96:99], 0 offset:232 ; 4-byte Folded Reload
	v_mov_b32_e32 v7, s6
	s_waitcnt vmcnt(0)
	v_add_u32_e32 v6, 0, v0
	v_mad_u64_u32 v[0:1], s[10:11], v1, s29, v[62:63]
	buffer_load_dword v1, off, s[96:99], 0 offset:236 ; 4-byte Folded Reload
	v_lshl_add_u32 v0, v0, 7, v220
	s_waitcnt vmcnt(0)
	ds_read2st64_b32 v[2:3], v1 offset1:17
	ds_read2_b32 v[4:5], v6 offset0:64 offset1:65
	ds_read_b32 v6, v6 offset:4608
	v_ashrrev_i32_e32 v1, 31, v0
	v_lshlrev_b64 v[0:1], 3, v[0:1]
	s_waitcnt lgkmcnt(2)
	v_cvt_f32_f16_sdwa v9, v2 dst_sel:DWORD dst_unused:UNUSED_PAD src0_sel:WORD_1
	v_cvt_f32_f16_e32 v8, v2
	v_cvt_f32_f16_sdwa v11, v3 dst_sel:DWORD dst_unused:UNUSED_PAD src0_sel:WORD_1
	v_cvt_f32_f16_e32 v10, v3
	v_add_co_u32_e32 v0, vcc, s7, v0
	s_waitcnt lgkmcnt(1)
	v_pk_fma_f32 v[2:3], v[4:5], v[8:9], 0 op_sel_hi:[0,1,0]
	s_waitcnt lgkmcnt(0)
	v_pk_fma_f32 v[2:3], v[6:7], v[10:11], v[2:3] op_sel_hi:[0,1,1]
	v_div_scale_f32 v4, s[10:11], v5, v5, v3
	v_rcp_f32_e32 v6, v4
	v_addc_co_u32_e32 v1, vcc, v7, v1, vcc
	v_fma_f32 v7, -v4, v6, 1.0
	v_fmac_f32_e32 v6, v7, v6
	v_div_scale_f32 v7, vcc, v3, v5, v3
	v_mul_f32_e32 v8, v7, v6
	v_fma_f32 v9, -v4, v8, v7
	v_fmac_f32_e32 v8, v9, v6
	v_fma_f32 v4, -v4, v8, v7
	v_div_scale_f32 v7, s[10:11], v5, v5, v2
	v_rcp_f32_e32 v9, v7
	v_div_fmas_f32 v4, v4, v6, v8
	v_div_fixup_f32 v3, v4, v5, v3
	v_fma_f32 v4, -v7, v9, 1.0
	v_fmac_f32_e32 v9, v4, v9
	v_div_scale_f32 v4, vcc, v2, v5, v2
	v_mul_f32_e32 v6, v4, v9
	v_fma_f32 v8, -v7, v6, v4
	v_fmac_f32_e32 v6, v8, v9
	v_fma_f32 v4, -v7, v6, v4
	v_div_fmas_f32 v4, v4, v9, v6
	v_div_fixup_f32 v2, v4, v5, v2
	global_store_dwordx2 v[0:1], v[2:3], off
	v_mov_b32_e32 v0, 0
.LBB29_424:                             ;   in Loop: Header=BB29_14 Depth=1
	s_or_b64 exec, exec, s[74:75]
	v_cmp_gt_i32_e32 vcc, s66, v0
	s_mov_b64 s[74:75], -1
	s_and_saveexec_b64 s[76:77], vcc
; %bb.425:                              ;   in Loop: Header=BB29_14 Depth=1
	v_cmp_eq_u32_e32 vcc, 0, v0
	s_orn2_b64 s[74:75], vcc, exec
; %bb.426:                              ;   in Loop: Header=BB29_14 Depth=1
	s_or_b64 exec, exec, s[76:77]
	s_and_b64 exec, exec, s[74:75]
	s_cbranch_execz .LBB29_12
; %bb.427:                              ;   in Loop: Header=BB29_14 Depth=1
	buffer_load_dword v0, off, s[96:99], 0 offset:240 ; 4-byte Folded Reload
	s_waitcnt vmcnt(0)
	v_add_u32_e32 v0, s78, v0
	v_cmp_gt_i32_e32 vcc, s28, v0
	s_and_b64 s[8:9], vcc, s[8:9]
	s_and_b64 exec, exec, s[8:9]
	s_cbranch_execz .LBB29_12
; %bb.428:                              ;   in Loop: Header=BB29_14 Depth=1
	buffer_load_dword v1, off, s[96:99], 0 offset:244 ; 4-byte Folded Reload
	v_mov_b32_e32 v7, s6
	s_waitcnt vmcnt(0)
	v_add_u32_e32 v6, 0, v1
	v_mad_u64_u32 v[0:1], s[8:9], v0, s29, v[62:63]
	buffer_load_dword v1, off, s[96:99], 0 offset:248 ; 4-byte Folded Reload
	v_lshl_add_u32 v0, v0, 7, v220
	s_waitcnt vmcnt(0)
	ds_read2st64_b32 v[2:3], v1 offset1:17
	ds_read2_b32 v[4:5], v6 offset0:64 offset1:65
	ds_read_b32 v6, v6 offset:4608
	v_ashrrev_i32_e32 v1, 31, v0
	v_lshlrev_b64 v[0:1], 3, v[0:1]
	s_waitcnt lgkmcnt(2)
	v_cvt_f32_f16_sdwa v9, v2 dst_sel:DWORD dst_unused:UNUSED_PAD src0_sel:WORD_1
	v_cvt_f32_f16_e32 v8, v2
	v_cvt_f32_f16_sdwa v11, v3 dst_sel:DWORD dst_unused:UNUSED_PAD src0_sel:WORD_1
	v_cvt_f32_f16_e32 v10, v3
	v_add_co_u32_e32 v0, vcc, s7, v0
	s_waitcnt lgkmcnt(1)
	v_pk_fma_f32 v[2:3], v[4:5], v[8:9], 0 op_sel_hi:[0,1,0]
	s_waitcnt lgkmcnt(0)
	v_pk_fma_f32 v[2:3], v[6:7], v[10:11], v[2:3] op_sel_hi:[0,1,1]
	v_div_scale_f32 v4, s[8:9], v5, v5, v3
	v_rcp_f32_e32 v6, v4
	v_addc_co_u32_e32 v1, vcc, v7, v1, vcc
	v_fma_f32 v7, -v4, v6, 1.0
	v_fmac_f32_e32 v6, v7, v6
	v_div_scale_f32 v7, vcc, v3, v5, v3
	v_mul_f32_e32 v8, v7, v6
	v_fma_f32 v9, -v4, v8, v7
	v_fmac_f32_e32 v8, v9, v6
	v_fma_f32 v4, -v4, v8, v7
	v_div_scale_f32 v7, s[6:7], v5, v5, v2
	v_rcp_f32_e32 v9, v7
	v_div_fmas_f32 v4, v4, v6, v8
	v_div_fixup_f32 v3, v4, v5, v3
	v_fma_f32 v4, -v7, v9, 1.0
	v_fmac_f32_e32 v9, v4, v9
	v_div_scale_f32 v4, vcc, v2, v5, v2
	v_mul_f32_e32 v6, v4, v9
	v_fma_f32 v8, -v7, v6, v4
	v_fmac_f32_e32 v6, v8, v9
	v_fma_f32 v4, -v7, v6, v4
	v_div_fmas_f32 v4, v4, v9, v6
	v_div_fixup_f32 v2, v4, v5, v2
	global_store_dwordx2 v[0:1], v[2:3], off
	s_branch .LBB29_12
.LBB29_429:
	buffer_load_dword v4, off, s[96:99], 0 offset:120 ; 4-byte Folded Reload
	v_readlane_b32 s56, v255, 6
	v_readlane_b32 s34, v255, 8
	;; [unrolled: 1-line block ×4, first 2 shown]
	s_mov_b32 s51, s52
	v_readlane_b32 s10, v255, 14
	v_lshlrev_b32_e32 v230, 3, v75
	v_and_b32_e32 v231, 1, v75
	v_add_u32_e32 v58, 56, v75
	v_add_u32_e32 v59, 48, v75
	v_add_u32_e32 v60, 40, v75
	v_add_u32_e32 v61, 32, v75
	v_add_u32_e32 v62, 24, v75
	v_add_u32_e32 v63, 16, v75
	v_add_u32_e32 v64, 8, v75
	v_readlane_b32 s11, v255, 15
	s_andn2_b64 vcc, exec, s[8:9]
	s_cbranch_vccnz .LBB29_10
.LBB29_430:
	v_readlane_b32 s6, v255, 3
	s_abs_i32 s0, s6
	v_cvt_f32_u32_e32 v0, s0
	s_sub_i32 s3, 0, s0
	s_abs_i32 s2, s54
	s_xor_b32 s1, s54, s6
	v_rcp_iflag_f32_e32 v0, v0
	s_ashr_i32 s1, s1, 31
	v_readlane_b32 s8, v255, 2
	v_readlane_b32 s9, v255, 1
	v_mul_f32_e32 v0, 0x4f7ffffe, v0
	v_cvt_u32_f32_e32 v0, v0
	v_mov_b32_e32 v32, s83
	v_readfirstlane_b32 s4, v0
	s_mul_i32 s3, s3, s4
	s_mul_hi_u32 s3, s4, s3
	s_add_i32 s4, s4, s3
	s_mul_hi_u32 s3, s2, s4
	s_mul_i32 s4, s3, s0
	s_sub_i32 s2, s2, s4
	s_add_i32 s5, s3, 1
	s_sub_i32 s4, s2, s0
	s_cmp_ge_u32 s2, s0
	s_cselect_b32 s3, s5, s3
	s_cselect_b32 s2, s4, s2
	s_add_i32 s4, s3, 1
	s_cmp_ge_u32 s2, s0
	s_cselect_b32 s0, s4, s3
	s_abs_i32 s2, s8
	v_cvt_f32_u32_e32 v0, s2
	s_xor_b32 s0, s0, s1
	s_sub_i32 s4, s0, s1
	s_sub_i32 s3, 0, s2
	v_rcp_iflag_f32_e32 v0, v0
	s_mul_i32 s0, s4, s6
	s_sub_i32 s0, s54, s0
	s_abs_i32 s5, s0
	v_mul_f32_e32 v0, 0x4f7ffffe, v0
	v_cvt_u32_f32_e32 v0, v0
	s_xor_b32 s1, s0, s8
	s_ashr_i32 s1, s1, 31
	v_readfirstlane_b32 s6, v0
	s_mul_i32 s3, s3, s6
	s_mul_hi_u32 s3, s6, s3
	s_add_i32 s6, s6, s3
	s_mul_hi_u32 s3, s5, s6
	s_mul_i32 s6, s3, s2
	s_sub_i32 s5, s5, s6
	s_add_i32 s7, s3, 1
	s_sub_i32 s6, s5, s2
	s_cmp_ge_u32 s5, s2
	s_cselect_b32 s3, s7, s3
	s_cselect_b32 s5, s6, s5
	s_add_i32 s6, s3, 1
	s_cmp_ge_u32 s5, s2
	s_cselect_b32 s2, s6, s3
	s_abs_i32 s3, s9
	v_cvt_f32_u32_e32 v0, s3
	s_xor_b32 s2, s2, s1
	s_sub_i32 s6, 0, s3
	s_sub_i32 s5, s2, s1
	v_rcp_iflag_f32_e32 v0, v0
	s_mul_i32 s1, s5, s8
	s_sub_i32 s1, s0, s1
	s_abs_i32 s2, s1
	v_mul_f32_e32 v0, 0x4f7ffffe, v0
	v_cvt_u32_f32_e32 v0, v0
	s_xor_b32 s0, s1, s9
	s_ashr_i32 s0, s0, 31
	v_readfirstlane_b32 s7, v0
	s_mul_i32 s6, s6, s7
	s_mul_hi_u32 s6, s7, s6
	s_add_i32 s7, s7, s6
	s_mul_hi_u32 s6, s2, s7
	s_mul_i32 s7, s6, s3
	s_sub_i32 s2, s2, s7
	s_add_i32 s8, s6, 1
	s_sub_i32 s7, s2, s3
	s_cmp_ge_u32 s2, s3
	s_cselect_b32 s6, s8, s6
	s_cselect_b32 s2, s7, s2
	s_add_i32 s7, s6, 1
	s_cmp_ge_u32 s2, s3
	s_cselect_b32 s2, s7, s6
	s_xor_b32 s2, s2, s0
	s_sub_i32 s0, s2, s0
	s_mul_i32 s2, s0, s9
	s_sub_i32 s1, s1, s2
	s_ashr_i32 s2, s1, 31
	s_abs_i32 s1, s1
	s_mul_hi_u32 s3, s1, s50
	s_mul_i32 s6, s3, s59
	s_sub_i32 s1, s1, s6
	s_xor_b32 s2, s2, s38
	s_add_i32 s6, s3, 1
	s_sub_i32 s7, s1, s59
	s_cmp_ge_u32 s1, s59
	s_cselect_b32 s3, s6, s3
	s_cselect_b32 s1, s7, s1
	s_add_i32 s6, s3, 1
	s_cmp_ge_u32 s1, s59
	s_cselect_b32 s1, s6, s3
	s_abs_i32 s6, s10
	v_cvt_f32_u32_e32 v0, s6
	s_xor_b32 s1, s1, s2
	s_sub_i32 s1, s1, s2
	s_cmp_eq_u64 s[22:23], 0
	v_rcp_iflag_f32_e32 v0, v0
	v_mul_f32_e32 v0, 0x4f7ffffe, v0
	v_cvt_u32_f32_e32 v0, v0
	v_readfirstlane_b32 s9, v0
	s_cbranch_scc1 .LBB29_432
; %bb.431:
	v_readlane_b32 s2, v255, 0
	s_mul_i32 s2, s4, s2
	s_add_i32 s2, s1, s2
	s_ashr_i32 s3, s2, 31
	s_lshl_b64 s[2:3], s[2:3], 2
	s_add_u32 s2, s22, s2
	s_addc_u32 s3, s23, s3
	v_mov_b32_e32 v0, 0
	global_load_dword v0, v0, s[2:3]
	s_waitcnt vmcnt(0)
	v_ashrrev_i32_e32 v1, 31, v0
	v_lshrrev_b32_e32 v1, 26, v1
	v_add_u32_e32 v0, v0, v1
	v_ashrrev_i32_e32 v0, 6, v0
	v_min_i32_e32 v32, s83, v0
.LBB29_432:
	v_readlane_b32 s10, v255, 4
	v_readlane_b32 s11, v255, 5
	s_mul_i32 s2, s5, s80
	s_lshl_b32 s0, s0, 2
	s_mul_i32 s3, s4, s11
	s_add_i32 s2, s0, s2
	s_ashr_i32 s7, s3, 31
	s_add_u32 s3, s12, s3
	s_mul_i32 s2, s2, s10
	s_addc_u32 s8, s13, s7
	s_ashr_i32 s10, s2, 31
	s_add_u32 s7, s3, s2
	s_addc_u32 s8, s8, s10
	s_lshl_b32 s12, s1, 4
	v_or_b32_e32 v1, s0, v84
	v_add_u32_e32 v0, s12, v91
	v_cmp_gt_i32_e64 s[0:1], s80, v1
	v_cmp_le_i32_e32 vcc, s28, v0
	s_xor_b64 s[0:1], s[0:1], -1
	s_waitcnt vmcnt(0)
	v_and_b32_e32 v68, 0x3ff, v4
	s_or_b64 s[2:3], vcc, s[0:1]
	s_and_saveexec_b64 s[10:11], s[2:3]
	s_xor_b64 s[2:3], exec, s[10:11]
	s_cbranch_execz .LBB29_434
; %bb.433:
	s_movk_i32 s10, 0x84
	v_mad_u32_u24 v0, v75, s10, v68
	v_lshl_add_u32 v0, v0, 2, 0
	v_mov_b32_e32 v1, 0
	ds_write2st64_b32 v0, v1, v1 offset1:1
                                        ; implicit-def: $vgpr0
.LBB29_434:
	s_andn2_saveexec_b64 s[2:3], s[2:3]
	s_cbranch_execz .LBB29_436
; %bb.435:
	v_mul_lo_u32 v0, v0, s33
	v_mul_lo_u32 v1, v84, s51
	v_add3_u32 v0, v0, v1, v68
	v_ashrrev_i32_e32 v1, 31, v0
	v_lshlrev_b64 v[0:1], 3, v[0:1]
	v_mov_b32_e32 v2, s8
	v_add_co_u32_e32 v0, vcc, s7, v0
	v_addc_co_u32_e32 v1, vcc, v2, v1, vcc
	global_load_dwordx2 v[2:3], v[0:1], off
	global_load_dwordx2 v[4:5], v[0:1], off offset:512
	s_movk_i32 s10, 0x84
	s_waitcnt vmcnt(1)
	v_cvt_f16_f32_e32 v0, v2
	v_cvt_f16_f32_e32 v1, v3
	s_waitcnt vmcnt(0)
	v_cvt_f16_f32_e32 v2, v4
	v_cvt_f16_f32_e32 v3, v5
	v_mad_u32_u24 v4, v75, s10, v68
	v_pack_b32_f16 v0, v0, v1
	v_lshl_add_u32 v4, v4, 2, 0
	v_pack_b32_f16 v1, v2, v3
	v_pk_mul_f16 v0, v81, v0
	v_pk_mul_f16 v1, v81, v1
	ds_write2st64_b32 v4, v0, v1 offset1:1
.LBB29_436:
	s_or_b64 exec, exec, s[2:3]
	v_lshrrev_b32_e32 v0, 2, v64
	v_add_u32_e32 v0, s12, v0
	v_cmp_le_i32_e32 vcc, s28, v0
	s_or_b64 s[2:3], vcc, s[0:1]
	s_and_saveexec_b64 s[10:11], s[2:3]
	s_xor_b64 s[2:3], exec, s[10:11]
	s_cbranch_execz .LBB29_438
; %bb.437:
	s_movk_i32 s10, 0x84
	v_mad_u32_u24 v0, v64, s10, v68
	v_lshl_add_u32 v0, v0, 2, 0
	v_mov_b32_e32 v1, 0
	ds_write2st64_b32 v0, v1, v1 offset1:1
                                        ; implicit-def: $vgpr0
                                        ; implicit-def: $vgpr64
.LBB29_438:
	s_andn2_saveexec_b64 s[2:3], s[2:3]
	s_cbranch_execz .LBB29_440
; %bb.439:
	v_mul_lo_u32 v0, v0, s33
	v_mul_lo_u32 v1, v84, s51
	v_add3_u32 v0, v0, v1, v68
	v_ashrrev_i32_e32 v1, 31, v0
	v_lshlrev_b64 v[0:1], 3, v[0:1]
	v_mov_b32_e32 v2, s8
	v_add_co_u32_e32 v0, vcc, s7, v0
	v_addc_co_u32_e32 v1, vcc, v2, v1, vcc
	global_load_dwordx2 v[2:3], v[0:1], off
	global_load_dwordx2 v[4:5], v[0:1], off offset:512
	s_movk_i32 s10, 0x84
	s_waitcnt vmcnt(1)
	v_cvt_f16_f32_e32 v0, v2
	v_cvt_f16_f32_e32 v1, v3
	s_waitcnt vmcnt(0)
	v_cvt_f16_f32_e32 v2, v4
	v_cvt_f16_f32_e32 v3, v5
	v_mad_u32_u24 v4, v64, s10, v68
	v_pack_b32_f16 v0, v0, v1
	v_lshl_add_u32 v4, v4, 2, 0
	v_pack_b32_f16 v1, v2, v3
	v_pk_mul_f16 v0, v81, v0
	v_pk_mul_f16 v1, v81, v1
	ds_write2st64_b32 v4, v0, v1 offset1:1
.LBB29_440:
	s_or_b64 exec, exec, s[2:3]
	v_lshrrev_b32_e32 v0, 2, v63
	v_add_u32_e32 v0, s12, v0
	v_cmp_le_i32_e32 vcc, s28, v0
	s_or_b64 s[2:3], vcc, s[0:1]
	s_and_saveexec_b64 s[10:11], s[2:3]
	s_xor_b64 s[2:3], exec, s[10:11]
	s_cbranch_execz .LBB29_442
; %bb.441:
	s_movk_i32 s10, 0x84
	v_mad_u32_u24 v0, v63, s10, v68
	v_lshl_add_u32 v0, v0, 2, 0
	v_mov_b32_e32 v1, 0
	ds_write2st64_b32 v0, v1, v1 offset1:1
                                        ; implicit-def: $vgpr0
                                        ; implicit-def: $vgpr63
.LBB29_442:
	s_andn2_saveexec_b64 s[2:3], s[2:3]
	s_cbranch_execz .LBB29_444
; %bb.443:
	v_mul_lo_u32 v0, v0, s33
	v_mul_lo_u32 v1, v84, s51
	v_add3_u32 v0, v0, v1, v68
	v_ashrrev_i32_e32 v1, 31, v0
	v_lshlrev_b64 v[0:1], 3, v[0:1]
	v_mov_b32_e32 v2, s8
	v_add_co_u32_e32 v0, vcc, s7, v0
	v_addc_co_u32_e32 v1, vcc, v2, v1, vcc
	global_load_dwordx2 v[2:3], v[0:1], off
	global_load_dwordx2 v[4:5], v[0:1], off offset:512
	s_movk_i32 s10, 0x84
	s_waitcnt vmcnt(1)
	v_cvt_f16_f32_e32 v0, v2
	v_cvt_f16_f32_e32 v1, v3
	s_waitcnt vmcnt(0)
	v_cvt_f16_f32_e32 v2, v4
	v_cvt_f16_f32_e32 v3, v5
	v_mad_u32_u24 v4, v63, s10, v68
	v_pack_b32_f16 v0, v0, v1
	v_lshl_add_u32 v4, v4, 2, 0
	v_pack_b32_f16 v1, v2, v3
	v_pk_mul_f16 v0, v81, v0
	v_pk_mul_f16 v1, v81, v1
	ds_write2st64_b32 v4, v0, v1 offset1:1
.LBB29_444:
	s_or_b64 exec, exec, s[2:3]
	v_lshrrev_b32_e32 v0, 2, v62
	v_add_u32_e32 v0, s12, v0
	v_cmp_le_i32_e32 vcc, s28, v0
	s_or_b64 s[2:3], vcc, s[0:1]
	s_and_saveexec_b64 s[10:11], s[2:3]
	s_xor_b64 s[2:3], exec, s[10:11]
	s_cbranch_execz .LBB29_446
; %bb.445:
	s_movk_i32 s10, 0x84
	v_mad_u32_u24 v0, v62, s10, v68
	v_lshl_add_u32 v0, v0, 2, 0
	v_mov_b32_e32 v1, 0
	ds_write2st64_b32 v0, v1, v1 offset1:1
                                        ; implicit-def: $vgpr0
                                        ; implicit-def: $vgpr62
.LBB29_446:
	s_andn2_saveexec_b64 s[2:3], s[2:3]
	s_cbranch_execz .LBB29_448
; %bb.447:
	v_mul_lo_u32 v0, v0, s33
	v_mul_lo_u32 v1, v84, s51
	v_add3_u32 v0, v0, v1, v68
	v_ashrrev_i32_e32 v1, 31, v0
	v_lshlrev_b64 v[0:1], 3, v[0:1]
	v_mov_b32_e32 v2, s8
	v_add_co_u32_e32 v0, vcc, s7, v0
	v_addc_co_u32_e32 v1, vcc, v2, v1, vcc
	global_load_dwordx2 v[2:3], v[0:1], off
	global_load_dwordx2 v[4:5], v[0:1], off offset:512
	s_movk_i32 s10, 0x84
	s_waitcnt vmcnt(1)
	v_cvt_f16_f32_e32 v0, v2
	v_cvt_f16_f32_e32 v1, v3
	s_waitcnt vmcnt(0)
	v_cvt_f16_f32_e32 v2, v4
	v_cvt_f16_f32_e32 v3, v5
	v_mad_u32_u24 v4, v62, s10, v68
	v_pack_b32_f16 v0, v0, v1
	v_lshl_add_u32 v4, v4, 2, 0
	v_pack_b32_f16 v1, v2, v3
	v_pk_mul_f16 v0, v81, v0
	v_pk_mul_f16 v1, v81, v1
	ds_write2st64_b32 v4, v0, v1 offset1:1
.LBB29_448:
	s_or_b64 exec, exec, s[2:3]
	v_lshrrev_b32_e32 v0, 2, v61
	v_add_u32_e32 v0, s12, v0
	v_cmp_le_i32_e32 vcc, s28, v0
	s_or_b64 s[2:3], vcc, s[0:1]
	s_and_saveexec_b64 s[10:11], s[2:3]
	s_xor_b64 s[2:3], exec, s[10:11]
	s_cbranch_execz .LBB29_450
; %bb.449:
	s_movk_i32 s10, 0x84
	v_mad_u32_u24 v0, v61, s10, v68
	v_lshl_add_u32 v0, v0, 2, 0
	v_mov_b32_e32 v1, 0
	ds_write2st64_b32 v0, v1, v1 offset1:1
                                        ; implicit-def: $vgpr0
                                        ; implicit-def: $vgpr61
.LBB29_450:
	s_andn2_saveexec_b64 s[2:3], s[2:3]
	s_cbranch_execz .LBB29_452
; %bb.451:
	v_mul_lo_u32 v0, v0, s33
	v_mul_lo_u32 v1, v84, s51
	v_add3_u32 v0, v0, v1, v68
	v_ashrrev_i32_e32 v1, 31, v0
	v_lshlrev_b64 v[0:1], 3, v[0:1]
	v_mov_b32_e32 v2, s8
	v_add_co_u32_e32 v0, vcc, s7, v0
	v_addc_co_u32_e32 v1, vcc, v2, v1, vcc
	global_load_dwordx2 v[2:3], v[0:1], off
	global_load_dwordx2 v[4:5], v[0:1], off offset:512
	s_movk_i32 s10, 0x84
	s_waitcnt vmcnt(1)
	v_cvt_f16_f32_e32 v0, v2
	v_cvt_f16_f32_e32 v1, v3
	s_waitcnt vmcnt(0)
	v_cvt_f16_f32_e32 v2, v4
	v_cvt_f16_f32_e32 v3, v5
	v_mad_u32_u24 v4, v61, s10, v68
	v_pack_b32_f16 v0, v0, v1
	v_lshl_add_u32 v4, v4, 2, 0
	v_pack_b32_f16 v1, v2, v3
	v_pk_mul_f16 v0, v81, v0
	v_pk_mul_f16 v1, v81, v1
	ds_write2st64_b32 v4, v0, v1 offset1:1
.LBB29_452:
	s_or_b64 exec, exec, s[2:3]
	v_lshrrev_b32_e32 v0, 2, v60
	v_add_u32_e32 v0, s12, v0
	v_cmp_le_i32_e32 vcc, s28, v0
	s_sub_i32 s10, 0, s6
	s_or_b64 s[2:3], vcc, s[0:1]
	s_and_saveexec_b64 s[20:21], s[2:3]
	s_xor_b64 s[2:3], exec, s[20:21]
	s_cbranch_execz .LBB29_454
; %bb.453:
	s_movk_i32 s11, 0x84
	v_mad_u32_u24 v0, v60, s11, v68
	v_lshl_add_u32 v0, v0, 2, 0
	v_mov_b32_e32 v1, 0
	ds_write2st64_b32 v0, v1, v1 offset1:1
                                        ; implicit-def: $vgpr0
                                        ; implicit-def: $vgpr60
.LBB29_454:
	s_or_saveexec_b64 s[2:3], s[2:3]
	s_mul_i32 s10, s10, s9
	s_xor_b64 exec, exec, s[2:3]
	s_cbranch_execz .LBB29_456
; %bb.455:
	v_mul_lo_u32 v0, v0, s33
	v_mul_lo_u32 v1, v84, s51
	v_add3_u32 v0, v0, v1, v68
	v_ashrrev_i32_e32 v1, 31, v0
	v_lshlrev_b64 v[0:1], 3, v[0:1]
	v_mov_b32_e32 v2, s8
	v_add_co_u32_e32 v0, vcc, s7, v0
	v_addc_co_u32_e32 v1, vcc, v2, v1, vcc
	global_load_dwordx2 v[2:3], v[0:1], off
	global_load_dwordx2 v[4:5], v[0:1], off offset:512
	s_movk_i32 s11, 0x84
	s_waitcnt vmcnt(1)
	v_cvt_f16_f32_e32 v0, v2
	v_cvt_f16_f32_e32 v1, v3
	s_waitcnt vmcnt(0)
	v_cvt_f16_f32_e32 v2, v4
	v_cvt_f16_f32_e32 v3, v5
	v_mad_u32_u24 v4, v60, s11, v68
	v_pack_b32_f16 v0, v0, v1
	v_lshl_add_u32 v4, v4, 2, 0
	v_pack_b32_f16 v1, v2, v3
	v_pk_mul_f16 v0, v81, v0
	v_pk_mul_f16 v1, v81, v1
	ds_write2st64_b32 v4, v0, v1 offset1:1
.LBB29_456:
	s_or_b64 exec, exec, s[2:3]
	v_lshrrev_b32_e32 v0, 2, v59
	v_add_u32_e32 v0, s12, v0
	v_cmp_le_i32_e32 vcc, s28, v0
	s_mul_hi_u32 s11, s9, s10
	s_or_b64 s[2:3], vcc, s[0:1]
	s_and_saveexec_b64 s[20:21], s[2:3]
	s_xor_b64 s[2:3], exec, s[20:21]
	s_cbranch_execz .LBB29_458
; %bb.457:
	s_movk_i32 s10, 0x84
	v_mad_u32_u24 v0, v59, s10, v68
	v_lshl_add_u32 v0, v0, 2, 0
	v_mov_b32_e32 v1, 0
	ds_write2st64_b32 v0, v1, v1 offset1:1
                                        ; implicit-def: $vgpr0
                                        ; implicit-def: $vgpr59
.LBB29_458:
	s_or_saveexec_b64 s[2:3], s[2:3]
	s_abs_i32 s10, s4
	s_add_i32 s9, s9, s11
	s_xor_b64 exec, exec, s[2:3]
	s_cbranch_execz .LBB29_460
; %bb.459:
	v_mul_lo_u32 v0, v0, s33
	v_mul_lo_u32 v1, v84, s51
	v_add3_u32 v0, v0, v1, v68
	v_ashrrev_i32_e32 v1, 31, v0
	v_lshlrev_b64 v[0:1], 3, v[0:1]
	v_mov_b32_e32 v2, s8
	v_add_co_u32_e32 v0, vcc, s7, v0
	v_addc_co_u32_e32 v1, vcc, v2, v1, vcc
	global_load_dwordx2 v[2:3], v[0:1], off
	global_load_dwordx2 v[4:5], v[0:1], off offset:512
	s_movk_i32 s11, 0x84
	s_waitcnt vmcnt(1)
	v_cvt_f16_f32_e32 v0, v2
	v_cvt_f16_f32_e32 v1, v3
	s_waitcnt vmcnt(0)
	v_cvt_f16_f32_e32 v2, v4
	v_cvt_f16_f32_e32 v3, v5
	v_mad_u32_u24 v4, v59, s11, v68
	v_pack_b32_f16 v0, v0, v1
	v_lshl_add_u32 v4, v4, 2, 0
	v_pack_b32_f16 v1, v2, v3
	v_pk_mul_f16 v0, v81, v0
	v_pk_mul_f16 v1, v81, v1
	ds_write2st64_b32 v4, v0, v1 offset1:1
.LBB29_460:
	s_or_b64 exec, exec, s[2:3]
	v_lshrrev_b32_e32 v0, 2, v58
	v_add_u32_e32 v0, s12, v0
	v_cmp_le_i32_e32 vcc, s28, v0
	s_mul_hi_u32 s2, s10, s9
	s_or_b64 s[0:1], vcc, s[0:1]
	s_and_saveexec_b64 s[20:21], s[0:1]
	s_xor_b64 s[0:1], exec, s[20:21]
	s_cbranch_execz .LBB29_462
; %bb.461:
	s_movk_i32 s3, 0x84
	v_mad_u32_u24 v0, v58, s3, v68
	v_lshl_add_u32 v0, v0, 2, 0
	v_mov_b32_e32 v1, 0
	ds_write2st64_b32 v0, v1, v1 offset1:1
                                        ; implicit-def: $vgpr0
                                        ; implicit-def: $vgpr84
                                        ; implicit-def: $vgpr81
                                        ; implicit-def: $vgpr58
.LBB29_462:
	s_or_saveexec_b64 s[0:1], s[0:1]
	s_ashr_i32 s3, s4, 31
	s_xor_b64 exec, exec, s[0:1]
	s_cbranch_execz .LBB29_464
; %bb.463:
	v_mul_lo_u32 v0, v0, s33
	v_mul_lo_u32 v1, v84, s51
	v_add3_u32 v0, v0, v1, v68
	v_ashrrev_i32_e32 v1, 31, v0
	v_lshlrev_b64 v[0:1], 3, v[0:1]
	v_mov_b32_e32 v2, s8
	v_add_co_u32_e32 v0, vcc, s7, v0
	v_addc_co_u32_e32 v1, vcc, v2, v1, vcc
	global_load_dwordx2 v[2:3], v[0:1], off
	global_load_dwordx2 v[4:5], v[0:1], off offset:512
	s_movk_i32 s7, 0x84
	s_waitcnt vmcnt(1)
	v_cvt_f16_f32_e32 v0, v2
	v_cvt_f16_f32_e32 v1, v3
	s_waitcnt vmcnt(0)
	v_cvt_f16_f32_e32 v2, v4
	v_cvt_f16_f32_e32 v3, v5
	v_mad_u32_u24 v4, v58, s7, v68
	v_pack_b32_f16 v0, v0, v1
	v_lshl_add_u32 v4, v4, 2, 0
	v_pack_b32_f16 v1, v2, v3
	v_pk_mul_f16 v0, v81, v0
	v_pk_mul_f16 v1, v81, v1
	ds_write2st64_b32 v4, v0, v1 offset1:1
.LBB29_464:
	s_or_b64 exec, exec, s[0:1]
	s_mul_i32 s0, s4, s37
	s_mul_hi_u32 s1, s4, s36
	s_add_i32 s0, s1, s0
	s_mul_i32 s1, s3, s36
	s_add_i32 s0, s0, s1
	s_mul_i32 s1, s4, s36
	s_add_u32 s1, s14, s1
	s_mul_i32 s7, s5, s53
	s_addc_u32 s0, s15, s0
	s_ashr_i32 s9, s7, 31
	s_add_u32 s8, s1, s7
	s_mul_i32 s2, s2, s6
	s_addc_u32 s9, s0, s9
	s_sub_i32 s0, s10, s2
	s_sub_i32 s1, s0, s6
	s_cmp_ge_u32 s0, s6
	s_cselect_b32 s0, s1, s0
	s_sub_i32 s1, s0, s6
	s_cmp_ge_u32 s0, s6
	s_cselect_b32 s0, s1, s0
	s_xor_b32 s0, s0, s3
	s_sub_i32 s0, s0, s3
	s_ashr_i32 s1, s0, 31
	s_mul_i32 s2, s0, s49
	s_mul_hi_u32 s6, s0, s48
	s_add_i32 s2, s6, s2
	s_mul_i32 s1, s1, s48
	s_add_i32 s2, s2, s1
	s_mul_i32 s0, s0, s48
	s_add_u32 s10, s18, s0
	s_mul_i32 s0, s4, s47
	s_mul_hi_u32 s1, s4, s46
	s_addc_u32 s11, s19, s2
	s_add_i32 s0, s1, s0
	s_mul_i32 s3, s3, s46
	s_add_i32 s0, s0, s3
	s_mul_i32 s4, s4, s46
	s_add_u32 s1, s16, s4
	s_mul_i32 s5, s5, s39
	s_addc_u32 s0, s17, s0
	s_ashr_i32 s2, s5, 31
	s_add_u32 s6, s1, s5
	v_lshrrev_b32_e32 v1, 3, v68
	s_addc_u32 s7, s0, s2
	v_and_b32_e32 v57, 0x1ff0, v230
	s_movk_i32 s0, 0x210
	v_and_b32_e32 v69, 15, v68
	v_and_b32_e32 v70, 0x7e, v1
	v_mad_u32_u24 v0, v57, s0, 0
	v_mul_u32_u24_e32 v72, 0x210, v69
	v_lshlrev_b32_e32 v64, 2, v70
	v_add3_u32 v0, v0, v72, v64
	s_waitcnt lgkmcnt(0)
	s_barrier
	ds_read2_b64 v[28:31], v0 offset1:4
	ds_read2_b64 v[24:27], v0 offset0:8 offset1:12
	ds_read2_b64 v[20:23], v0 offset0:16 offset1:20
	;; [unrolled: 1-line block ×7, first 2 shown]
	v_add_u32_e32 v91, -1, v32
	v_lshrrev_b32_e32 v32, 5, v68
	v_lshl_add_u32 v56, v75, 1, v32
	v_add_u32_e32 v32, s12, v56
	v_mul_hi_u32 v33, s44, v32
	v_add_u32_e32 v33, v32, v33
	v_lshrrev_b32_e32 v33, s45, v33
	v_cmp_lt_i32_e32 vcc, s76, v91
	v_mul_lo_u32 v33, v33, s28
	v_sub_u32_e32 v58, v32, v33
	s_waitcnt lgkmcnt(0)
	s_barrier
	s_cbranch_vccnz .LBB29_467
; %bb.465:
	v_lshlrev_b32_e32 v32, 1, v68
	v_and_b32_e32 v40, 62, v32
	v_lshlrev_b32_e32 v32, 2, v68
	v_and_b32_e32 v42, 0x7c, v32
	v_mov_b32_e32 v32, 0x2100
	v_mad_u32_u24 v81, v56, s0, v32
	v_mov_b32_e32 v32, 0x6300
	v_lshlrev_b32_e32 v71, 4, v75
	v_lshrrev_b32_e32 v59, 2, v68
	v_mad_u32_u24 v89, v56, s0, v32
	v_and_b32_e32 v32, 16, v71
	v_and_b32_e32 v55, 0xfc, v59
	v_mul_u32_u24_e32 v90, 0x210, v32
	v_add_u32_e32 v33, v55, v32
	v_add_u16_e32 v32, v55, v32
	v_lshrrev_b16_e32 v84, 1, v32
	v_add_u32_e32 v32, 32, v33
	v_lshrrev_b32_e32 v85, 1, v32
	v_add_u32_e32 v32, 34, v33
	v_lshrrev_b32_e32 v88, 1, v32
	v_mbcnt_lo_u32_b32 v32, -1, 0
	v_mov_b32_e32 v54, 0x4200
	v_mbcnt_hi_u32_b32 v76, -1, v32
	v_mul_lo_u32 v46, s40, v56
	s_lshl_b32 s1, s40, 4
	v_mad_u32_u24 v83, v56, s0, v54
	v_and_or_b32 v34, v68, 12, v57
	v_and_b32_e32 v32, 64, v76
	v_mul_lo_u32 v38, s30, v56
	s_lshl_b32 s0, s30, 4
	v_add_u32_e32 v48, s1, v46
	v_lshrrev_b32_e32 v34, 2, v34
	v_add_u32_e32 v78, 64, v32
	v_add_u32_e32 v32, s0, v38
	;; [unrolled: 1-line block ×3, first 2 shown]
	v_mul_u32_u24_e32 v82, 0x90, v34
	v_add_u32_e32 v34, s0, v32
	v_mul_u32_u24_e32 v60, 0x108, v55
	v_mov_b32_e32 v41, 0
	v_mad_i64_i32 v[44:45], s[2:3], v58, s42, 0
	v_add_u32_e32 v52, s1, v50
	v_add_u32_e32 v36, s0, v34
	v_and_b32_e32 v61, 8, v230
	v_or_b32_e32 v63, v60, v69
	v_or_b32_e32 v59, 3, v59
	s_movk_i32 s0, 0x420
	s_mov_b32 s12, 0
	s_ashr_i32 s3, s40, 31
	v_mul_u32_u24_e32 v74, 0x210, v56
	v_mov_b32_e32 v43, v41
	v_ashrrev_i32_e32 v47, 31, v46
	v_ashrrev_i32_e32 v49, 31, v48
	;; [unrolled: 1-line block ×4, first 2 shown]
	v_or_b32_e32 v86, 1, v84
	v_xor_b32_e32 v87, 32, v76
	v_xor_b32_e32 v80, 16, v76
	s_ashr_i32 s1, s30, 31
	v_ashrrev_i32_e32 v39, 31, v38
	v_ashrrev_i32_e32 v33, 31, v32
	;; [unrolled: 1-line block ×4, first 2 shown]
	v_mul_u32_u24_e32 v55, 0x210, v55
	v_add_u32_e32 v66, 0x210, v63
	v_mul_u32_u24_e32 v60, 0x210, v59
	v_mul_u32_u24_e32 v67, 0x420, v61
	v_mad_u32_u24 v62, v61, s0, v54
	s_mov_b64 s[4:5], 0
	s_mov_b32 s13, 0xfeffffff
	s_branch .LBB29_468
.LBB29_466:
                                        ; implicit-def: $sgpr58_sgpr59
	s_load_dwordx2 s[44:45], s[4:5], 0x5c
	s_branch .LBB29_7
.LBB29_467:
	s_mov_b64 s[4:5], -1
                                        ; implicit-def: $sgpr12
                                        ; implicit-def: $sgpr13
                                        ; implicit-def: $vgpr40
                                        ; implicit-def: $vgpr44_vgpr45
                                        ; implicit-def: $vgpr74
                                        ; implicit-def: $vgpr42
                                        ; implicit-def: $vgpr46_vgpr47
                                        ; implicit-def: $vgpr81
                                        ; implicit-def: $vgpr48_vgpr49
                                        ; implicit-def: $vgpr83
                                        ; implicit-def: $vgpr50_vgpr51
                                        ; implicit-def: $vgpr89
                                        ; implicit-def: $vgpr52_vgpr53
                                        ; implicit-def: $vgpr71
                                        ; implicit-def: $vgpr90
                                        ; implicit-def: $vgpr82
                                        ; implicit-def: $vgpr84
                                        ; implicit-def: $vgpr86
                                        ; implicit-def: $vgpr85
                                        ; implicit-def: $vgpr88
                                        ; implicit-def: $vgpr76
                                        ; implicit-def: $vgpr78
                                        ; implicit-def: $vgpr87
                                        ; implicit-def: $vgpr80
                                        ; implicit-def: $vgpr38_vgpr39
                                        ; implicit-def: $vgpr32_vgpr33
                                        ; implicit-def: $vgpr34_vgpr35
                                        ; implicit-def: $vgpr36_vgpr37
                                        ; implicit-def: $vgpr63
                                        ; implicit-def: $vgpr55
                                        ; implicit-def: $vgpr66
                                        ; implicit-def: $vgpr60
                                        ; implicit-def: $vgpr67
                                        ; implicit-def: $vgpr62
                                        ; implicit-def: $sgpr2_sgpr3
                                        ; implicit-def: $sgpr0_sgpr1
.LBB29_468:
	v_mul_u32_u24_e32 v92, 0x90, v56
	s_andn2_b64 vcc, exec, s[4:5]
	v_mov_b32_e32 v216, s12
	v_mov_b32_e32 v65, s12
	;; [unrolled: 1-line block ×3, first 2 shown]
	v_lshlrev_b32_e32 v61, 1, v69
	v_mov_b32_e32 v217, s12
	v_mov_b32_e32 v128, s12
	;; [unrolled: 1-line block ×31, first 2 shown]
	s_cbranch_vccnz .LBB29_471
; %bb.469:
	v_lshlrev_b32_e32 v32, 1, v68
	v_mad_i64_i32 v[44:45], s[0:1], v58, s42, 0
	v_and_b32_e32 v40, 62, v32
	v_lshlrev_b64 v[32:33], 1, v[44:45]
	v_mov_b32_e32 v36, s11
	v_add_co_u32_e32 v32, vcc, s10, v32
	v_lshlrev_b32_e32 v35, 1, v40
	v_addc_co_u32_e32 v33, vcc, v36, v33, vcc
	v_add_co_u32_e32 v108, vcc, v32, v35
	v_addc_co_u32_e32 v109, vcc, 0, v33, vcc
	v_lshlrev_b32_e32 v33, 2, v68
	v_and_b32_e32 v42, 0x7c, v33
	v_add_u32_e32 v34, 0, v92
	v_mul_u32_u24_e32 v32, 0x180, v56
	v_lshlrev_b32_e32 v33, 2, v42
	s_movk_i32 s0, 0x210
	v_add3_u32 v110, v34, v32, v33
	v_mul_lo_u32 v46, s40, v56
	v_mov_b32_e32 v32, 0x2100
	s_lshl_b32 s1, s40, 4
	v_mad_u32_u24 v81, v56, s0, v32
	v_add_u32_e32 v48, s1, v46
	v_mov_b32_e32 v32, 0x6300
	v_lshlrev_b32_e32 v71, 4, v75
	v_lshrrev_b32_e32 v59, 2, v68
	v_add_u32_e32 v107, v34, v35
	v_add_u32_e32 v50, s1, v48
	v_mad_u32_u24 v89, v56, s0, v32
	v_and_b32_e32 v32, 16, v71
	v_and_b32_e32 v65, 0xfc, v59
	v_and_or_b32 v34, v68, 12, v57
	v_add_u32_e32 v52, s1, v50
	v_mul_u32_u24_e32 v90, 0x210, v32
	v_add_u32_e32 v33, v65, v32
	v_lshrrev_b32_e32 v34, 2, v34
	s_movk_i32 s1, 0x90
	v_add_u16_e32 v32, v65, v32
	v_mul_u32_u24_e32 v82, 0x90, v34
	v_mad_u32_u24 v34, v34, s1, 0
	v_lshrrev_b16_e32 v84, 1, v32
	v_add_u32_e32 v32, 32, v33
	v_lshrrev_b32_e32 v85, 1, v32
	v_lshl_add_u32 v114, v32, 1, v34
	v_add_u32_e32 v32, 34, v33
	v_lshrrev_b32_e32 v88, 1, v32
	v_lshl_add_u32 v115, v32, 1, v34
	v_mbcnt_lo_u32_b32 v32, -1, 0
	v_mbcnt_hi_u32_b32 v76, -1, v32
	v_and_b32_e32 v32, 64, v76
	v_add_u32_e32 v78, 64, v32
	v_xor_b32_e32 v87, 32, v76
	v_cmp_lt_i32_e32 vcc, v87, v78
	v_xor_b32_e32 v80, 16, v76
	v_cndmask_b32_e32 v32, v76, v87, vcc
	v_cmp_lt_i32_e32 vcc, v80, v78
	v_lshlrev_b32_e32 v116, 2, v32
	v_cndmask_b32_e32 v32, v76, v80, vcc
	v_mul_lo_u32 v38, s30, v56
	s_lshl_b32 s4, s30, 4
	v_mov_b32_e32 v54, 0x4200
	v_lshlrev_b32_e32 v117, 2, v32
	v_add_u32_e32 v32, s4, v38
	v_mul_u32_u24_e32 v74, 0x210, v56
	v_mad_u32_u24 v83, v56, s0, v54
	v_lshl_add_u32 v57, v84, 2, v34
	v_add_u32_e32 v34, s4, v32
	v_and_b32_e32 v56, 8, v230
	v_mul_u32_u24_e32 v55, 0x108, v65
	v_add_u32_e32 v36, s4, v34
	v_or_b32_e32 v63, v55, v69
	v_or_b32_e32 v59, 3, v59
	s_movk_i32 s4, 0x420
	v_mul_u32_u24_e32 v67, 0x420, v56
	v_mul_u32_u24_e32 v55, 0x210, v65
	;; [unrolled: 1-line block ×3, first 2 shown]
	v_mad_u32_u24 v59, v56, s4, 0
	v_lshlrev_b32_e32 v77, 1, v63
	v_mad_u32_u24 v62, v56, s4, v54
	v_add3_u32 v54, 0, 32, v67
	s_movk_i32 s2, 0x4200
	v_add_u32_e32 v118, v59, v77
	v_add3_u32 v119, v59, v55, v61
	v_add3_u32 v120, v59, v60, v61
	v_add_u32_e32 v123, v54, v77
	v_mad_u32_u24 v59, v65, s0, v54
	v_add3_u32 v126, v54, v60, v61
	v_add3_u32 v54, 0, 64, v67
	s_add_i32 s5, 0, 0x60
	v_add3_u32 v124, v59, v61, s2
	v_add_u32_e32 v129, v54, v77
	v_mad_u32_u24 v59, v65, s0, v54
	v_add3_u32 v132, v54, v60, v61
	v_mov_b32_e32 v54, s5
	v_mad_u32_u24 v54, v56, s4, v54
	s_add_i32 s5, 0, 0x80
	v_add3_u32 v130, v59, v61, s2
	v_add_u32_e32 v136, v54, v77
	v_mad_u32_u24 v59, v65, s0, v54
	v_add3_u32 v139, v54, v60, v61
	v_mov_b32_e32 v54, s5
	v_mad_u32_u24 v54, v56, s4, v54
	s_add_i32 s5, 0, 0xa0
	v_add3_u32 v137, v59, v61, s2
	v_add_u32_e32 v142, v54, v77
	v_mad_u32_u24 v59, v65, s0, v54
	v_add3_u32 v146, v54, v60, v61
	v_mov_b32_e32 v54, s5
	v_mad_u32_u24 v54, v56, s4, v54
	s_add_i32 s5, 0, 0xc0
	v_add3_u32 v144, v59, v61, s2
	v_add_u32_e32 v148, v54, v77
	v_mad_u32_u24 v59, v65, s0, v54
	v_add3_u32 v153, v54, v60, v61
	v_mov_b32_e32 v54, s5
	v_mad_u32_u24 v54, v56, s4, v54
	s_add_i32 s5, 0, 0xe0
	v_add3_u32 v151, v59, v61, s2
	v_add_u32_e32 v155, v54, v77
	v_mad_u32_u24 v59, v65, s0, v54
	v_add3_u32 v160, v54, v60, v61
	v_mov_b32_e32 v54, s5
	v_mad_u32_u24 v54, v56, s4, v54
	s_add_i32 s5, 0, 0x100
	v_add3_u32 v157, v59, v61, s2
	v_add_u32_e32 v162, v54, v77
	v_mad_u32_u24 v59, v65, s0, v54
	v_add3_u32 v167, v54, v60, v61
	v_mov_b32_e32 v54, s5
	v_mad_u32_u24 v54, v56, s4, v54
	s_add_i32 s5, 0, 0x120
	v_add3_u32 v163, v59, v61, s2
	v_add_u32_e32 v169, v54, v77
	v_mad_u32_u24 v59, v65, s0, v54
	v_add3_u32 v173, v54, v60, v61
	v_mov_b32_e32 v54, s5
	v_mad_u32_u24 v54, v56, s4, v54
	s_add_i32 s5, 0, 0x140
	v_add3_u32 v170, v59, v61, s2
	v_add_u32_e32 v177, v54, v77
	v_mad_u32_u24 v59, v65, s0, v54
	v_add3_u32 v181, v54, v60, v61
	v_mov_b32_e32 v54, s5
	v_mad_u32_u24 v54, v56, s4, v54
	s_add_i32 s5, 0, 0x160
	v_add3_u32 v179, v59, v61, s2
	v_add_u32_e32 v183, v54, v77
	v_mad_u32_u24 v59, v65, s0, v54
	v_add3_u32 v186, v54, v60, v61
	v_mov_b32_e32 v54, s5
	v_mad_u32_u24 v54, v56, s4, v54
	s_add_i32 s5, 0, 0x180
	v_add3_u32 v184, v59, v61, s2
	v_add_u32_e32 v188, v54, v77
	v_mad_u32_u24 v59, v65, s0, v54
	v_add3_u32 v191, v54, v60, v61
	v_mov_b32_e32 v54, s5
	v_mad_u32_u24 v54, v56, s4, v54
	s_add_i32 s5, 0, 0x1a0
	v_add3_u32 v189, v59, v61, s2
	v_add_u32_e32 v193, v54, v77
	v_mad_u32_u24 v59, v65, s0, v54
	v_add3_u32 v196, v54, v60, v61
	v_mov_b32_e32 v54, s5
	v_mad_u32_u24 v54, v56, s4, v54
	s_add_i32 s5, 0, 0x1c0
	v_add3_u32 v194, v59, v61, s2
	v_add_u32_e32 v198, v54, v77
	v_mad_u32_u24 v59, v65, s0, v54
	v_add3_u32 v201, v54, v60, v61
	v_mov_b32_e32 v54, s5
	v_mad_u32_u24 v54, v56, s4, v54
	s_add_i32 s5, 0, 0x1e0
	v_add3_u32 v199, v59, v61, s2
	v_add_u32_e32 v203, v54, v77
	v_mad_u32_u24 v59, v65, s0, v54
	v_add3_u32 v206, v54, v60, v61
	v_mov_b32_e32 v54, s5
	v_mad_u32_u24 v54, v56, s4, v54
	v_mov_b32_e32 v41, 0
	v_add3_u32 v58, 0, v72, v64
	v_add_u32_e32 v208, v54, v77
	v_mad_u32_u24 v56, v65, s0, v54
	s_ashr_i32 s3, s40, 31
	v_mov_b32_e32 v43, v41
	v_ashrrev_i32_e32 v47, 31, v46
	v_add_u32_e32 v111, 0x2100, v110
	v_ashrrev_i32_e32 v49, 31, v48
	v_add_u32_e32 v112, 0x4200, v110
	;; [unrolled: 2-line block ×3, first 2 shown]
	v_ashrrev_i32_e32 v53, 31, v52
	v_or_b32_e32 v86, 1, v84
	s_ashr_i32 s1, s30, 31
	v_ashrrev_i32_e32 v39, 31, v38
	v_ashrrev_i32_e32 v33, 31, v32
	;; [unrolled: 1-line block ×4, first 2 shown]
	v_add_u32_e32 v66, 0x210, v63
	v_add_u32_e32 v121, 0x4200, v119
	;; [unrolled: 1-line block ×29, first 2 shown]
	v_add3_u32 v204, v59, v61, s2
	v_add_u32_e32 v205, 0x4200, v203
	v_add_u32_e32 v207, 0x1e0, v119
	v_add3_u32 v209, v56, v61, s2
	v_add_u32_e32 v210, 0x4200, v208
	v_add3_u32 v211, v54, v60, v61
	s_lshl_b32 s4, s76, 6
	v_mov_b32_e32 v54, 0xfeffffff
	v_lshlrev_b32_e32 v212, 2, v42
	v_add_u32_e32 v213, v58, v90
	v_add_u32_e32 v214, 0x8400, v57
	s_mov_b32 s0, 0x3fb8aa3b
	s_mov_b32 s2, 0xc2ce8ed0
	;; [unrolled: 1-line block ×5, first 2 shown]
	v_mov_b32_e32 v215, 0x7f800000
	v_mov_b32_e32 v65, v41
	;; [unrolled: 1-line block ×34, first 2 shown]
.LBB29_470:                             ; =>This Inner Loop Header: Depth=1
	s_ashr_i32 s5, s4, 31
	s_lshl_b64 s[16:17], s[4:5], 1
	v_mov_b32_e32 v77, v54
	s_nop 0
	v_add_co_u32_e32 v56, vcc, s16, v108
	v_mov_b32_e32 v54, s17
	v_addc_co_u32_e32 v57, vcc, v109, v54, vcc
	global_load_dword v54, v[56:57], off
	s_mul_hi_i32 s17, s4, s40
	s_mul_i32 s16, s4, s40
	s_lshl_b64 s[16:17], s[16:17], 2
	s_add_u32 s5, s8, s16
	s_addc_u32 s15, s9, s17
	v_lshlrev_b64 v[56:57], 2, v[46:47]
	v_mov_b32_e32 v79, v65
	s_mul_hi_i32 s17, s4, s30
	s_mul_i32 s16, s4, s30
	s_lshl_b64 s[16:17], s[16:17], 2
	s_waitcnt vmcnt(0)
	ds_write_b32 v107, v54 offset:33792
	v_add_co_u32_e32 v54, vcc, s5, v56
	v_mov_b32_e32 v56, s15
	v_addc_co_u32_e32 v57, vcc, v56, v57, vcc
	v_add_co_u32_e32 v56, vcc, v54, v212
	v_addc_co_u32_e32 v57, vcc, 0, v57, vcc
	global_load_dwordx4 v[56:59], v[56:57], off
	s_waitcnt vmcnt(0)
	ds_write_b128 v110, v[56:59]
	v_lshlrev_b64 v[56:57], 2, v[48:49]
	v_add_co_u32_e32 v54, vcc, s5, v56
	v_mov_b32_e32 v56, s15
	v_addc_co_u32_e32 v57, vcc, v56, v57, vcc
	v_add_co_u32_e32 v56, vcc, v54, v212
	v_addc_co_u32_e32 v57, vcc, 0, v57, vcc
	global_load_dwordx4 v[56:59], v[56:57], off
	s_waitcnt vmcnt(0)
	ds_write_b128 v111, v[56:59]
	v_lshlrev_b64 v[56:57], 2, v[50:51]
	v_add_co_u32_e32 v54, vcc, s5, v56
	v_mov_b32_e32 v56, s15
	v_addc_co_u32_e32 v57, vcc, v56, v57, vcc
	v_add_co_u32_e32 v56, vcc, v54, v212
	v_addc_co_u32_e32 v57, vcc, 0, v57, vcc
	global_load_dwordx4 v[56:59], v[56:57], off
	s_waitcnt vmcnt(0)
	ds_write_b128 v112, v[56:59]
	v_lshlrev_b64 v[56:57], 2, v[52:53]
	v_add_co_u32_e32 v54, vcc, s5, v56
	v_mov_b32_e32 v56, s15
	v_addc_co_u32_e32 v57, vcc, v56, v57, vcc
	v_add_co_u32_e32 v56, vcc, v54, v212
	v_addc_co_u32_e32 v57, vcc, 0, v57, vcc
	global_load_dwordx4 v[56:59], v[56:57], off
	v_add_u32_e32 v54, 0x4000, v213
	s_add_u32 s5, s6, s16
	s_addc_u32 s15, s7, s17
	s_add_i32 s76, s76, 1
	s_add_i32 s4, s4, 64
	s_waitcnt vmcnt(0)
	ds_write_b128 v113, v[56:59]
	s_waitcnt lgkmcnt(0)
	s_barrier
	ds_read2_b64 v[56:59], v213 offset1:4
	s_waitcnt lgkmcnt(0)
	v_mfma_f32_16x16x16f16 v[220:223], v[56:57], v[28:29], 0
	v_mfma_f32_16x16x16f16 v[56:59], v[58:59], v[30:31], v[220:223]
	s_nop 7
	s_nop 1
	ds_read2_b64 v[220:223], v213 offset0:8 offset1:12
	s_waitcnt lgkmcnt(0)
	v_mfma_f32_16x16x16f16 v[56:59], v[220:221], v[24:25], v[56:59]
	v_mfma_f32_16x16x16f16 v[56:59], v[222:223], v[26:27], v[56:59]
	ds_read2_b64 v[220:223], v213 offset0:16 offset1:20
	s_waitcnt lgkmcnt(0)
	v_mfma_f32_16x16x16f16 v[56:59], v[220:221], v[20:21], v[56:59]
	v_mfma_f32_16x16x16f16 v[56:59], v[222:223], v[22:23], v[56:59]
	;; [unrolled: 4-line block ×8, first 2 shown]
	s_nop 7
	s_nop 1
	ds_read2_b64 v[224:227], v54 offset0:72 offset1:76
	s_waitcnt lgkmcnt(0)
	v_mfma_f32_16x16x16f16 v[220:223], v[224:225], v[24:25], v[220:223]
	v_mfma_f32_16x16x16f16 v[220:223], v[226:227], v[26:27], v[220:223]
	ds_read2_b64 v[224:227], v54 offset0:80 offset1:84
	s_waitcnt lgkmcnt(0)
	v_mfma_f32_16x16x16f16 v[220:223], v[224:225], v[20:21], v[220:223]
	v_mfma_f32_16x16x16f16 v[220:223], v[226:227], v[22:23], v[220:223]
	ds_read2_b64 v[224:227], v54 offset0:88 offset1:92
	s_waitcnt lgkmcnt(0)
	v_mfma_f32_16x16x16f16 v[220:223], v[224:225], v[16:17], v[220:223]
	v_mfma_f32_16x16x16f16 v[220:223], v[226:227], v[18:19], v[220:223]
	ds_read2_b64 v[224:227], v54 offset0:96 offset1:100
	s_waitcnt lgkmcnt(0)
	v_mfma_f32_16x16x16f16 v[220:223], v[224:225], v[12:13], v[220:223]
	v_mfma_f32_16x16x16f16 v[220:223], v[226:227], v[14:15], v[220:223]
	ds_read2_b64 v[224:227], v54 offset0:104 offset1:108
	s_waitcnt lgkmcnt(0)
	v_mfma_f32_16x16x16f16 v[220:223], v[224:225], v[8:9], v[220:223]
	v_mfma_f32_16x16x16f16 v[220:223], v[226:227], v[10:11], v[220:223]
	ds_read2_b64 v[224:227], v54 offset0:112 offset1:116
	s_waitcnt lgkmcnt(0)
	v_mfma_f32_16x16x16f16 v[220:223], v[224:225], v[4:5], v[220:223]
	v_mfma_f32_16x16x16f16 v[220:223], v[226:227], v[6:7], v[220:223]
	ds_read2_b64 v[224:227], v54 offset0:120 offset1:124
	s_waitcnt lgkmcnt(0)
	s_barrier
	v_mfma_f32_16x16x16f16 v[220:223], v[224:225], v[0:1], v[220:223]
	ds_read2_b32 v[224:225], v214 offset1:1
	ds_read_b32 v54, v114 offset:33792
	ds_read_b32 v65, v115 offset:33792
	v_mfma_f32_16x16x16f16 v[220:223], v[226:227], v[2:3], v[220:223]
	s_waitcnt lgkmcnt(2)
	v_cvt_f32_f16_e32 v226, v224
	v_cvt_f32_f16_sdwa v227, v224 dst_sel:DWORD dst_unused:UNUSED_PAD src0_sel:WORD_1
	v_pk_add_f32 v[56:57], v[56:57], v[226:227]
	s_waitcnt lgkmcnt(0)
	v_cvt_f32_f16_sdwa v227, v65 dst_sel:DWORD dst_unused:UNUSED_PAD src0_sel:WORD_1
	v_cvt_f32_f16_e32 v226, v65
	v_add_f32_e32 v219, 0x40051340, v56
	v_add_f32_e32 v224, 0x40051340, v57
	v_max3_f32 v219, v77, v219, v224
	v_cvt_f32_f16_e32 v224, v225
	v_cvt_f32_f16_sdwa v225, v225 dst_sel:DWORD dst_unused:UNUSED_PAD src0_sel:WORD_1
	v_pk_add_f32 v[222:223], v[222:223], v[226:227]
	v_cvt_f32_f16_sdwa v227, v54 dst_sel:DWORD dst_unused:UNUSED_PAD src0_sel:WORD_1
	v_cvt_f32_f16_e32 v226, v54
	v_pk_add_f32 v[58:59], v[58:59], v[224:225]
	v_add_f32_e32 v224, 0x40051340, v58
	v_add_f32_e32 v225, 0x40051340, v59
	v_pk_add_f32 v[220:221], v[220:221], v[226:227]
	v_add_f32_e32 v54, 0x40051340, v220
	v_add_f32_e32 v226, 0x40051340, v221
	v_max3_f32 v219, v219, v224, v225
	v_add_f32_e32 v65, 0x40051340, v222
	v_add_f32_e32 v228, 0x40051340, v223
	v_max3_f32 v54, v219, v54, v226
	v_max3_f32 v54, v54, v65, v228
	ds_bpermute_b32 v65, v116, v54
	s_waitcnt lgkmcnt(0)
	v_max_f32_e32 v65, v65, v65
	v_max_f32_e32 v54, v54, v65
	ds_bpermute_b32 v65, v117, v54
	s_waitcnt lgkmcnt(0)
	v_max_f32_e32 v65, v65, v65
	v_max_f32_e32 v54, v54, v65
	v_pk_add_f32 v[56:57], v[56:57], v[54:55] op_sel_hi:[1,0] neg_lo:[0,1] neg_hi:[0,1]
	v_mul_f32_e32 v65, 0x3fb8aa3b, v57
	v_fma_f32 v219, v57, s0, -v65
	v_rndne_f32_e32 v224, v65
	v_fmac_f32_e32 v219, 0x32a5705f, v57
	v_sub_f32_e32 v65, v65, v224
	v_add_f32_e32 v65, v65, v219
	v_exp_f32_e32 v65, v65
	v_cvt_i32_f32_e32 v219, v224
	v_cmp_ngt_f32_e32 vcc, s2, v57
	v_ldexp_f32 v65, v65, v219
	v_cndmask_b32_e32 v65, 0, v65, vcc
	v_cmp_nlt_f32_e32 vcc, s12, v57
	v_mul_f32_e32 v57, 0x3fb8aa3b, v56
	v_cndmask_b32_e32 v219, v215, v65, vcc
	v_fma_f32 v65, v56, s0, -v57
	v_rndne_f32_e32 v224, v57
	v_fmac_f32_e32 v65, 0x32a5705f, v56
	v_sub_f32_e32 v57, v57, v224
	v_add_f32_e32 v57, v57, v65
	v_exp_f32_e32 v57, v57
	v_cvt_i32_f32_e32 v65, v224
	v_cmp_ngt_f32_e32 vcc, s2, v56
	v_ldexp_f32 v57, v57, v65
	v_cndmask_b32_e32 v57, 0, v57, vcc
	v_cmp_nlt_f32_e32 vcc, s12, v56
	v_cndmask_b32_e32 v224, v215, v57, vcc
	v_pk_add_f32 v[56:57], v[58:59], v[54:55] op_sel_hi:[1,0] neg_lo:[0,1] neg_hi:[0,1]
	v_mul_f32_e32 v58, 0x3fb8aa3b, v57
	v_fma_f32 v59, v57, s0, -v58
	v_rndne_f32_e32 v65, v58
	v_fmac_f32_e32 v59, 0x32a5705f, v57
	v_sub_f32_e32 v58, v58, v65
	v_add_f32_e32 v58, v58, v59
	v_exp_f32_e32 v58, v58
	v_cvt_i32_f32_e32 v59, v65
	v_cmp_ngt_f32_e32 vcc, s2, v57
	v_ldexp_f32 v58, v58, v59
	v_cndmask_b32_e32 v58, 0, v58, vcc
	v_cmp_nlt_f32_e32 vcc, s12, v57
	v_mul_f32_e32 v57, 0x3fb8aa3b, v56
	v_cndmask_b32_e32 v59, v215, v58, vcc
	v_fma_f32 v58, v56, s0, -v57
	v_rndne_f32_e32 v65, v57
	v_fmac_f32_e32 v58, 0x32a5705f, v56
	v_sub_f32_e32 v57, v57, v65
	v_add_f32_e32 v57, v57, v58
	v_exp_f32_e32 v57, v57
	v_cvt_i32_f32_e32 v58, v65
	v_cmp_ngt_f32_e32 vcc, s2, v56
	v_ldexp_f32 v57, v57, v58
	v_cndmask_b32_e32 v57, 0, v57, vcc
	v_cmp_nlt_f32_e32 vcc, s12, v56
	v_cndmask_b32_e32 v225, v215, v57, vcc
	;; [unrolled: 27-line block ×3, first 2 shown]
	v_pk_add_f32 v[56:57], v[222:223], v[54:55] op_sel_hi:[1,0] neg_lo:[0,1] neg_hi:[0,1]
	v_mul_f32_e32 v58, 0x3fb8aa3b, v57
	v_fma_f32 v65, v57, s0, -v58
	v_rndne_f32_e32 v222, v58
	v_fmac_f32_e32 v65, 0x32a5705f, v57
	v_sub_f32_e32 v58, v58, v222
	v_add_f32_e32 v58, v58, v65
	v_exp_f32_e32 v58, v58
	v_cvt_i32_f32_e32 v65, v222
	v_cmp_ngt_f32_e32 vcc, s2, v57
	v_ldexp_f32 v58, v58, v65
	v_cndmask_b32_e32 v58, 0, v58, vcc
	v_cmp_nlt_f32_e32 vcc, s12, v57
	v_cndmask_b32_e32 v57, v215, v58, vcc
	v_mul_f32_e32 v58, 0x3fb8aa3b, v56
	v_fma_f32 v65, v56, s0, -v58
	v_rndne_f32_e32 v222, v58
	v_fmac_f32_e32 v65, 0x32a5705f, v56
	v_sub_f32_e32 v58, v58, v222
	v_add_f32_e32 v58, v58, v65
	v_exp_f32_e32 v58, v58
	v_cvt_i32_f32_e32 v65, v222
	v_cmp_ngt_f32_e32 vcc, s2, v56
	v_ldexp_f32 v58, v58, v65
	v_cndmask_b32_e32 v58, 0, v58, vcc
	v_cmp_nlt_f32_e32 vcc, s12, v56
	v_add_f32_e32 v56, v224, v219
	v_add_f32_e32 v56, v225, v56
	;; [unrolled: 1-line block ×4, first 2 shown]
	v_cndmask_b32_e32 v222, v215, v58, vcc
	v_add_f32_e32 v56, v220, v56
	v_add_f32_e32 v56, v222, v56
	v_add_f32_e32 v65, v57, v56
	v_sub_f32_e32 v56, v77, v54
	v_mul_f32_e32 v58, 0x3fb8aa3b, v56
	v_fma_f32 v77, v56, s0, -v58
	v_rndne_f32_e32 v223, v58
	v_fmac_f32_e32 v77, 0x32a5705f, v56
	v_sub_f32_e32 v58, v58, v223
	v_add_f32_e32 v58, v58, v77
	v_exp_f32_e32 v58, v58
	v_cvt_i32_f32_e32 v77, v223
	v_cmp_ngt_f32_e32 vcc, s2, v56
	v_cvt_f16_f32_e32 v57, v57
	v_ldexp_f32 v58, v58, v77
	v_cndmask_b32_e32 v58, 0, v58, vcc
	v_cmp_nlt_f32_e32 vcc, s12, v56
	v_cndmask_b32_e32 v58, v215, v58, vcc
	v_cmp_le_f32_e32 vcc, s13, v56
	v_cndmask_b32_e32 v56, 0, v58, vcc
	v_fmac_f32_e32 v65, v79, v56
	v_cvt_f16_f32_e32 v56, v56
	v_cvt_f16_f32_e32 v58, v219
	v_pk_mul_f16 v217, v56, v217 op_sel_hi:[0,1]
	v_pk_mul_f16 v216, v56, v216 op_sel_hi:[0,1]
	v_pk_mul_f16 v218, v56, v218 op_sel_hi:[0,1]
	v_pk_mul_f16 v128, v56, v128 op_sel_hi:[0,1]
	v_pk_mul_f16 v135, v56, v135 op_sel_hi:[0,1]
	v_pk_mul_f16 v134, v56, v134 op_sel_hi:[0,1]
	v_pk_mul_f16 v143, v56, v143 op_sel_hi:[0,1]
	v_pk_mul_f16 v141, v56, v141 op_sel_hi:[0,1]
	v_pk_mul_f16 v150, v56, v150 op_sel_hi:[0,1]
	v_pk_mul_f16 v149, v56, v149 op_sel_hi:[0,1]
	v_pk_mul_f16 v158, v56, v158 op_sel_hi:[0,1]
	v_pk_mul_f16 v156, v56, v156 op_sel_hi:[0,1]
	v_pk_mul_f16 v166, v56, v166 op_sel_hi:[0,1]
	v_pk_mul_f16 v164, v56, v164 op_sel_hi:[0,1]
	v_pk_mul_f16 v174, v56, v174 op_sel_hi:[0,1]
	v_pk_mul_f16 v172, v56, v172 op_sel_hi:[0,1]
	v_pk_mul_f16 v178, v56, v178 op_sel_hi:[0,1]
	v_pk_mul_f16 v176, v56, v176 op_sel_hi:[0,1]
	v_pk_mul_f16 v94, v56, v94 op_sel_hi:[0,1]
	v_pk_mul_f16 v93, v56, v93 op_sel_hi:[0,1]
	v_pk_mul_f16 v96, v56, v96 op_sel_hi:[0,1]
	v_pk_mul_f16 v95, v56, v95 op_sel_hi:[0,1]
	v_pk_mul_f16 v98, v56, v98 op_sel_hi:[0,1]
	v_pk_mul_f16 v97, v56, v97 op_sel_hi:[0,1]
	v_pk_mul_f16 v100, v56, v100 op_sel_hi:[0,1]
	v_pk_mul_f16 v99, v56, v99 op_sel_hi:[0,1]
	v_pk_mul_f16 v102, v56, v102 op_sel_hi:[0,1]
	v_pk_mul_f16 v101, v56, v101 op_sel_hi:[0,1]
	v_pk_mul_f16 v104, v56, v104 op_sel_hi:[0,1]
	v_pk_mul_f16 v103, v56, v103 op_sel_hi:[0,1]
	v_pk_mul_f16 v79, v56, v106 op_sel_hi:[0,1]
	v_pk_mul_f16 v77, v56, v105 op_sel_hi:[0,1]
	v_cvt_f16_f32_e32 v56, v224
	v_cvt_f16_f32_e32 v105, v221
	v_mov_b32_e32 v106, s15
	v_pack_b32_f16 v58, v56, v58
	v_cvt_f16_f32_e32 v56, v59
	v_cvt_f16_f32_e32 v59, v225
	v_pack_b32_f16 v59, v59, v56
	v_cvt_f16_f32_e32 v56, v220
	v_lshlrev_b64 v[220:221], 2, v[38:39]
	v_pack_b32_f16 v56, v105, v56
	v_cvt_f16_f32_e32 v105, v222
	v_lshlrev_b64 v[222:223], 2, v[32:33]
	v_pack_b32_f16 v57, v105, v57
	v_add_co_u32_e32 v105, vcc, s5, v220
	v_addc_co_u32_e32 v106, vcc, v106, v221, vcc
	v_add_co_u32_e32 v220, vcc, v105, v212
	v_addc_co_u32_e32 v221, vcc, 0, v106, vcc
	v_add_co_u32_e32 v105, vcc, s5, v222
	v_mov_b32_e32 v106, s15
	v_addc_co_u32_e32 v106, vcc, v106, v223, vcc
	v_add_co_u32_e32 v224, vcc, v105, v212
	v_addc_co_u32_e32 v225, vcc, 0, v106, vcc
	v_lshlrev_b64 v[222:223], 2, v[34:35]
	v_add_co_u32_e32 v105, vcc, s5, v222
	v_mov_b32_e32 v106, s15
	v_addc_co_u32_e32 v106, vcc, v106, v223, vcc
	v_add_co_u32_e32 v226, vcc, v105, v212
	v_addc_co_u32_e32 v227, vcc, 0, v106, vcc
	v_lshlrev_b64 v[222:223], 2, v[36:37]
	v_add_co_u32_e32 v105, vcc, s5, v222
	v_mov_b32_e32 v106, s15
	v_addc_co_u32_e32 v106, vcc, v106, v223, vcc
	global_load_dwordx4 v[220:223], v[220:221], off
	v_add_co_u32_e32 v228, vcc, v105, v212
	v_addc_co_u32_e32 v229, vcc, 0, v106, vcc
	v_cmp_lt_i32_e32 vcc, s76, v91
	s_and_b64 vcc, exec, vcc
	s_waitcnt vmcnt(0)
	ds_write_b128 v110, v[220:223]
	global_load_dwordx4 v[220:223], v[224:225], off
	s_waitcnt vmcnt(0)
	ds_write_b128 v111, v[220:223]
	global_load_dwordx4 v[220:223], v[226:227], off
	;; [unrolled: 3-line block ×3, first 2 shown]
	s_waitcnt vmcnt(0)
	ds_write_b128 v113, v[220:223]
	s_waitcnt lgkmcnt(0)
	s_barrier
	ds_read_u16 v105, v119 offset:528
	ds_read_u16 v106, v119 offset:1056
	v_cvt_f32_f16_e32 v222, v216
	v_cvt_f32_f16_sdwa v223, v216 dst_sel:DWORD dst_unused:UNUSED_PAD src0_sel:WORD_1
	ds_read_u16 v216, v120
	ds_read_u16 v219, v120 offset:32
	v_cvt_f32_f16_e32 v220, v217
	v_cvt_f32_f16_sdwa v221, v217 dst_sel:DWORD dst_unused:UNUSED_PAD src0_sel:WORD_1
	s_waitcnt lgkmcnt(1)
	v_perm_b32 v217, v216, v106, s14
	ds_read_u16 v106, v118
	ds_read_u16 v224, v118 offset:32
	ds_read_u16 v225, v118 offset:16896
	;; [unrolled: 1-line block ×5, first 2 shown]
	s_waitcnt lgkmcnt(5)
	v_perm_b32 v216, v105, v106, s14
	s_nop 1
	v_mfma_f32_16x16x16f16 v[220:223], v[216:217], v[58:59], v[220:223]
	s_nop 7
	s_nop 2
	v_cvt_f16_f32_e32 v216, v222
	v_cvt_f16_f32_e32 v217, v223
	;; [unrolled: 1-line block ×4, first 2 shown]
	v_cvt_f32_f16_e32 v222, v216
	v_cvt_f32_f16_e32 v223, v217
	s_waitcnt lgkmcnt(0)
	v_perm_b32 v217, v228, v227, s14
	v_perm_b32 v216, v226, v225, s14
	v_cvt_f32_f16_e32 v220, v105
	v_cvt_f32_f16_e32 v221, v106
	s_nop 1
	v_mfma_f32_16x16x16f16 v[220:223], v[216:217], v[56:57], v[220:223]
	s_nop 7
	s_nop 2
	v_cvt_f16_f32_e32 v105, v220
	v_cvt_f16_f32_e32 v106, v221
	;; [unrolled: 1-line block ×4, first 2 shown]
	v_cvt_f32_f16_sdwa v221, v218 dst_sel:DWORD dst_unused:UNUSED_PAD src0_sel:WORD_1
	v_pack_b32_f16 v217, v105, v106
	ds_read_u16 v105, v122 offset:528
	ds_read_u16 v106, v122 offset:1056
	v_pack_b32_f16 v216, v216, v220
	v_cvt_f32_f16_e32 v220, v218
	v_cvt_f32_f16_e32 v222, v128
	s_waitcnt lgkmcnt(1)
	v_perm_b32 v218, v105, v224, s14
	s_waitcnt lgkmcnt(0)
	v_perm_b32 v219, v219, v106, s14
	v_cvt_f32_f16_sdwa v223, v128 dst_sel:DWORD dst_unused:UNUSED_PAD src0_sel:WORD_1
	s_nop 1
	v_mfma_f32_16x16x16f16 v[218:221], v[218:219], v[58:59], v[220:223]
	s_nop 6
	ds_read_u16 v222, v123 offset:16896
	ds_read_u16 v224, v124 offset:528
	;; [unrolled: 1-line block ×4, first 2 shown]
	s_waitcnt lgkmcnt(2)
	v_perm_b32 v222, v224, v222, s14
	s_waitcnt lgkmcnt(0)
	v_perm_b32 v223, v225, v223, s14
	v_cvt_f16_f32_e32 v105, v218
	v_cvt_f16_f32_e32 v106, v219
	;; [unrolled: 1-line block ×4, first 2 shown]
	v_cvt_f32_f16_e32 v218, v105
	v_cvt_f32_f16_e32 v219, v106
	;; [unrolled: 1-line block ×4, first 2 shown]
	s_nop 1
	v_mfma_f32_16x16x16f16 v[218:221], v[222:223], v[56:57], v[218:221]
	v_cvt_f32_f16_e32 v222, v134
	v_cvt_f32_f16_sdwa v223, v134 dst_sel:DWORD dst_unused:UNUSED_PAD src0_sel:WORD_1
	s_nop 7
	s_nop 0
	v_cvt_f16_f32_e32 v105, v218
	v_cvt_f16_f32_e32 v106, v219
	;; [unrolled: 1-line block ×4, first 2 shown]
	v_cvt_f32_f16_e32 v220, v135
	v_pack_b32_f16 v218, v105, v106
	v_cvt_f32_f16_sdwa v221, v135 dst_sel:DWORD dst_unused:UNUSED_PAD src0_sel:WORD_1
	v_pack_b32_f16 v128, v128, v219
	ds_read_u16 v105, v118 offset:64
	ds_read_u16 v106, v127 offset:528
	;; [unrolled: 1-line block ×4, first 2 shown]
	s_waitcnt lgkmcnt(2)
	v_perm_b32 v134, v106, v105, s14
	s_waitcnt lgkmcnt(0)
	v_perm_b32 v135, v224, v219, s14
	ds_read_u16 v219, v129 offset:16896
	ds_read_u16 v224, v130 offset:528
	ds_read_u16 v225, v131 offset:1056
	ds_read_u16 v226, v132 offset:16896
	v_mfma_f32_16x16x16f16 v[220:223], v[134:135], v[58:59], v[220:223]
	s_nop 7
	s_nop 2
	v_cvt_f16_f32_e32 v134, v222
	v_cvt_f16_f32_e32 v135, v223
	v_cvt_f16_f32_e32 v105, v220
	v_cvt_f16_f32_e32 v106, v221
	v_cvt_f32_f16_e32 v222, v134
	v_cvt_f32_f16_e32 v223, v135
	s_waitcnt lgkmcnt(0)
	v_perm_b32 v135, v226, v225, s14
	v_perm_b32 v134, v224, v219, s14
	v_cvt_f32_f16_e32 v220, v105
	v_cvt_f32_f16_e32 v221, v106
	s_nop 1
	v_mfma_f32_16x16x16f16 v[220:223], v[134:135], v[56:57], v[220:223]
	s_nop 7
	s_nop 2
	v_cvt_f16_f32_e32 v105, v220
	v_cvt_f16_f32_e32 v106, v221
	v_cvt_f16_f32_e32 v134, v222
	v_cvt_f16_f32_e32 v219, v223
	v_cvt_f32_f16_e32 v220, v143
	v_pack_b32_f16 v135, v105, v106
	v_cvt_f32_f16_sdwa v221, v143 dst_sel:DWORD dst_unused:UNUSED_PAD src0_sel:WORD_1
	v_pack_b32_f16 v134, v134, v219
	ds_read_u16 v105, v118 offset:96
	ds_read_u16 v106, v133 offset:528
	ds_read_u16 v219, v133 offset:1056
	ds_read_u16 v224, v120 offset:96
	v_cvt_f32_f16_e32 v222, v141
	v_cvt_f32_f16_sdwa v223, v141 dst_sel:DWORD dst_unused:UNUSED_PAD src0_sel:WORD_1
	s_waitcnt lgkmcnt(0)
	v_perm_b32 v225, v224, v219, s14
	v_perm_b32 v224, v106, v105, s14
	s_nop 1
	v_mfma_f32_16x16x16f16 v[220:223], v[224:225], v[58:59], v[220:223]
	ds_read_u16 v219, v136 offset:16896
	ds_read_u16 v224, v137 offset:528
	ds_read_u16 v225, v138 offset:1056
	ds_read_u16 v226, v139 offset:16896
	s_waitcnt lgkmcnt(2)
	v_perm_b32 v224, v224, v219, s14
	s_waitcnt lgkmcnt(0)
	v_perm_b32 v225, v226, v225, s14
	s_nop 2
	v_cvt_f16_f32_e32 v105, v220
	v_cvt_f16_f32_e32 v106, v221
	v_cvt_f16_f32_e32 v141, v222
	v_cvt_f16_f32_e32 v143, v223
	v_cvt_f32_f16_e32 v220, v105
	v_cvt_f32_f16_e32 v221, v106
	v_cvt_f32_f16_e32 v222, v141
	v_cvt_f32_f16_e32 v223, v143
	s_nop 1
	v_mfma_f32_16x16x16f16 v[220:223], v[224:225], v[56:57], v[220:223]
	s_nop 7
	s_nop 2
	v_cvt_f16_f32_e32 v105, v220
	v_cvt_f16_f32_e32 v106, v221
	v_cvt_f16_f32_e32 v141, v222
	v_cvt_f16_f32_e32 v219, v223
	v_cvt_f32_f16_e32 v220, v150
	v_pack_b32_f16 v143, v105, v106
	v_cvt_f32_f16_sdwa v221, v150 dst_sel:DWORD dst_unused:UNUSED_PAD src0_sel:WORD_1
	v_pack_b32_f16 v141, v141, v219
	ds_read_u16 v105, v118 offset:128
	ds_read_u16 v106, v140 offset:528
	ds_read_u16 v219, v140 offset:1056
	ds_read_u16 v224, v120 offset:128
	v_cvt_f32_f16_e32 v222, v149
	v_cvt_f32_f16_sdwa v223, v149 dst_sel:DWORD dst_unused:UNUSED_PAD src0_sel:WORD_1
	s_waitcnt lgkmcnt(0)
	v_perm_b32 v225, v224, v219, s14
	v_perm_b32 v224, v106, v105, s14
	s_nop 1
	v_mfma_f32_16x16x16f16 v[220:223], v[224:225], v[58:59], v[220:223]
	ds_read_u16 v219, v142 offset:16896
	ds_read_u16 v224, v144 offset:528
	ds_read_u16 v225, v145 offset:1056
	ds_read_u16 v226, v146 offset:16896
	s_waitcnt lgkmcnt(2)
	v_perm_b32 v224, v224, v219, s14
	s_waitcnt lgkmcnt(0)
	v_perm_b32 v225, v226, v225, s14
	s_nop 2
	v_cvt_f16_f32_e32 v105, v220
	v_cvt_f16_f32_e32 v106, v221
	v_cvt_f16_f32_e32 v149, v222
	v_cvt_f16_f32_e32 v150, v223
	v_cvt_f32_f16_e32 v220, v105
	v_cvt_f32_f16_e32 v221, v106
	;; [unrolled: 40-line block ×11, first 2 shown]
	v_cvt_f32_f16_e32 v222, v105
	v_cvt_f32_f16_e32 v223, v106
	s_nop 1
	v_mfma_f32_16x16x16f16 v[220:223], v[224:225], v[56:57], v[220:223]
	s_nop 7
	s_nop 2
	v_cvt_f16_f32_e32 v101, v220
	v_cvt_f16_f32_e32 v102, v221
	;; [unrolled: 1-line block ×4, first 2 shown]
	v_cvt_f32_f16_e32 v220, v104
	v_pack_b32_f16 v102, v101, v102
	v_cvt_f32_f16_sdwa v221, v104 dst_sel:DWORD dst_unused:UNUSED_PAD src0_sel:WORD_1
	v_pack_b32_f16 v101, v105, v106
	ds_read_u16 v106, v118 offset:448
	ds_read_u16 v219, v202 offset:528
	ds_read_u16 v105, v202 offset:1056
	ds_read_u16 v224, v120 offset:448
	v_cvt_f32_f16_e32 v222, v103
	v_cvt_f32_f16_sdwa v223, v103 dst_sel:DWORD dst_unused:UNUSED_PAD src0_sel:WORD_1
	s_waitcnt lgkmcnt(2)
	v_perm_b32 v104, v219, v106, s14
	s_waitcnt lgkmcnt(0)
	v_perm_b32 v105, v224, v105, s14
	ds_read_u16 v219, v203 offset:16896
	ds_read_u16 v224, v204 offset:528
	;; [unrolled: 1-line block ×4, first 2 shown]
	v_mfma_f32_16x16x16f16 v[220:223], v[104:105], v[58:59], v[220:223]
	s_nop 7
	s_nop 2
	v_cvt_f16_f32_e32 v104, v221
	v_cvt_f16_f32_e32 v105, v222
	;; [unrolled: 1-line block ×4, first 2 shown]
	v_cvt_f32_f16_e32 v221, v104
	v_cvt_f32_f16_e32 v222, v105
	s_waitcnt lgkmcnt(0)
	v_perm_b32 v105, v226, v225, s14
	v_perm_b32 v104, v224, v219, s14
	v_cvt_f32_f16_e32 v220, v103
	v_cvt_f32_f16_e32 v223, v106
	s_nop 1
	v_mfma_f32_16x16x16f16 v[220:223], v[104:105], v[56:57], v[220:223]
	s_nop 7
	s_nop 2
	v_cvt_f16_f32_e32 v103, v220
	v_cvt_f16_f32_e32 v104, v221
	v_cvt_f16_f32_e32 v105, v222
	v_cvt_f16_f32_e32 v106, v223
	v_cvt_f32_f16_e32 v220, v79
	v_pack_b32_f16 v104, v103, v104
	v_cvt_f32_f16_sdwa v221, v79 dst_sel:DWORD dst_unused:UNUSED_PAD src0_sel:WORD_1
	v_pack_b32_f16 v103, v105, v106
	ds_read_u16 v105, v118 offset:480
	ds_read_u16 v106, v207 offset:528
	;; [unrolled: 1-line block ×4, first 2 shown]
	v_cvt_f32_f16_e32 v222, v77
	v_cvt_f32_f16_sdwa v223, v77 dst_sel:DWORD dst_unused:UNUSED_PAD src0_sel:WORD_1
	s_waitcnt lgkmcnt(0)
	v_perm_b32 v225, v224, v219, s14
	v_perm_b32 v224, v106, v105, s14
	s_nop 1
	v_mfma_f32_16x16x16f16 v[220:223], v[224:225], v[58:59], v[220:223]
	ds_read_u16 v105, v208 offset:16896
	ds_read_u16 v106, v209 offset:528
	;; [unrolled: 1-line block ×4, first 2 shown]
	s_waitcnt lgkmcnt(0)
	s_barrier
	s_nop 4
	v_cvt_f16_f32_e32 v58, v220
	v_cvt_f16_f32_e32 v59, v221
	;; [unrolled: 1-line block ×4, first 2 shown]
	v_cvt_f32_f16_e32 v220, v58
	v_cvt_f32_f16_e32 v221, v59
	v_perm_b32 v59, v224, v219, s14
	v_perm_b32 v58, v106, v105, s14
	v_cvt_f32_f16_e32 v222, v77
	v_cvt_f32_f16_e32 v223, v79
	s_nop 1
	v_mfma_f32_16x16x16f16 v[56:59], v[58:59], v[56:57], v[220:223]
	s_nop 7
	s_nop 2
	v_cvt_f16_f32_e32 v56, v56
	v_cvt_f16_f32_e32 v57, v57
	;; [unrolled: 1-line block ×4, first 2 shown]
	v_pack_b32_f16 v106, v56, v57
	v_pack_b32_f16 v105, v58, v59
	s_cbranch_vccnz .LBB29_470
.LBB29_471:
	s_lshl_b32 s4, s76, 6
	s_ashr_i32 s5, s4, 31
	s_lshl_b64 s[12:13], s[4:5], 1
	s_add_u32 s0, s10, s12
	s_addc_u32 s2, s11, s13
	v_lshlrev_b64 v[44:45], 1, v[44:45]
	v_mov_b32_e32 v56, s2
	v_add_co_u32_e32 v57, vcc, s0, v44
	s_mul_i32 s0, s40, s5
	s_mul_hi_u32 s2, s40, s4
	s_add_i32 s0, s2, s0
	s_mul_i32 s2, s3, s4
	v_addc_co_u32_e32 v56, vcc, v56, v45, vcc
	v_lshlrev_b64 v[44:45], 1, v[40:41]
	s_add_i32 s3, s0, s2
	s_mul_i32 s2, s40, s4
	v_add_co_u32_e32 v44, vcc, v57, v44
	s_lshl_b64 s[2:3], s[2:3], 2
	v_addc_co_u32_e32 v45, vcc, v56, v45, vcc
	s_add_u32 s0, s8, s2
	global_load_dword v77, v[44:45], off
	s_addc_u32 s2, s9, s3
	v_lshlrev_b64 v[44:45], 2, v[46:47]
	v_mov_b32_e32 v41, s2
	v_add_co_u32_e32 v46, vcc, s0, v44
	v_addc_co_u32_e32 v41, vcc, v41, v45, vcc
	v_lshlrev_b64 v[44:45], 2, v[42:43]
	v_add_co_u32_e32 v108, vcc, v46, v44
	v_addc_co_u32_e32 v109, vcc, v41, v45, vcc
	v_lshlrev_b64 v[46:47], 2, v[48:49]
	v_mov_b32_e32 v41, s2
	v_add_co_u32_e32 v43, vcc, s0, v46
	v_addc_co_u32_e32 v41, vcc, v41, v47, vcc
	v_add_co_u32_e32 v110, vcc, v43, v44
	v_addc_co_u32_e32 v111, vcc, v41, v45, vcc
	v_lshlrev_b64 v[50:51], 2, v[50:51]
	v_mov_b32_e32 v41, s2
	v_add_co_u32_e32 v43, vcc, s0, v50
	v_addc_co_u32_e32 v41, vcc, v41, v51, vcc
	;; [unrolled: 6-line block ×3, first 2 shown]
	global_load_dwordx4 v[46:49], v[108:109], off
	global_load_dwordx4 v[56:59], v[110:111], off
	v_add_co_u32_e32 v108, vcc, v43, v44
	v_addc_co_u32_e32 v109, vcc, v41, v45, vcc
	global_load_dwordx4 v[50:53], v[50:51], off
	s_nop 0
	global_load_dwordx4 v[108:111], v[108:109], off
	v_add_u32_e32 v72, 0, v72
	v_lshlrev_b32_e32 v40, 1, v40
	v_add3_u32 v64, v72, v64, v90
	v_lshlrev_b32_e32 v43, 2, v42
	v_add3_u32 v79, 0, v92, v40
	v_add_u32_e32 v72, 0x4000, v64
	v_add3_u32 v40, 0, v74, v43
	v_add3_u32 v41, 0, v81, v43
	;; [unrolled: 1-line block ×4, first 2 shown]
	v_cmp_lt_i32_e32 vcc, v87, v78
	s_mov_b32 s3, 0x3fb8aa3b
	s_mov_b32 s0, 0xc2ce8ed0
	s_mul_i32 s5, s30, s5
	s_mul_hi_u32 s8, s30, s4
	s_add_i32 s5, s8, s5
	s_mul_i32 s1, s1, s4
	s_mov_b32 s2, 0x42b17218
	s_add_i32 s5, s5, s1
	s_mul_i32 s4, s30, s4
	s_lshl_b64 s[4:5], s[4:5], 2
	s_add_u32 s1, s6, s4
	s_addc_u32 s4, s7, s5
	s_waitcnt vmcnt(4)
	ds_write_b32 v79, v77 offset:33792
	s_waitcnt vmcnt(3)
	ds_write_b128 v40, v[46:49]
	s_waitcnt vmcnt(2)
	ds_write_b128 v41, v[56:59]
	;; [unrolled: 2-line block ×4, first 2 shown]
	s_waitcnt lgkmcnt(0)
	s_barrier
	ds_read2_b64 v[46:49], v64 offset1:4
	ds_read2_b64 v[56:59], v72 offset0:64 offset1:68
	s_waitcnt lgkmcnt(1)
	v_mfma_f32_16x16x16f16 v[50:53], v[46:47], v[28:29], 0
	s_waitcnt lgkmcnt(0)
	v_mfma_f32_16x16x16f16 v[108:111], v[56:57], v[28:29], 0
	v_mfma_f32_16x16x16f16 v[46:49], v[48:49], v[30:31], v[50:53]
	;; [unrolled: 1-line block ×3, first 2 shown]
	s_nop 6
	ds_read2_b64 v[50:53], v64 offset0:8 offset1:12
	ds_read2_b64 v[56:59], v72 offset0:72 offset1:76
	s_waitcnt lgkmcnt(1)
	v_mfma_f32_16x16x16f16 v[46:49], v[50:51], v[24:25], v[46:49]
	s_waitcnt lgkmcnt(0)
	v_mfma_f32_16x16x16f16 v[28:31], v[56:57], v[24:25], v[28:31]
	v_mfma_f32_16x16x16f16 v[46:49], v[52:53], v[26:27], v[46:49]
	ds_read2_b64 v[50:53], v72 offset0:80 offset1:84
	v_mfma_f32_16x16x16f16 v[24:27], v[58:59], v[26:27], v[28:31]
	s_nop 7
	ds_read2_b64 v[28:31], v64 offset0:16 offset1:20
	s_waitcnt lgkmcnt(0)
	v_mfma_f32_16x16x16f16 v[46:49], v[28:29], v[20:21], v[46:49]
	v_mfma_f32_16x16x16f16 v[24:27], v[50:51], v[20:21], v[24:27]
	;; [unrolled: 1-line block ×4, first 2 shown]
	s_nop 7
	ds_read2_b64 v[46:49], v72 offset0:88 offset1:92
	ds_read2_b64 v[24:27], v64 offset0:24 offset1:28
	s_waitcnt lgkmcnt(0)
	v_mfma_f32_16x16x16f16 v[28:31], v[24:25], v[16:17], v[28:31]
	v_mfma_f32_16x16x16f16 v[20:23], v[46:47], v[16:17], v[20:23]
	v_mov_b32_e32 v46, 0x7f800000
	v_mfma_f32_16x16x16f16 v[24:27], v[26:27], v[18:19], v[28:31]
	v_mfma_f32_16x16x16f16 v[16:19], v[48:49], v[18:19], v[20:23]
	s_nop 6
	ds_read2_b64 v[28:31], v72 offset0:96 offset1:100
	ds_read2_b64 v[20:23], v64 offset0:32 offset1:36
	s_waitcnt lgkmcnt(0)
	v_mfma_f32_16x16x16f16 v[24:27], v[20:21], v[12:13], v[24:27]
	v_mfma_f32_16x16x16f16 v[16:19], v[28:29], v[12:13], v[16:19]
	;; [unrolled: 1-line block ×4, first 2 shown]
	s_nop 7
	ds_read2_b64 v[24:27], v72 offset0:104 offset1:108
	ds_read2_b64 v[16:19], v64 offset0:40 offset1:44
	s_waitcnt lgkmcnt(0)
	v_mfma_f32_16x16x16f16 v[20:23], v[16:17], v[8:9], v[20:23]
	v_mfma_f32_16x16x16f16 v[12:15], v[24:25], v[8:9], v[12:15]
	;; [unrolled: 1-line block ×3, first 2 shown]
	s_nop 7
	s_nop 0
	ds_read2_b64 v[20:23], v64 offset0:48 offset1:52
	v_mfma_f32_16x16x16f16 v[8:11], v[26:27], v[10:11], v[12:15]
	s_nop 6
	ds_read2_b64 v[12:15], v72 offset0:112 offset1:116
	s_waitcnt lgkmcnt(1)
	v_mfma_f32_16x16x16f16 v[16:19], v[20:21], v[4:5], v[16:19]
	s_waitcnt lgkmcnt(0)
	v_mfma_f32_16x16x16f16 v[8:11], v[12:13], v[4:5], v[8:11]
	v_mfma_f32_16x16x16f16 v[16:19], v[22:23], v[6:7], v[16:19]
	ds_read2_b64 v[20:23], v64 offset0:56 offset1:60
	ds_read2_b64 v[24:27], v72 offset0:120 offset1:124
	s_waitcnt lgkmcnt(0)
	s_barrier
	v_mfma_f32_16x16x16f16 v[4:7], v[14:15], v[6:7], v[8:11]
	v_mfma_f32_16x16x16f16 v[4:7], v[24:25], v[0:1], v[4:7]
	s_nop 5
	v_add_u32_e32 v8, 0, v82
	v_lshl_add_u32 v11, v88, 2, v8
	v_lshl_add_u32 v9, v84, 2, v8
	;; [unrolled: 1-line block ×3, first 2 shown]
	ds_read_b32 v11, v11 offset:33792
	v_lshl_add_u32 v8, v85, 2, v8
	ds_read_b32 v15, v9 offset:33792
	ds_read_b32 v14, v10 offset:33792
	ds_read_b32 v13, v8 offset:33792
	v_mfma_f32_16x16x16f16 v[6:9], v[26:27], v[2:3], v[4:7]
	s_waitcnt lgkmcnt(3)
	v_cvt_f32_f16_e32 v10, v11
	v_cvt_f32_f16_sdwa v11, v11 dst_sel:DWORD dst_unused:UNUSED_PAD src0_sel:WORD_1
	s_waitcnt lgkmcnt(0)
	v_cvt_f32_f16_e32 v12, v13
	v_cvt_f32_f16_sdwa v13, v13 dst_sel:DWORD dst_unused:UNUSED_PAD src0_sel:WORD_1
	s_nop 0
	v_cndmask_b32_e32 v4, v76, v87, vcc
	v_lshlrev_b32_e32 v74, 2, v4
	s_nop 1
	v_pk_add_f32 v[4:5], v[8:9], v[10:11]
	v_mfma_f32_16x16x16f16 v[8:11], v[20:21], v[0:1], v[16:19]
	v_pk_add_f32 v[6:7], v[6:7], v[12:13]
	v_cvt_f32_f16_e32 v12, v14
	v_cvt_f32_f16_sdwa v13, v14 dst_sel:DWORD dst_unused:UNUSED_PAD src0_sel:WORD_1
	v_cvt_f32_f16_e32 v14, v15
	v_cvt_f32_f16_sdwa v15, v15 dst_sel:DWORD dst_unused:UNUSED_PAD src0_sel:WORD_1
	s_nop 1
	v_add_f32_e32 v16, 0x40051340, v6
	v_add_f32_e32 v17, 0x40051340, v7
	v_mfma_f32_16x16x16f16 v[0:3], v[22:23], v[2:3], v[8:11]
	v_add_f32_e32 v24, 0x40051340, v4
	v_add_f32_e32 v25, 0x40051340, v5
	v_cmp_lt_i32_e32 vcc, v80, v78
	s_nop 7
	v_pk_add_f32 v[0:1], v[0:1], v[14:15]
	v_pk_add_f32 v[2:3], v[2:3], v[12:13]
	v_add_f32_e32 v10, 0x40051340, v0
	v_add_f32_e32 v11, 0x40051340, v1
	;; [unrolled: 1-line block ×4, first 2 shown]
	v_max3_f32 v10, v54, v10, v11
	v_max3_f32 v8, v10, v8, v9
	;; [unrolled: 1-line block ×4, first 2 shown]
	ds_bpermute_b32 v9, v74, v8
	v_cndmask_b32_e32 v10, v76, v80, vcc
	v_lshlrev_b32_e32 v72, 2, v10
	s_waitcnt lgkmcnt(0)
	v_max_f32_e32 v9, v9, v9
	v_max_f32_e32 v8, v8, v9
	ds_bpermute_b32 v9, v72, v8
	s_waitcnt lgkmcnt(0)
	v_max_f32_e32 v9, v9, v9
	v_max_f32_e32 v64, v8, v9
	v_pk_add_f32 v[0:1], v[0:1], v[64:65] op_sel_hi:[1,0] neg_lo:[0,1] neg_hi:[0,1]
	v_mul_f32_e32 v8, 0x3fb8aa3b, v1
	v_fma_f32 v9, v1, s3, -v8
	v_rndne_f32_e32 v10, v8
	v_fmac_f32_e32 v9, 0x32a5705f, v1
	v_sub_f32_e32 v8, v8, v10
	v_add_f32_e32 v8, v8, v9
	v_cvt_i32_f32_e32 v9, v10
	v_mul_f32_e32 v10, 0x3fb8aa3b, v0
	v_fma_f32 v11, v0, s3, -v10
	v_rndne_f32_e32 v12, v10
	v_pk_add_f32 v[18:19], v[2:3], v[64:65] op_sel_hi:[1,0] neg_lo:[0,1] neg_hi:[0,1]
	v_fmac_f32_e32 v11, 0x32a5705f, v0
	v_sub_f32_e32 v10, v10, v12
	v_mul_f32_e32 v2, 0x3fb8aa3b, v19
	v_add_f32_e32 v10, v10, v11
	v_cvt_i32_f32_e32 v11, v12
	v_fma_f32 v3, v19, s3, -v2
	v_rndne_f32_e32 v12, v2
	v_fmac_f32_e32 v3, 0x32a5705f, v19
	v_sub_f32_e32 v2, v2, v12
	v_add_f32_e32 v13, v2, v3
	v_mul_f32_e32 v2, 0x3fb8aa3b, v18
	v_fma_f32 v3, v18, s3, -v2
	v_rndne_f32_e32 v14, v2
	v_fmac_f32_e32 v3, 0x32a5705f, v18
	v_sub_f32_e32 v2, v2, v14
	v_pk_add_f32 v[22:23], v[6:7], v[64:65] op_sel_hi:[1,0] neg_lo:[0,1] neg_hi:[0,1]
	v_exp_f32_e32 v8, v8
	v_add_f32_e32 v15, v2, v3
	v_mul_f32_e32 v2, 0x3fb8aa3b, v23
	v_exp_f32_e32 v10, v10
	v_fma_f32 v3, v23, s3, -v2
	v_rndne_f32_e32 v6, v2
	v_cvt_i32_f32_e32 v12, v12
	v_fmac_f32_e32 v3, 0x32a5705f, v23
	v_sub_f32_e32 v2, v2, v6
	v_exp_f32_e32 v13, v13
	v_add_f32_e32 v7, v2, v3
	v_lshlrev_b64 v[2:3], 2, v[38:39]
	v_exp_f32_e32 v38, v7
	v_ldexp_f32 v7, v8, v9
	v_cmp_ngt_f32_e32 vcc, s0, v1
	v_ldexp_f32 v8, v10, v11
	v_cndmask_b32_e32 v7, 0, v7, vcc
	v_cmp_ngt_f32_e32 vcc, s0, v0
	v_ldexp_f32 v9, v13, v12
	v_cndmask_b32_e32 v8, 0, v8, vcc
	v_cmp_ngt_f32_e32 vcc, s0, v19
	v_cndmask_b32_e32 v9, 0, v9, vcc
	v_cmp_nlt_f32_e32 vcc, s2, v1
	v_cndmask_b32_e32 v20, v46, v7, vcc
	v_cmp_nlt_f32_e32 vcc, s2, v0
	;; [unrolled: 2-line block ×3, first 2 shown]
	v_cvt_i32_f32_e32 v25, v6
	v_mov_b32_e32 v6, s4
	v_cndmask_b32_e32 v24, v46, v9, vcc
	v_add_co_u32_e32 v0, vcc, s1, v2
	v_addc_co_u32_e32 v1, vcc, v6, v3, vcc
	v_add_co_u32_e32 v0, vcc, v0, v44
	v_addc_co_u32_e32 v1, vcc, v1, v45, vcc
	v_lshlrev_b64 v[2:3], 2, v[32:33]
	v_add_co_u32_e32 v2, vcc, s1, v2
	v_addc_co_u32_e32 v3, vcc, v6, v3, vcc
	v_add_co_u32_e32 v26, vcc, v2, v44
	v_addc_co_u32_e32 v27, vcc, v3, v45, vcc
	v_lshlrev_b64 v[2:3], 2, v[34:35]
	v_add_co_u32_e32 v2, vcc, s1, v2
	v_addc_co_u32_e32 v3, vcc, v6, v3, vcc
	v_add_co_u32_e32 v28, vcc, v2, v44
	v_cvt_i32_f32_e32 v14, v14
	v_exp_f32_e32 v15, v15
	v_addc_co_u32_e32 v29, vcc, v3, v45, vcc
	v_lshlrev_b64 v[2:3], 2, v[36:37]
	v_add_co_u32_e32 v2, vcc, s1, v2
	v_addc_co_u32_e32 v3, vcc, v6, v3, vcc
	v_add_co_u32_e32 v30, vcc, v2, v44
	v_ldexp_f32 v39, v15, v14
	v_addc_co_u32_e32 v31, vcc, v3, v45, vcc
	global_load_dwordx4 v[0:3], v[0:1], off
	s_nop 0
	global_load_dwordx4 v[6:9], v[26:27], off
	global_load_dwordx4 v[10:13], v[28:29], off
	;; [unrolled: 1-line block ×3, first 2 shown]
	v_cmp_ngt_f32_e32 vcc, s0, v18
	v_cndmask_b32_e32 v19, 0, v39, vcc
	v_cmp_nlt_f32_e32 vcc, s2, v18
	v_cndmask_b32_e32 v26, v46, v19, vcc
	v_mul_f32_e32 v19, 0x3fb8aa3b, v22
	v_ldexp_f32 v18, v38, v25
	v_fma_f32 v25, v22, s3, -v19
	v_rndne_f32_e32 v27, v19
	v_fmac_f32_e32 v25, 0x32a5705f, v22
	v_sub_f32_e32 v19, v19, v27
	v_add_f32_e32 v19, v19, v25
	v_exp_f32_e32 v19, v19
	v_cvt_i32_f32_e32 v27, v27
	v_cmp_ngt_f32_e32 vcc, s0, v23
	v_cndmask_b32_e32 v18, 0, v18, vcc
	v_cmp_nlt_f32_e32 vcc, s2, v23
	v_pk_add_f32 v[4:5], v[4:5], v[64:65] op_sel_hi:[1,0] neg_lo:[0,1] neg_hi:[0,1]
	v_cndmask_b32_e32 v25, v46, v18, vcc
	v_ldexp_f32 v18, v19, v27
	v_mul_f32_e32 v19, 0x3fb8aa3b, v5
	v_fma_f32 v23, v5, s3, -v19
	v_rndne_f32_e32 v27, v19
	v_fmac_f32_e32 v23, 0x32a5705f, v5
	v_sub_f32_e32 v19, v19, v27
	v_add_f32_e32 v19, v19, v23
	v_exp_f32_e32 v19, v19
	v_cvt_i32_f32_e32 v23, v27
	v_cmp_ngt_f32_e32 vcc, s0, v22
	v_cndmask_b32_e32 v18, 0, v18, vcc
	v_cmp_nlt_f32_e32 vcc, s2, v22
	v_cndmask_b32_e32 v27, v46, v18, vcc
	v_ldexp_f32 v18, v19, v23
	v_mul_f32_e32 v19, 0x3fb8aa3b, v4
	v_fma_f32 v22, v4, s3, -v19
	v_rndne_f32_e32 v23, v19
	v_fmac_f32_e32 v22, 0x32a5705f, v4
	v_sub_f32_e32 v19, v19, v23
	v_add_f32_e32 v19, v19, v22
	v_cvt_i32_f32_e32 v22, v23
	v_sub_f32_e32 v23, v54, v64
	v_mul_f32_e32 v28, 0x3fb8aa3b, v23
	v_fma_f32 v29, v23, s3, -v28
	v_rndne_f32_e32 v30, v28
	v_fmac_f32_e32 v29, 0x32a5705f, v23
	v_sub_f32_e32 v28, v28, v30
	v_add_f32_e32 v28, v28, v29
	v_exp_f32_e32 v28, v28
	v_cvt_i32_f32_e32 v29, v30
	v_cmp_ngt_f32_e32 vcc, s0, v5
	v_cndmask_b32_e32 v18, 0, v18, vcc
	v_exp_f32_e32 v19, v19
	v_cmp_nlt_f32_e32 vcc, s2, v5
	v_cndmask_b32_e32 v76, v46, v18, vcc
	v_ldexp_f32 v18, v28, v29
	v_cmp_ngt_f32_e32 vcc, s0, v23
	v_cndmask_b32_e32 v18, 0, v18, vcc
	v_cmp_nlt_f32_e32 vcc, s2, v23
	s_mov_b32 s1, 0xc1a00000
	v_cndmask_b32_e32 v18, v46, v18, vcc
	v_cmp_le_f32_e32 vcc, s1, v23
	v_ldexp_f32 v5, v19, v22
	v_cndmask_b32_e32 v77, 0, v18, vcc
	v_cmp_ngt_f32_e32 vcc, s0, v4
	v_cvt_f16_f32_e32 v79, v77
	v_cndmask_b32_e32 v5, 0, v5, vcc
	v_cmp_nlt_f32_e32 vcc, s2, v4
	v_cndmask_b32_e32 v78, v46, v5, vcc
	v_cvt_f16_f32_e32 v4, v20
	v_cvt_f16_f32_e32 v5, v21
	v_cvt_f16_f32_e32 v19, v24
	v_cvt_f16_f32_e32 v22, v26
	s_waitcnt vmcnt(3)
	ds_write_b128 v40, v[0:3]
	s_waitcnt vmcnt(2)
	ds_write_b128 v41, v[6:9]
	;; [unrolled: 2-line block ×4, first 2 shown]
	v_add_u32_e32 v0, 0, v67
	v_lshlrev_b32_e32 v11, 1, v66
	v_pk_mul_f16 v18, v79, v217 op_sel_hi:[0,1]
	v_lshlrev_b32_e32 v10, 1, v63
	v_add_u32_e32 v7, v0, v11
	v_pack_b32_f16 v28, v5, v4
	v_pack_b32_f16 v29, v22, v19
	s_waitcnt lgkmcnt(0)
	s_barrier
	v_add_u32_e32 v5, v0, v10
	v_add3_u32 v4, v0, v55, v61
	v_add3_u32 v6, v0, v60, v61
	v_cvt_f32_f16_e32 v0, v18
	v_cvt_f32_f16_sdwa v1, v18 dst_sel:DWORD dst_unused:UNUSED_PAD src0_sel:WORD_1
	s_mov_b32 s0, 0x5040100
	ds_read_u16 v3, v7
	ds_read_u16 v14, v7 offset:32
	ds_read_u16 v15, v7 offset:64
	;; [unrolled: 1-line block ×7, first 2 shown]
	ds_read_u16 v8, v6
	ds_read_u16 v37, v6 offset:32
	ds_read_u16 v40, v6 offset:64
	;; [unrolled: 1-line block ×7, first 2 shown]
	s_waitcnt lgkmcnt(7)
	v_perm_b32 v9, v8, v3, s0
	ds_read_u16 v3, v5
	ds_read_u16 v38, v5 offset:32
	ds_read_u16 v41, v5 offset:64
	;; [unrolled: 1-line block ×15, first 2 shown]
	v_pk_mul_f16 v23, v79, v216 op_sel_hi:[0,1]
	s_waitcnt lgkmcnt(7)
	v_perm_b32 v8, v8, v3, s0
	v_cvt_f32_f16_e32 v2, v23
	v_cvt_f32_f16_sdwa v3, v23 dst_sel:DWORD dst_unused:UNUSED_PAD src0_sel:WORD_1
	v_add_u32_e32 v12, 0, v62
	v_add_u32_e32 v11, v12, v11
	v_mfma_f32_16x16x16f16 v[0:3], v[8:9], v[28:29], v[0:3]
	v_add_u32_e32 v9, v12, v10
	v_add3_u32 v8, v12, v55, v61
	v_add3_u32 v10, v12, v60, v61
	ds_read_u16 v12, v11
	ds_read_u16 v43, v11 offset:32
	ds_read_u16 v47, v11 offset:64
	;; [unrolled: 1-line block ×7, first 2 shown]
	ds_read_u16 v13, v10
	ds_read_u16 v62, v10 offset:32
	ds_read_u16 v81, v10 offset:64
	;; [unrolled: 1-line block ×7, first 2 shown]
	s_waitcnt lgkmcnt(7)
	v_perm_b32 v13, v13, v12, s0
	ds_read_u16 v12, v9
	ds_read_u16 v87, v9 offset:32
	ds_read_u16 v88, v9 offset:64
	;; [unrolled: 1-line block ×15, first 2 shown]
	v_cvt_f16_f32_e32 v19, v25
	v_cvt_f16_f32_e32 v0, v0
	;; [unrolled: 1-line block ×8, first 2 shown]
	s_waitcnt lgkmcnt(7)
	v_perm_b32 v12, v30, v12, s0
	v_cvt_f32_f16_e32 v0, v0
	v_cvt_f32_f16_e32 v1, v1
	;; [unrolled: 1-line block ×4, first 2 shown]
	v_pack_b32_f16 v30, v23, v19
	v_pack_b32_f16 v31, v32, v31
	v_pk_mul_f16 v36, v79, v218 op_sel_hi:[0,1]
	v_pk_mul_f16 v115, v79, v128 op_sel_hi:[0,1]
	v_mfma_f32_16x16x16f16 v[32:35], v[12:13], v[30:31], v[0:3]
	v_perm_b32 v13, v37, v14, s0
	v_perm_b32 v12, v39, v38, s0
	v_pk_mul_f16 v14, v79, v135 op_sel_hi:[0,1]
	v_pk_mul_f16 v19, v79, v134 op_sel_hi:[0,1]
	s_nop 2
	v_cvt_f32_f16_e32 v0, v36
	v_cvt_f32_f16_sdwa v1, v36 dst_sel:DWORD dst_unused:UNUSED_PAD src0_sel:WORD_1
	v_cvt_f32_f16_e32 v2, v115
	v_cvt_f32_f16_sdwa v3, v115 dst_sel:DWORD dst_unused:UNUSED_PAD src0_sel:WORD_1
	s_nop 1
	v_mfma_f32_16x16x16f16 v[0:3], v[12:13], v[28:29], v[0:3]
	v_perm_b32 v13, v62, v43, s0
	s_waitcnt lgkmcnt(6)
	v_perm_b32 v12, v108, v87, s0
	s_nop 7
	v_cvt_f16_f32_e32 v0, v0
	v_cvt_f16_f32_e32 v1, v1
	;; [unrolled: 1-line block ×4, first 2 shown]
	v_cvt_f32_f16_e32 v0, v0
	v_cvt_f32_f16_e32 v1, v1
	;; [unrolled: 1-line block ×4, first 2 shown]
	s_nop 1
	v_mfma_f32_16x16x16f16 v[36:39], v[12:13], v[30:31], v[0:3]
	v_perm_b32 v13, v40, v15, s0
	v_perm_b32 v12, v42, v41, s0
	v_pk_mul_f16 v15, v79, v141 op_sel_hi:[0,1]
	s_nop 3
	v_cvt_f32_f16_e32 v0, v14
	v_cvt_f32_f16_sdwa v1, v14 dst_sel:DWORD dst_unused:UNUSED_PAD src0_sel:WORD_1
	v_cvt_f32_f16_e32 v2, v19
	v_cvt_f32_f16_sdwa v3, v19 dst_sel:DWORD dst_unused:UNUSED_PAD src0_sel:WORD_1
	v_pk_mul_f16 v14, v79, v143 op_sel_hi:[0,1]
	s_nop 0
	v_mfma_f32_16x16x16f16 v[0:3], v[12:13], v[28:29], v[0:3]
	v_perm_b32 v13, v81, v47, s0
	s_waitcnt lgkmcnt(5)
	v_perm_b32 v12, v109, v88, s0
	s_nop 7
	v_cvt_f16_f32_e32 v0, v0
	v_cvt_f16_f32_e32 v1, v1
	v_cvt_f16_f32_e32 v2, v2
	v_cvt_f16_f32_e32 v3, v3
	v_cvt_f32_f16_e32 v0, v0
	v_cvt_f32_f16_e32 v1, v1
	v_cvt_f32_f16_e32 v2, v2
	v_cvt_f32_f16_e32 v3, v3
	s_nop 1
	v_mfma_f32_16x16x16f16 v[40:43], v[12:13], v[30:31], v[0:3]
	v_perm_b32 v13, v44, v16, s0
	v_perm_b32 v12, v46, v45, s0
	s_nop 4
	v_cvt_f32_f16_e32 v0, v14
	v_cvt_f32_f16_sdwa v1, v14 dst_sel:DWORD dst_unused:UNUSED_PAD src0_sel:WORD_1
	v_cvt_f32_f16_e32 v2, v15
	v_cvt_f32_f16_sdwa v3, v15 dst_sel:DWORD dst_unused:UNUSED_PAD src0_sel:WORD_1
	v_pk_mul_f16 v14, v79, v150 op_sel_hi:[0,1]
	v_pk_mul_f16 v15, v79, v149 op_sel_hi:[0,1]
	v_mfma_f32_16x16x16f16 v[0:3], v[12:13], v[28:29], v[0:3]
	v_perm_b32 v13, v82, v51, s0
	s_waitcnt lgkmcnt(4)
	v_perm_b32 v12, v110, v89, s0
	s_nop 7
	v_cvt_f16_f32_e32 v0, v0
	v_cvt_f16_f32_e32 v1, v1
	v_cvt_f16_f32_e32 v2, v2
	v_cvt_f16_f32_e32 v3, v3
	v_cvt_f32_f16_e32 v0, v0
	v_cvt_f32_f16_e32 v1, v1
	v_cvt_f32_f16_e32 v2, v2
	v_cvt_f32_f16_e32 v3, v3
	s_nop 1
	v_mfma_f32_16x16x16f16 v[44:47], v[12:13], v[30:31], v[0:3]
	v_perm_b32 v13, v48, v17, s0
	v_perm_b32 v12, v50, v49, s0
	s_nop 4
	v_cvt_f32_f16_e32 v0, v14
	v_cvt_f32_f16_sdwa v1, v14 dst_sel:DWORD dst_unused:UNUSED_PAD src0_sel:WORD_1
	v_cvt_f32_f16_e32 v2, v15
	v_cvt_f32_f16_sdwa v3, v15 dst_sel:DWORD dst_unused:UNUSED_PAD src0_sel:WORD_1
	v_pk_mul_f16 v14, v79, v158 op_sel_hi:[0,1]
	v_pk_mul_f16 v15, v79, v156 op_sel_hi:[0,1]
	;; [unrolled: 24-line block ×5, first 2 shown]
	v_mfma_f32_16x16x16f16 v[0:3], v[12:13], v[28:29], v[0:3]
	v_perm_b32 v13, v86, v61, s0
	s_waitcnt lgkmcnt(0)
	v_perm_b32 v12, v114, v107, s0
	s_nop 7
	v_cvt_f16_f32_e32 v0, v0
	v_cvt_f16_f32_e32 v1, v1
	;; [unrolled: 1-line block ×4, first 2 shown]
	v_cvt_f32_f16_e32 v0, v0
	v_cvt_f32_f16_e32 v1, v1
	;; [unrolled: 1-line block ×4, first 2 shown]
	s_nop 1
	v_mfma_f32_16x16x16f16 v[60:63], v[12:13], v[30:31], v[0:3]
	s_nop 6
	v_cvt_f32_f16_e32 v0, v14
	v_cvt_f32_f16_sdwa v1, v14 dst_sel:DWORD dst_unused:UNUSED_PAD src0_sel:WORD_1
	ds_read_u16 v3, v7 offset:256
	ds_read_u16 v12, v7 offset:288
	;; [unrolled: 1-line block ×16, first 2 shown]
	s_waitcnt lgkmcnt(7)
	v_perm_b32 v7, v7, v3, s0
	ds_read_u16 v3, v5 offset:256
	ds_read_u16 v23, v5 offset:288
	;; [unrolled: 1-line block ×16, first 2 shown]
	s_waitcnt lgkmcnt(7)
	v_perm_b32 v6, v5, v3, s0
	v_cvt_f32_f16_e32 v2, v15
	v_cvt_f32_f16_sdwa v3, v15 dst_sel:DWORD dst_unused:UNUSED_PAD src0_sel:WORD_1
	ds_read_u16 v4, v11 offset:256
	ds_read_u16 v15, v11 offset:288
	;; [unrolled: 1-line block ×16, first 2 shown]
	v_mfma_f32_16x16x16f16 v[0:3], v[6:7], v[28:29], v[0:3]
	s_waitcnt lgkmcnt(7)
	v_perm_b32 v5, v5, v4, s0
	ds_read_u16 v4, v9 offset:256
	ds_read_u16 v10, v9 offset:288
	;; [unrolled: 1-line block ×16, first 2 shown]
	s_waitcnt lgkmcnt(7)
	v_perm_b32 v4, v6, v4, s0
	v_pk_mul_f16 v6, v79, v94 op_sel_hi:[0,1]
	v_pk_mul_f16 v7, v79, v93 op_sel_hi:[0,1]
	v_perm_b32 v9, v14, v12, s0
	v_perm_b32 v8, v90, v23, s0
	v_cvt_f16_f32_e32 v0, v0
	v_cvt_f16_f32_e32 v1, v1
	v_cvt_f16_f32_e32 v2, v2
	v_cvt_f16_f32_e32 v3, v3
	v_cvt_f32_f16_e32 v0, v0
	v_cvt_f32_f16_e32 v1, v1
	;; [unrolled: 1-line block ×4, first 2 shown]
	v_perm_b32 v13, v17, v13, s0
	v_perm_b32 v12, v91, v80, s0
	v_mfma_f32_16x16x16f16 v[0:3], v[4:5], v[30:31], v[0:3]
	v_cvt_f32_f16_e32 v4, v6
	v_cvt_f32_f16_sdwa v5, v6 dst_sel:DWORD dst_unused:UNUSED_PAD src0_sel:WORD_1
	v_cvt_f32_f16_e32 v6, v7
	v_cvt_f32_f16_sdwa v7, v7 dst_sel:DWORD dst_unused:UNUSED_PAD src0_sel:WORD_1
	v_pk_mul_f16 v14, v79, v98 op_sel_hi:[0,1]
	v_perm_b32 v17, v18, v16, s0
	v_perm_b32 v16, v92, v81, s0
	v_mfma_f32_16x16x16f16 v[4:7], v[8:9], v[28:29], v[4:7]
	v_perm_b32 v9, v11, v15, s0
	s_waitcnt lgkmcnt(6)
	v_perm_b32 v8, v129, v10, s0
	v_pk_mul_f16 v10, v79, v96 op_sel_hi:[0,1]
	v_pk_mul_f16 v11, v79, v95 op_sel_hi:[0,1]
	;; [unrolled: 1-line block ×5, first 2 shown]
	s_nop 2
	v_cvt_f16_f32_e32 v4, v4
	v_cvt_f16_f32_e32 v5, v5
	;; [unrolled: 1-line block ×4, first 2 shown]
	v_cvt_f32_f16_e32 v4, v4
	v_cvt_f32_f16_e32 v5, v5
	;; [unrolled: 1-line block ×4, first 2 shown]
	v_perm_b32 v23, v22, v19, s0
	v_perm_b32 v22, v107, v82, s0
	v_mfma_f32_16x16x16f16 v[4:7], v[8:9], v[30:31], v[4:7]
	v_cvt_f32_f16_e32 v8, v10
	v_cvt_f32_f16_sdwa v9, v10 dst_sel:DWORD dst_unused:UNUSED_PAD src0_sel:WORD_1
	v_cvt_f32_f16_e32 v10, v11
	v_cvt_f32_f16_sdwa v11, v11 dst_sel:DWORD dst_unused:UNUSED_PAD src0_sel:WORD_1
	v_cvt_f32_f16_sdwa v19, v80 dst_sel:DWORD dst_unused:UNUSED_PAD src0_sel:WORD_1
	v_pk_mul_f16 v81, v79, v102 op_sel_hi:[0,1]
	v_pk_mul_f16 v90, v79, v101 op_sel_hi:[0,1]
	v_mfma_f32_16x16x16f16 v[8:11], v[12:13], v[28:29], v[8:11]
	v_perm_b32 v13, v117, v111, s0
	s_waitcnt lgkmcnt(5)
	v_perm_b32 v12, v130, v123, s0
	v_cvt_f32_f16_e32 v82, v90
	v_perm_b32 v67, v85, v67, s0
	s_waitcnt lgkmcnt(0)
	s_barrier
	s_nop 3
	v_cvt_f16_f32_e32 v8, v8
	v_cvt_f16_f32_e32 v9, v9
	;; [unrolled: 1-line block ×4, first 2 shown]
	v_cvt_f32_f16_e32 v8, v8
	v_cvt_f32_f16_e32 v9, v9
	;; [unrolled: 1-line block ×4, first 2 shown]
	s_nop 1
	v_mfma_f32_16x16x16f16 v[8:11], v[12:13], v[30:31], v[8:11]
	v_cvt_f32_f16_e32 v12, v14
	v_cvt_f32_f16_sdwa v13, v14 dst_sel:DWORD dst_unused:UNUSED_PAD src0_sel:WORD_1
	v_cvt_f32_f16_e32 v14, v15
	v_cvt_f32_f16_sdwa v15, v15 dst_sel:DWORD dst_unused:UNUSED_PAD src0_sel:WORD_1
	s_nop 1
	v_mfma_f32_16x16x16f16 v[12:15], v[16:17], v[28:29], v[12:15]
	v_perm_b32 v17, v118, v112, s0
	v_perm_b32 v16, v131, v124, s0
	s_nop 7
	s_nop 0
	v_cvt_f16_f32_e32 v12, v12
	v_cvt_f16_f32_e32 v13, v13
	;; [unrolled: 1-line block ×4, first 2 shown]
	v_cvt_f32_f16_e32 v12, v12
	v_cvt_f32_f16_e32 v13, v13
	;; [unrolled: 1-line block ×4, first 2 shown]
	s_nop 1
	v_mfma_f32_16x16x16f16 v[12:15], v[16:17], v[30:31], v[12:15]
	v_cvt_f32_f16_e32 v16, v18
	v_cvt_f32_f16_sdwa v17, v18 dst_sel:DWORD dst_unused:UNUSED_PAD src0_sel:WORD_1
	v_cvt_f32_f16_e32 v18, v80
	v_cvt_f32_f16_e32 v80, v81
	v_cvt_f32_f16_sdwa v81, v81 dst_sel:DWORD dst_unused:UNUSED_PAD src0_sel:WORD_1
	v_mfma_f32_16x16x16f16 v[16:19], v[22:23], v[28:29], v[16:19]
	v_perm_b32 v23, v119, v113, s0
	v_perm_b32 v22, v132, v125, s0
	s_nop 7
	s_nop 0
	v_cvt_f16_f32_e32 v16, v16
	v_cvt_f16_f32_e32 v17, v17
	;; [unrolled: 1-line block ×4, first 2 shown]
	v_cvt_f32_f16_e32 v16, v16
	v_cvt_f32_f16_e32 v17, v17
	;; [unrolled: 1-line block ×4, first 2 shown]
	s_nop 1
	v_mfma_f32_16x16x16f16 v[16:19], v[22:23], v[30:31], v[16:19]
	v_perm_b32 v23, v83, v66, s0
	v_perm_b32 v22, v108, v87, s0
	v_cvt_f32_f16_sdwa v83, v90 dst_sel:DWORD dst_unused:UNUSED_PAD src0_sel:WORD_1
	v_add_f32_e32 v87, v21, v20
	v_pk_mul_f16 v90, v79, v103 op_sel_hi:[0,1]
	v_add_f32_e32 v26, v26, v87
	v_add_f32_e32 v24, v24, v26
	v_mfma_f32_16x16x16f16 v[80:83], v[22:23], v[28:29], v[80:83]
	v_add_f32_e32 v24, v27, v24
	v_add_f32_e32 v85, v25, v24
	;; [unrolled: 1-line block ×3, first 2 shown]
	s_nop 7
	v_cvt_f16_f32_e32 v22, v80
	v_cvt_f16_f32_e32 v23, v81
	;; [unrolled: 1-line block ×4, first 2 shown]
	v_cvt_f32_f16_e32 v80, v22
	v_cvt_f32_f16_e32 v81, v23
	v_perm_b32 v23, v120, v114, s0
	v_perm_b32 v22, v133, v126, s0
	v_cvt_f32_f16_e32 v82, v66
	v_cvt_f32_f16_e32 v83, v83
	v_pk_mul_f16 v66, v79, v104 op_sel_hi:[0,1]
	s_nop 0
	v_mfma_f32_16x16x16f16 v[20:23], v[22:23], v[30:31], v[80:83]
	s_nop 6
	v_cvt_f32_f16_e32 v80, v66
	v_cvt_f32_f16_sdwa v81, v66 dst_sel:DWORD dst_unused:UNUSED_PAD src0_sel:WORD_1
	v_perm_b32 v66, v109, v88, s0
	v_cvt_f32_f16_e32 v82, v90
	v_cvt_f32_f16_sdwa v83, v90 dst_sel:DWORD dst_unused:UNUSED_PAD src0_sel:WORD_1
	s_nop 1
	v_mfma_f32_16x16x16f16 v[80:83], v[66:67], v[28:29], v[80:83]
	s_nop 7
	s_nop 2
	v_cvt_f16_f32_e32 v26, v80
	v_cvt_f16_f32_e32 v27, v81
	;; [unrolled: 1-line block ×4, first 2 shown]
	v_cvt_f32_f16_e32 v80, v26
	v_cvt_f32_f16_e32 v81, v27
	v_perm_b32 v27, v121, v115, s0
	v_perm_b32 v26, v134, v127, s0
	v_cvt_f32_f16_e32 v82, v66
	v_cvt_f32_f16_e32 v83, v67
	v_pk_mul_f16 v66, v79, v106 op_sel_hi:[0,1]
	v_pk_mul_f16 v79, v79, v105 op_sel_hi:[0,1]
	v_mfma_f32_16x16x16f16 v[24:27], v[26:27], v[30:31], v[80:83]
	v_perm_b32 v67, v86, v84, s0
	v_add_f32_e32 v84, v76, v78
	v_fmac_f32_e32 v84, v65, v77
	s_nop 3
	v_cvt_f32_f16_e32 v80, v66
	v_cvt_f32_f16_sdwa v81, v66 dst_sel:DWORD dst_unused:UNUSED_PAD src0_sel:WORD_1
	v_perm_b32 v66, v110, v89, s0
	v_cvt_f32_f16_e32 v82, v79
	v_cvt_f32_f16_sdwa v83, v79 dst_sel:DWORD dst_unused:UNUSED_PAD src0_sel:WORD_1
	s_nop 1
	v_mfma_f32_16x16x16f16 v[76:79], v[66:67], v[28:29], v[80:83]
	s_nop 7
	s_nop 2
	v_cvt_f16_f32_e32 v28, v76
	v_cvt_f16_f32_e32 v29, v77
	;; [unrolled: 1-line block ×4, first 2 shown]
	v_cvt_f32_f16_e32 v76, v28
	v_cvt_f32_f16_e32 v77, v29
	v_perm_b32 v29, v122, v116, s0
	v_perm_b32 v28, v135, v128, s0
	v_cvt_f32_f16_e32 v78, v65
	v_cvt_f32_f16_e32 v79, v66
	ds_bpermute_b32 v65, v74, v84
	v_cmp_gt_u32_e64 s[0:1], 16, v68
	v_mfma_f32_16x16x16f16 v[28:31], v[28:29], v[30:31], v[76:79]
	s_waitcnt lgkmcnt(0)
	v_add_f32_e32 v65, v84, v65
	ds_bpermute_b32 v66, v72, v65
	s_and_saveexec_b64 s[2:3], s[0:1]
	s_cbranch_execz .LBB29_473
; %bb.472:
	s_waitcnt lgkmcnt(0)
	v_add_f32_e32 v65, v65, v66
	v_or_b32_e32 v66, v71, v68
	s_movk_i32 s4, 0x110
	v_mad_i32_i24 v66, v66, s4, 0
	ds_write2_b32 v66, v64, v65 offset0:64 offset1:65
.LBB29_473:
	s_or_b64 exec, exec, s[2:3]
	v_cmp_eq_u32_e32 vcc, 0, v231
	v_cmp_eq_u32_e64 s[2:3], 1, v231
	s_waitcnt lgkmcnt(0)
	s_barrier
	s_and_saveexec_b64 s[4:5], s[2:3]
	s_xor_b64 s[2:3], exec, s[4:5]
	s_cbranch_execz .LBB29_475
; %bb.474:
	s_barrier
	s_waitcnt lgkmcnt(0)
                                        ; implicit-def: $vgpr230
                                        ; implicit-def: $vgpr72
.LBB29_475:
	s_andn2_saveexec_b64 s[4:5], s[2:3]
	s_cbranch_execz .LBB29_481
; %bb.476:
	v_and_b32_e32 v64, 31, v68
	v_add_u32_e32 v65, v71, v64
	s_movk_i32 s2, 0x110
	v_mad_i32_i24 v64, v65, s2, 0
	ds_read_b64 v[76:77], v64 offset:256
	s_mov_b32 s2, 0x3fb8aa3b
	s_mov_b32 s6, 0x42b17218
	s_waitcnt lgkmcnt(0)
	s_barrier
	ds_bpermute_b32 v64, v72, v76
	v_max_f32_e32 v66, v76, v76
	s_waitcnt lgkmcnt(0)
	v_max_f32_e32 v64, v64, v64
	v_max_f32_e32 v64, v66, v64
	v_sub_f32_e32 v66, v76, v64
	v_mul_f32_e32 v67, 0x3fb8aa3b, v66
	v_fma_f32 v74, v66, s2, -v67
	v_rndne_f32_e32 v76, v67
	v_fmac_f32_e32 v74, 0x32a5705f, v66
	v_sub_f32_e32 v67, v67, v76
	v_add_f32_e32 v67, v67, v74
	v_cvt_i32_f32_e32 v76, v76
	v_exp_f32_e32 v67, v67
	s_mov_b32 s2, 0xc2ce8ed0
	v_cmp_ngt_f32_e64 s[2:3], s2, v66
	v_mov_b32_e32 v74, 0x7f800000
	v_ldexp_f32 v67, v67, v76
	v_cndmask_b32_e64 v67, 0, v67, s[2:3]
	v_cmp_nlt_f32_e64 s[2:3], s6, v66
	v_cndmask_b32_e64 v66, v74, v67, s[2:3]
	v_mul_f32_e32 v67, v77, v66
	ds_bpermute_b32 v67, v72, v67
	v_cmp_gt_u32_e64 s[2:3], 32, v68
	s_waitcnt lgkmcnt(0)
	v_fmac_f32_e32 v67, v77, v66
	s_and_saveexec_b64 s[8:9], s[2:3]
	s_cbranch_execz .LBB29_478
; %bb.477:
	v_mul_i32_i24_e32 v65, 0x110, v65
	v_add_u32_e32 v65, 0, v65
	ds_write_b64 v65, v[66:67] offset:256
.LBB29_478:
	s_or_b64 exec, exec, s[8:9]
	s_and_saveexec_b64 s[2:3], s[0:1]
	s_cbranch_execz .LBB29_480
; %bb.479:
	s_add_i32 s0, s34, s35
	s_lshl_b32 s0, s0, 6
	s_mov_b32 s1, 0
	s_lshl_b64 s[0:1], s[0:1], 3
	s_add_u32 s0, s26, s0
	v_or_b32_e32 v65, v230, v68
	s_addc_u32 s1, s27, s1
	v_lshlrev_b32_e32 v66, 3, v65
	v_mov_b32_e32 v65, v67
	global_store_dwordx2 v66, v[64:65], s[0:1]
.LBB29_480:
	s_or_b64 exec, exec, s[2:3]
.LBB29_481:
	s_or_b64 exec, exec, s[4:5]
	v_cvt_f16_f32_e32 v32, v32
	v_cvt_f16_f32_e32 v33, v33
	;; [unrolled: 1-line block ×8, first 2 shown]
	v_pack_b32_f16 v34, v34, v35
	v_pack_b32_f16 v33, v32, v33
	;; [unrolled: 1-line block ×4, first 2 shown]
	v_cvt_f16_f32_e32 v32, v40
	v_cvt_f16_f32_e32 v37, v41
	;; [unrolled: 1-line block ×8, first 2 shown]
	v_pack_b32_f16 v38, v38, v39
	v_pack_b32_f16 v37, v32, v37
	;; [unrolled: 1-line block ×4, first 2 shown]
	v_cvt_f16_f32_e32 v32, v48
	v_cvt_f16_f32_e32 v41, v49
	;; [unrolled: 1-line block ×8, first 2 shown]
	v_pack_b32_f16 v42, v42, v43
	v_pack_b32_f16 v41, v32, v41
	;; [unrolled: 1-line block ×3, first 2 shown]
	v_cvt_f16_f32_e32 v32, v56
	v_cvt_f16_f32_e32 v45, v57
	v_pack_b32_f16 v44, v44, v47
	v_cvt_f16_f32_e32 v46, v58
	v_cvt_f16_f32_e32 v47, v59
	;; [unrolled: 1-line block ×6, first 2 shown]
	v_pack_b32_f16 v45, v32, v45
	v_or_b32_e32 v32, v71, v69
	s_movk_i32 s0, 0x44
	s_lshl_b32 s2, s35, 13
	s_mov_b32 s3, 0
	v_mad_i32_i24 v32, v32, s0, v70
	s_lshl_b64 s[0:1], s[2:3], 3
	s_add_u32 s4, s26, s0
	s_addc_u32 s5, s27, s1
	v_lshl_add_u32 v32, v32, 2, 0
	v_pack_b32_f16 v46, v46, v47
	v_pack_b32_f16 v47, v49, v50
	;; [unrolled: 1-line block ×3, first 2 shown]
	ds_write2_b32 v32, v33, v34 offset1:1
	ds_write2_b32 v32, v36, v35 offset0:8 offset1:9
	ds_write2_b32 v32, v37, v38 offset0:16 offset1:17
	;; [unrolled: 1-line block ×7, first 2 shown]
	s_waitcnt lgkmcnt(0)
	s_barrier
	s_and_saveexec_b64 s[0:1], vcc
	s_cbranch_execz .LBB29_483
; %bb.482:
	v_bfe_u32 v33, v75, 1, 4
	s_movk_i32 s7, 0x3e0
	s_movk_i32 s6, 0x110
	v_and_or_b32 v34, v75, s7, v33
	v_mad_u32_u24 v36, v34, s6, 0
	v_lshlrev_b32_e32 v42, 2, v68
	v_add_u32_e32 v34, v36, v42
	ds_read2st64_b32 v[34:35], v34 offset1:17
	s_load_dword s2, s[56:57], 0x10
	ds_read2st64_b32 v[36:37], v36 offset0:1 offset1:18
	s_movk_i32 s7, 0x7e0
	v_lshlrev_b32_e32 v40, 6, v75
	s_waitcnt lgkmcnt(0)
	v_cvt_f32_f16_e32 v38, v34
	v_cvt_f32_f16_sdwa v39, v34 dst_sel:DWORD dst_unused:UNUSED_PAD src0_sel:WORD_1
	v_cvt_f32_f16_e32 v34, v35
	v_cvt_f32_f16_sdwa v35, v35 dst_sel:DWORD dst_unused:UNUSED_PAD src0_sel:WORD_1
	s_lshr_b32 s2, s2, 16
	s_cmp_lg_u32 s2, 0
	v_pk_fma_f32 v[38:39], v[36:37], v[38:39], 0 op_sel_hi:[0,1,0]
	v_mov_b32_e32 v36, v37
	s_cselect_b64 s[8:9], -1, 0
	v_pk_fma_f32 v[34:35], v[36:37], v[34:35], v[38:39] op_sel_hi:[0,1,1]
	v_add_u32_e32 v38, 4, v73
	s_cmp_lg_u64 s[8:9], 0
	v_lshlrev_b32_e32 v36, 1, v38
	v_and_b32_e32 v37, 15, v38
	s_addc_u32 s2, s34, 0
	v_and_or_b32 v36, v36, s7, v37
	s_lshl_b32 s2, s2, 7
	v_mad_u32_u24 v39, v36, s6, 0
	s_lshl_b64 s[2:3], s[2:3], 3
	v_add_u32_e32 v36, v39, v42
	s_add_u32 s2, s4, s2
	ds_read2st64_b32 v[36:37], v36 offset1:17
	s_addc_u32 s3, s5, s3
	v_add_lshl_u32 v40, v40, v68, 3
	v_add_u32_e32 v44, 8, v73
	global_store_dwordx2 v40, v[34:35], s[2:3]
	v_lshlrev_b32_e32 v40, 1, v44
	v_and_b32_e32 v41, 15, v44
	v_and_or_b32 v40, v40, s7, v41
	v_lshlrev_b32_e32 v38, 7, v38
	ds_read2st64_b32 v[34:35], v39 offset0:1 offset1:18
	v_mad_u32_u24 v45, v40, s6, 0
	v_add_lshl_u32 v43, v38, v68, 3
	s_waitcnt lgkmcnt(1)
	v_cvt_f32_f16_e32 v38, v36
	v_cvt_f32_f16_sdwa v39, v36 dst_sel:DWORD dst_unused:UNUSED_PAD src0_sel:WORD_1
	v_add_u32_e32 v40, v45, v42
	v_cvt_f32_f16_e32 v36, v37
	v_cvt_f32_f16_sdwa v37, v37 dst_sel:DWORD dst_unused:UNUSED_PAD src0_sel:WORD_1
	ds_read2st64_b32 v[40:41], v40 offset1:17
	s_waitcnt lgkmcnt(1)
	v_pk_fma_f32 v[38:39], v[34:35], v[38:39], 0 op_sel_hi:[0,1,0]
	v_mov_b32_e32 v34, v35
	v_pk_fma_f32 v[34:35], v[34:35], v[36:37], v[38:39] op_sel_hi:[0,1,1]
	ds_read2st64_b32 v[36:37], v45 offset0:1 offset1:18
	s_waitcnt lgkmcnt(1)
	v_cvt_f32_f16_e32 v38, v40
	v_cvt_f32_f16_sdwa v39, v40 dst_sel:DWORD dst_unused:UNUSED_PAD src0_sel:WORD_1
	global_store_dwordx2 v43, v[34:35], s[2:3]
	v_lshlrev_b32_e32 v34, 7, v44
	v_add_lshl_u32 v43, v34, v68, 3
	s_waitcnt lgkmcnt(0)
	v_pk_fma_f32 v[34:35], v[36:37], v[38:39], 0 op_sel_hi:[0,1,0]
	v_mov_b32_e32 v36, v37
	v_add_u32_e32 v37, 12, v73
	v_cvt_f32_f16_e32 v38, v41
	v_cvt_f32_f16_sdwa v39, v41 dst_sel:DWORD dst_unused:UNUSED_PAD src0_sel:WORD_1
	v_lshlrev_b32_e32 v40, 1, v37
	v_and_b32_e32 v41, 15, v37
	v_and_or_b32 v40, v40, s7, v41
	v_mad_u32_u24 v44, v40, s6, 0
	v_add_u32_e32 v40, v44, v42
	ds_read2st64_b32 v[40:41], v40 offset1:17
	v_pk_fma_f32 v[34:35], v[36:37], v[38:39], v[34:35] op_sel_hi:[0,1,1]
	global_store_dwordx2 v43, v[34:35], s[2:3]
	ds_read2st64_b32 v[34:35], v44 offset0:1 offset1:18
	v_lshlrev_b32_e32 v43, 7, v37
	s_waitcnt lgkmcnt(1)
	v_cvt_f32_f16_e32 v36, v40
	v_cvt_f32_f16_sdwa v37, v40 dst_sel:DWORD dst_unused:UNUSED_PAD src0_sel:WORD_1
	v_cvt_f32_f16_e32 v38, v41
	v_cvt_f32_f16_sdwa v39, v41 dst_sel:DWORD dst_unused:UNUSED_PAD src0_sel:WORD_1
	v_add_lshl_u32 v40, v43, v68, 3
	s_waitcnt lgkmcnt(0)
	v_pk_fma_f32 v[36:37], v[34:35], v[36:37], 0 op_sel_hi:[0,1,0]
	v_mov_b32_e32 v34, v35
	v_pk_fma_f32 v[34:35], v[34:35], v[38:39], v[36:37] op_sel_hi:[0,1,1]
	v_add_u32_e32 v38, 16, v73
	v_lshlrev_b32_e32 v36, 1, v38
	v_and_or_b32 v36, v36, s7, v33
	v_mad_u32_u24 v39, v36, s6, 0
	v_add_u32_e32 v36, v39, v42
	ds_read2st64_b32 v[36:37], v36 offset1:17
	v_add_u32_e32 v44, 20, v73
	global_store_dwordx2 v40, v[34:35], s[2:3]
	v_lshlrev_b32_e32 v40, 1, v44
	v_and_b32_e32 v41, 15, v44
	v_and_or_b32 v40, v40, s7, v41
	v_lshlrev_b32_e32 v38, 7, v38
	ds_read2st64_b32 v[34:35], v39 offset0:1 offset1:18
	v_mad_u32_u24 v45, v40, s6, 0
	v_add_lshl_u32 v43, v38, v68, 3
	s_waitcnt lgkmcnt(1)
	v_cvt_f32_f16_e32 v38, v36
	v_cvt_f32_f16_sdwa v39, v36 dst_sel:DWORD dst_unused:UNUSED_PAD src0_sel:WORD_1
	v_add_u32_e32 v40, v45, v42
	v_cvt_f32_f16_e32 v36, v37
	v_cvt_f32_f16_sdwa v37, v37 dst_sel:DWORD dst_unused:UNUSED_PAD src0_sel:WORD_1
	ds_read2st64_b32 v[40:41], v40 offset1:17
	s_waitcnt lgkmcnt(1)
	v_pk_fma_f32 v[38:39], v[34:35], v[38:39], 0 op_sel_hi:[0,1,0]
	v_mov_b32_e32 v34, v35
	v_pk_fma_f32 v[34:35], v[34:35], v[36:37], v[38:39] op_sel_hi:[0,1,1]
	ds_read2st64_b32 v[36:37], v45 offset0:1 offset1:18
	s_waitcnt lgkmcnt(1)
	v_cvt_f32_f16_e32 v38, v40
	v_cvt_f32_f16_sdwa v39, v40 dst_sel:DWORD dst_unused:UNUSED_PAD src0_sel:WORD_1
	global_store_dwordx2 v43, v[34:35], s[2:3]
	v_lshlrev_b32_e32 v34, 7, v44
	v_add_lshl_u32 v43, v34, v68, 3
	s_waitcnt lgkmcnt(0)
	v_pk_fma_f32 v[34:35], v[36:37], v[38:39], 0 op_sel_hi:[0,1,0]
	v_mov_b32_e32 v36, v37
	v_add_u32_e32 v37, 24, v73
	v_cvt_f32_f16_e32 v38, v41
	v_cvt_f32_f16_sdwa v39, v41 dst_sel:DWORD dst_unused:UNUSED_PAD src0_sel:WORD_1
	v_lshlrev_b32_e32 v40, 1, v37
	v_and_b32_e32 v41, 15, v37
	v_and_or_b32 v40, v40, s7, v41
	v_mad_u32_u24 v44, v40, s6, 0
	v_add_u32_e32 v40, v44, v42
	ds_read2st64_b32 v[40:41], v40 offset1:17
	v_pk_fma_f32 v[34:35], v[36:37], v[38:39], v[34:35] op_sel_hi:[0,1,1]
	global_store_dwordx2 v43, v[34:35], s[2:3]
	ds_read2st64_b32 v[34:35], v44 offset0:1 offset1:18
	v_lshlrev_b32_e32 v43, 7, v37
	s_waitcnt lgkmcnt(1)
	v_cvt_f32_f16_e32 v36, v40
	v_cvt_f32_f16_sdwa v37, v40 dst_sel:DWORD dst_unused:UNUSED_PAD src0_sel:WORD_1
	v_cvt_f32_f16_e32 v38, v41
	v_cvt_f32_f16_sdwa v39, v41 dst_sel:DWORD dst_unused:UNUSED_PAD src0_sel:WORD_1
	v_add_lshl_u32 v40, v43, v68, 3
	s_waitcnt lgkmcnt(0)
	v_pk_fma_f32 v[36:37], v[34:35], v[36:37], 0 op_sel_hi:[0,1,0]
	v_mov_b32_e32 v34, v35
	v_pk_fma_f32 v[34:35], v[34:35], v[38:39], v[36:37] op_sel_hi:[0,1,1]
	v_add_u32_e32 v38, 28, v73
	v_lshlrev_b32_e32 v36, 1, v38
	v_and_b32_e32 v37, 15, v38
	v_and_or_b32 v36, v36, s7, v37
	v_mad_u32_u24 v39, v36, s6, 0
	v_add_u32_e32 v36, v39, v42
	ds_read2st64_b32 v[36:37], v36 offset1:17
	v_add_u32_e32 v44, 32, v73
	global_store_dwordx2 v40, v[34:35], s[2:3]
	v_lshlrev_b32_e32 v40, 1, v44
	v_and_or_b32 v40, v40, s7, v33
	v_lshlrev_b32_e32 v38, 7, v38
	ds_read2st64_b32 v[34:35], v39 offset0:1 offset1:18
	v_mad_u32_u24 v45, v40, s6, 0
	v_add_lshl_u32 v43, v38, v68, 3
	s_waitcnt lgkmcnt(1)
	v_cvt_f32_f16_e32 v38, v36
	v_cvt_f32_f16_sdwa v39, v36 dst_sel:DWORD dst_unused:UNUSED_PAD src0_sel:WORD_1
	v_add_u32_e32 v40, v45, v42
	v_cvt_f32_f16_e32 v36, v37
	v_cvt_f32_f16_sdwa v37, v37 dst_sel:DWORD dst_unused:UNUSED_PAD src0_sel:WORD_1
	ds_read2st64_b32 v[40:41], v40 offset1:17
	s_waitcnt lgkmcnt(1)
	v_pk_fma_f32 v[38:39], v[34:35], v[38:39], 0 op_sel_hi:[0,1,0]
	v_mov_b32_e32 v34, v35
	v_pk_fma_f32 v[34:35], v[34:35], v[36:37], v[38:39] op_sel_hi:[0,1,1]
	ds_read2st64_b32 v[36:37], v45 offset0:1 offset1:18
	s_waitcnt lgkmcnt(1)
	v_cvt_f32_f16_e32 v38, v40
	v_cvt_f32_f16_sdwa v39, v40 dst_sel:DWORD dst_unused:UNUSED_PAD src0_sel:WORD_1
	global_store_dwordx2 v43, v[34:35], s[2:3]
	v_lshlrev_b32_e32 v34, 7, v44
	v_add_lshl_u32 v43, v34, v68, 3
	s_waitcnt lgkmcnt(0)
	v_pk_fma_f32 v[34:35], v[36:37], v[38:39], 0 op_sel_hi:[0,1,0]
	v_mov_b32_e32 v36, v37
	v_add_u32_e32 v37, 36, v73
	v_cvt_f32_f16_e32 v38, v41
	v_cvt_f32_f16_sdwa v39, v41 dst_sel:DWORD dst_unused:UNUSED_PAD src0_sel:WORD_1
	v_lshlrev_b32_e32 v40, 1, v37
	v_and_b32_e32 v41, 15, v37
	v_and_or_b32 v40, v40, s7, v41
	v_mad_u32_u24 v44, v40, s6, 0
	v_add_u32_e32 v40, v44, v42
	ds_read2st64_b32 v[40:41], v40 offset1:17
	v_pk_fma_f32 v[34:35], v[36:37], v[38:39], v[34:35] op_sel_hi:[0,1,1]
	global_store_dwordx2 v43, v[34:35], s[2:3]
	ds_read2st64_b32 v[34:35], v44 offset0:1 offset1:18
	v_lshlrev_b32_e32 v43, 7, v37
	s_waitcnt lgkmcnt(1)
	v_cvt_f32_f16_e32 v36, v40
	v_cvt_f32_f16_sdwa v37, v40 dst_sel:DWORD dst_unused:UNUSED_PAD src0_sel:WORD_1
	v_cvt_f32_f16_e32 v38, v41
	v_cvt_f32_f16_sdwa v39, v41 dst_sel:DWORD dst_unused:UNUSED_PAD src0_sel:WORD_1
	v_add_lshl_u32 v40, v43, v68, 3
	s_waitcnt lgkmcnt(0)
	v_pk_fma_f32 v[36:37], v[34:35], v[36:37], 0 op_sel_hi:[0,1,0]
	v_mov_b32_e32 v34, v35
	v_pk_fma_f32 v[34:35], v[34:35], v[38:39], v[36:37] op_sel_hi:[0,1,1]
	v_add_u32_e32 v38, 40, v73
	v_lshlrev_b32_e32 v36, 1, v38
	v_and_b32_e32 v37, 15, v38
	v_and_or_b32 v36, v36, s7, v37
	v_mad_u32_u24 v39, v36, s6, 0
	v_add_u32_e32 v36, v39, v42
	ds_read2st64_b32 v[36:37], v36 offset1:17
	v_add_u32_e32 v44, 44, v73
	global_store_dwordx2 v40, v[34:35], s[2:3]
	v_lshlrev_b32_e32 v40, 1, v44
	v_and_b32_e32 v41, 15, v44
	v_and_or_b32 v40, v40, s7, v41
	v_lshlrev_b32_e32 v38, 7, v38
	ds_read2st64_b32 v[34:35], v39 offset0:1 offset1:18
	v_mad_u32_u24 v45, v40, s6, 0
	v_add_lshl_u32 v43, v38, v68, 3
	s_waitcnt lgkmcnt(1)
	v_cvt_f32_f16_e32 v38, v36
	v_cvt_f32_f16_sdwa v39, v36 dst_sel:DWORD dst_unused:UNUSED_PAD src0_sel:WORD_1
	v_add_u32_e32 v40, v45, v42
	v_cvt_f32_f16_e32 v36, v37
	v_cvt_f32_f16_sdwa v37, v37 dst_sel:DWORD dst_unused:UNUSED_PAD src0_sel:WORD_1
	ds_read2st64_b32 v[40:41], v40 offset1:17
	s_waitcnt lgkmcnt(1)
	v_pk_fma_f32 v[38:39], v[34:35], v[38:39], 0 op_sel_hi:[0,1,0]
	v_mov_b32_e32 v34, v35
	v_pk_fma_f32 v[34:35], v[34:35], v[36:37], v[38:39] op_sel_hi:[0,1,1]
	ds_read2st64_b32 v[36:37], v45 offset0:1 offset1:18
	s_waitcnt lgkmcnt(1)
	v_cvt_f32_f16_e32 v38, v40
	v_cvt_f32_f16_sdwa v39, v40 dst_sel:DWORD dst_unused:UNUSED_PAD src0_sel:WORD_1
	global_store_dwordx2 v43, v[34:35], s[2:3]
	v_lshlrev_b32_e32 v34, 7, v44
	v_add_lshl_u32 v43, v34, v68, 3
	s_waitcnt lgkmcnt(0)
	v_pk_fma_f32 v[34:35], v[36:37], v[38:39], 0 op_sel_hi:[0,1,0]
	v_mov_b32_e32 v36, v37
	v_add_u32_e32 v37, 48, v73
	v_lshlrev_b32_e32 v40, 1, v37
	v_and_or_b32 v33, v40, s7, v33
	v_mad_u32_u24 v33, v33, s6, 0
	v_cvt_f32_f16_e32 v38, v41
	v_cvt_f32_f16_sdwa v39, v41 dst_sel:DWORD dst_unused:UNUSED_PAD src0_sel:WORD_1
	v_add_u32_e32 v40, v33, v42
	ds_read2st64_b32 v[40:41], v40 offset1:17
	v_pk_fma_f32 v[34:35], v[36:37], v[38:39], v[34:35] op_sel_hi:[0,1,1]
	global_store_dwordx2 v43, v[34:35], s[2:3]
	ds_read2st64_b32 v[34:35], v33 offset0:1 offset1:18
	v_lshlrev_b32_e32 v43, 7, v37
	s_waitcnt lgkmcnt(1)
	v_cvt_f32_f16_e32 v36, v40
	v_cvt_f32_f16_sdwa v37, v40 dst_sel:DWORD dst_unused:UNUSED_PAD src0_sel:WORD_1
	v_cvt_f32_f16_e32 v38, v41
	v_cvt_f32_f16_sdwa v39, v41 dst_sel:DWORD dst_unused:UNUSED_PAD src0_sel:WORD_1
	v_add_lshl_u32 v33, v43, v68, 3
	s_waitcnt lgkmcnt(0)
	v_pk_fma_f32 v[36:37], v[34:35], v[36:37], 0 op_sel_hi:[0,1,0]
	v_mov_b32_e32 v34, v35
	v_pk_fma_f32 v[34:35], v[34:35], v[38:39], v[36:37] op_sel_hi:[0,1,1]
	v_add_u32_e32 v38, 52, v73
	v_lshlrev_b32_e32 v36, 1, v38
	v_and_b32_e32 v37, 15, v38
	v_and_or_b32 v36, v36, s7, v37
	v_mad_u32_u24 v39, v36, s6, 0
	v_add_u32_e32 v36, v39, v42
	ds_read2st64_b32 v[36:37], v36 offset1:17
	v_add_u32_e32 v43, 56, v73
	v_lshlrev_b32_e32 v40, 1, v43
	v_and_b32_e32 v41, 15, v43
	v_and_or_b32 v40, v40, s7, v41
	global_store_dwordx2 v33, v[34:35], s[2:3]
	ds_read2st64_b32 v[34:35], v39 offset0:1 offset1:18
	v_mad_u32_u24 v44, v40, s6, 0
	v_lshlrev_b32_e32 v33, 7, v38
	s_waitcnt lgkmcnt(1)
	v_cvt_f32_f16_e32 v38, v36
	v_cvt_f32_f16_sdwa v39, v36 dst_sel:DWORD dst_unused:UNUSED_PAD src0_sel:WORD_1
	v_add_u32_e32 v40, v44, v42
	v_cvt_f32_f16_e32 v36, v37
	v_cvt_f32_f16_sdwa v37, v37 dst_sel:DWORD dst_unused:UNUSED_PAD src0_sel:WORD_1
	ds_read2st64_b32 v[40:41], v40 offset1:17
	s_waitcnt lgkmcnt(1)
	v_pk_fma_f32 v[38:39], v[34:35], v[38:39], 0 op_sel_hi:[0,1,0]
	v_mov_b32_e32 v34, v35
	v_pk_fma_f32 v[34:35], v[34:35], v[36:37], v[38:39] op_sel_hi:[0,1,1]
	ds_read2st64_b32 v[36:37], v44 offset0:1 offset1:18
	s_waitcnt lgkmcnt(1)
	v_cvt_f32_f16_e32 v38, v40
	v_cvt_f32_f16_sdwa v39, v40 dst_sel:DWORD dst_unused:UNUSED_PAD src0_sel:WORD_1
	v_add_lshl_u32 v33, v33, v68, 3
	global_store_dwordx2 v33, v[34:35], s[2:3]
	v_lshlrev_b32_e32 v33, 7, v43
	s_waitcnt lgkmcnt(0)
	v_pk_fma_f32 v[34:35], v[36:37], v[38:39], 0 op_sel_hi:[0,1,0]
	v_mov_b32_e32 v36, v37
	v_add_u32_e32 v37, 60, v73
	v_cvt_f32_f16_e32 v38, v41
	v_cvt_f32_f16_sdwa v39, v41 dst_sel:DWORD dst_unused:UNUSED_PAD src0_sel:WORD_1
	v_lshlrev_b32_e32 v40, 1, v37
	v_and_b32_e32 v41, 15, v37
	v_and_or_b32 v40, v40, s7, v41
	v_mad_u32_u24 v43, v40, s6, 0
	v_add_u32_e32 v40, v43, v42
	ds_read2st64_b32 v[40:41], v40 offset1:17
	v_add_lshl_u32 v33, v33, v68, 3
	v_pk_fma_f32 v[34:35], v[36:37], v[38:39], v[34:35] op_sel_hi:[0,1,1]
	global_store_dwordx2 v33, v[34:35], s[2:3]
	ds_read2st64_b32 v[34:35], v43 offset0:1 offset1:18
	v_lshlrev_b32_e32 v33, 7, v37
	s_waitcnt lgkmcnt(1)
	v_cvt_f32_f16_e32 v36, v40
	v_cvt_f32_f16_sdwa v37, v40 dst_sel:DWORD dst_unused:UNUSED_PAD src0_sel:WORD_1
	v_cvt_f32_f16_e32 v38, v41
	v_cvt_f32_f16_sdwa v39, v41 dst_sel:DWORD dst_unused:UNUSED_PAD src0_sel:WORD_1
	v_add_lshl_u32 v33, v33, v68, 3
	s_waitcnt lgkmcnt(0)
	v_pk_fma_f32 v[36:37], v[34:35], v[36:37], 0 op_sel_hi:[0,1,0]
	v_mov_b32_e32 v34, v35
	v_pk_fma_f32 v[34:35], v[34:35], v[38:39], v[36:37] op_sel_hi:[0,1,1]
	global_store_dwordx2 v33, v[34:35], s[2:3]
.LBB29_483:
	s_or_b64 exec, exec, s[0:1]
	v_cvt_f16_f32_e32 v0, v0
	v_cvt_f16_f32_e32 v1, v1
	v_cvt_f16_f32_e32 v2, v2
	v_cvt_f16_f32_e32 v3, v3
	v_cvt_f16_f32_e32 v4, v4
	v_cvt_f16_f32_e32 v6, v6
	v_cvt_f16_f32_e32 v7, v7
	v_cvt_f16_f32_e32 v5, v5
	v_pack_b32_f16 v2, v2, v3
	v_pack_b32_f16 v0, v0, v1
	v_pack_b32_f16 v1, v6, v7
	v_pack_b32_f16 v3, v4, v5
	v_cvt_f16_f32_e32 v4, v8
	v_cvt_f16_f32_e32 v5, v9
	v_cvt_f16_f32_e32 v6, v10
	v_cvt_f16_f32_e32 v7, v11
	v_cvt_f16_f32_e32 v8, v12
	v_cvt_f16_f32_e32 v9, v14
	v_cvt_f16_f32_e32 v10, v15
	v_cvt_f16_f32_e32 v11, v13
	v_pack_b32_f16 v6, v6, v7
	v_pack_b32_f16 v4, v4, v5
	v_pack_b32_f16 v5, v9, v10
	v_pack_b32_f16 v7, v8, v11
	;; [unrolled: 12-line block ×4, first 2 shown]
	s_barrier
	ds_write2_b32 v32, v0, v2 offset1:1
	ds_write2_b32 v32, v3, v1 offset0:8 offset1:9
	ds_write2_b32 v32, v4, v6 offset0:16 offset1:17
	;; [unrolled: 1-line block ×7, first 2 shown]
	s_waitcnt lgkmcnt(0)
	s_barrier
	s_and_saveexec_b64 s[0:1], vcc
	s_cbranch_execz .LBB29_485
; %bb.484:
	s_load_dword s2, s[56:57], 0x10
	v_bfe_u32 v8, v75, 1, 4
	s_movk_i32 s6, 0x3e0
	v_and_or_b32 v0, v75, s6, v8
	v_lshlrev_b32_e32 v9, 2, v68
	s_waitcnt lgkmcnt(0)
	s_lshr_b32 s2, s2, 16
	s_cmp_lg_u32 s2, 0
	s_cselect_b64 s[6:7], -1, 0
	s_cmp_lg_u64 s[6:7], 0
	s_movk_i32 s6, 0x110
	v_mad_u32_u24 v2, v0, s6, 0
	v_add_u32_e32 v0, v2, v9
	ds_read2st64_b32 v[0:1], v0 offset1:17
	ds_read2st64_b32 v[2:3], v2 offset0:1 offset1:18
	s_addc_u32 s2, s34, 0
	s_mov_b32 s3, 0
	s_lshl_b32 s2, s2, 7
	s_waitcnt lgkmcnt(1)
	v_cvt_f32_f16_e32 v4, v0
	v_cvt_f32_f16_sdwa v5, v0 dst_sel:DWORD dst_unused:UNUSED_PAD src0_sel:WORD_1
	v_cvt_f32_f16_e32 v0, v1
	v_cvt_f32_f16_sdwa v1, v1 dst_sel:DWORD dst_unused:UNUSED_PAD src0_sel:WORD_1
	s_lshl_b64 s[2:3], s[2:3], 3
	s_waitcnt lgkmcnt(0)
	v_pk_fma_f32 v[4:5], v[2:3], v[4:5], 0 op_sel_hi:[0,1,0]
	v_mov_b32_e32 v2, v3
	v_pk_fma_f32 v[0:1], v[2:3], v[0:1], v[4:5] op_sel_hi:[0,1,1]
	v_add_u32_e32 v4, 4, v73
	s_add_u32 s2, s4, s2
	v_lshlrev_b32_e32 v2, 1, v4
	v_and_b32_e32 v3, 15, v4
	s_movk_i32 s4, 0x7e0
	v_and_or_b32 v2, v2, s4, v3
	v_mad_u32_u24 v5, v2, s6, 0
	v_add_u32_e32 v2, v5, v9
	v_lshlrev_b32_e32 v6, 6, v75
	ds_read2st64_b32 v[2:3], v2 offset1:17
	s_addc_u32 s3, s5, s3
	v_add_lshl_u32 v6, v68, v6, 3
	v_add_u32_e32 v11, 8, v73
	global_store_dwordx2 v6, v[0:1], s[2:3] offset:512
	v_lshlrev_b32_e32 v6, 1, v11
	v_and_b32_e32 v7, 15, v11
	v_and_or_b32 v6, v6, s4, v7
	v_lshlrev_b32_e32 v4, 7, v4
	ds_read2st64_b32 v[0:1], v5 offset0:1 offset1:18
	v_mad_u32_u24 v12, v6, s6, 0
	v_add_lshl_u32 v10, v68, v4, 3
	s_waitcnt lgkmcnt(1)
	v_cvt_f32_f16_e32 v4, v2
	v_cvt_f32_f16_sdwa v5, v2 dst_sel:DWORD dst_unused:UNUSED_PAD src0_sel:WORD_1
	v_add_u32_e32 v6, v12, v9
	v_cvt_f32_f16_e32 v2, v3
	v_cvt_f32_f16_sdwa v3, v3 dst_sel:DWORD dst_unused:UNUSED_PAD src0_sel:WORD_1
	ds_read2st64_b32 v[6:7], v6 offset1:17
	s_waitcnt lgkmcnt(1)
	v_pk_fma_f32 v[4:5], v[0:1], v[4:5], 0 op_sel_hi:[0,1,0]
	v_mov_b32_e32 v0, v1
	v_pk_fma_f32 v[0:1], v[0:1], v[2:3], v[4:5] op_sel_hi:[0,1,1]
	ds_read2st64_b32 v[2:3], v12 offset0:1 offset1:18
	s_waitcnt lgkmcnt(1)
	v_cvt_f32_f16_e32 v4, v6
	v_cvt_f32_f16_sdwa v5, v6 dst_sel:DWORD dst_unused:UNUSED_PAD src0_sel:WORD_1
	global_store_dwordx2 v10, v[0:1], s[2:3] offset:512
	v_lshlrev_b32_e32 v0, 7, v11
	v_add_lshl_u32 v10, v68, v0, 3
	s_waitcnt lgkmcnt(0)
	v_pk_fma_f32 v[0:1], v[2:3], v[4:5], 0 op_sel_hi:[0,1,0]
	v_mov_b32_e32 v2, v3
	v_add_u32_e32 v3, 12, v73
	v_cvt_f32_f16_e32 v4, v7
	v_cvt_f32_f16_sdwa v5, v7 dst_sel:DWORD dst_unused:UNUSED_PAD src0_sel:WORD_1
	v_lshlrev_b32_e32 v6, 1, v3
	v_and_b32_e32 v7, 15, v3
	v_and_or_b32 v6, v6, s4, v7
	v_mad_u32_u24 v11, v6, s6, 0
	v_add_u32_e32 v6, v11, v9
	ds_read2st64_b32 v[6:7], v6 offset1:17
	v_pk_fma_f32 v[0:1], v[2:3], v[4:5], v[0:1] op_sel_hi:[0,1,1]
	global_store_dwordx2 v10, v[0:1], s[2:3] offset:512
	ds_read2st64_b32 v[0:1], v11 offset0:1 offset1:18
	v_lshlrev_b32_e32 v10, 7, v3
	s_waitcnt lgkmcnt(1)
	v_cvt_f32_f16_e32 v2, v6
	v_cvt_f32_f16_sdwa v3, v6 dst_sel:DWORD dst_unused:UNUSED_PAD src0_sel:WORD_1
	v_cvt_f32_f16_e32 v4, v7
	v_cvt_f32_f16_sdwa v5, v7 dst_sel:DWORD dst_unused:UNUSED_PAD src0_sel:WORD_1
	v_add_lshl_u32 v6, v68, v10, 3
	s_waitcnt lgkmcnt(0)
	v_pk_fma_f32 v[2:3], v[0:1], v[2:3], 0 op_sel_hi:[0,1,0]
	v_mov_b32_e32 v0, v1
	v_pk_fma_f32 v[0:1], v[0:1], v[4:5], v[2:3] op_sel_hi:[0,1,1]
	v_add_u32_e32 v4, 16, v73
	v_lshlrev_b32_e32 v2, 1, v4
	v_and_or_b32 v2, v2, s4, v8
	v_mad_u32_u24 v5, v2, s6, 0
	v_add_u32_e32 v2, v5, v9
	ds_read2st64_b32 v[2:3], v2 offset1:17
	v_add_u32_e32 v11, 20, v73
	global_store_dwordx2 v6, v[0:1], s[2:3] offset:512
	v_lshlrev_b32_e32 v6, 1, v11
	v_and_b32_e32 v7, 15, v11
	v_and_or_b32 v6, v6, s4, v7
	v_lshlrev_b32_e32 v4, 7, v4
	ds_read2st64_b32 v[0:1], v5 offset0:1 offset1:18
	v_mad_u32_u24 v12, v6, s6, 0
	v_add_lshl_u32 v10, v68, v4, 3
	s_waitcnt lgkmcnt(1)
	v_cvt_f32_f16_e32 v4, v2
	v_cvt_f32_f16_sdwa v5, v2 dst_sel:DWORD dst_unused:UNUSED_PAD src0_sel:WORD_1
	v_add_u32_e32 v6, v12, v9
	v_cvt_f32_f16_e32 v2, v3
	v_cvt_f32_f16_sdwa v3, v3 dst_sel:DWORD dst_unused:UNUSED_PAD src0_sel:WORD_1
	ds_read2st64_b32 v[6:7], v6 offset1:17
	s_waitcnt lgkmcnt(1)
	v_pk_fma_f32 v[4:5], v[0:1], v[4:5], 0 op_sel_hi:[0,1,0]
	v_mov_b32_e32 v0, v1
	v_pk_fma_f32 v[0:1], v[0:1], v[2:3], v[4:5] op_sel_hi:[0,1,1]
	ds_read2st64_b32 v[2:3], v12 offset0:1 offset1:18
	s_waitcnt lgkmcnt(1)
	v_cvt_f32_f16_e32 v4, v6
	v_cvt_f32_f16_sdwa v5, v6 dst_sel:DWORD dst_unused:UNUSED_PAD src0_sel:WORD_1
	global_store_dwordx2 v10, v[0:1], s[2:3] offset:512
	v_lshlrev_b32_e32 v0, 7, v11
	v_add_lshl_u32 v10, v68, v0, 3
	s_waitcnt lgkmcnt(0)
	v_pk_fma_f32 v[0:1], v[2:3], v[4:5], 0 op_sel_hi:[0,1,0]
	v_mov_b32_e32 v2, v3
	v_add_u32_e32 v3, 24, v73
	v_cvt_f32_f16_e32 v4, v7
	v_cvt_f32_f16_sdwa v5, v7 dst_sel:DWORD dst_unused:UNUSED_PAD src0_sel:WORD_1
	v_lshlrev_b32_e32 v6, 1, v3
	v_and_b32_e32 v7, 15, v3
	v_and_or_b32 v6, v6, s4, v7
	v_mad_u32_u24 v11, v6, s6, 0
	v_add_u32_e32 v6, v11, v9
	ds_read2st64_b32 v[6:7], v6 offset1:17
	v_pk_fma_f32 v[0:1], v[2:3], v[4:5], v[0:1] op_sel_hi:[0,1,1]
	global_store_dwordx2 v10, v[0:1], s[2:3] offset:512
	ds_read2st64_b32 v[0:1], v11 offset0:1 offset1:18
	v_lshlrev_b32_e32 v10, 7, v3
	s_waitcnt lgkmcnt(1)
	v_cvt_f32_f16_e32 v2, v6
	v_cvt_f32_f16_sdwa v3, v6 dst_sel:DWORD dst_unused:UNUSED_PAD src0_sel:WORD_1
	v_cvt_f32_f16_e32 v4, v7
	v_cvt_f32_f16_sdwa v5, v7 dst_sel:DWORD dst_unused:UNUSED_PAD src0_sel:WORD_1
	v_add_lshl_u32 v6, v68, v10, 3
	s_waitcnt lgkmcnt(0)
	v_pk_fma_f32 v[2:3], v[0:1], v[2:3], 0 op_sel_hi:[0,1,0]
	v_mov_b32_e32 v0, v1
	v_pk_fma_f32 v[0:1], v[0:1], v[4:5], v[2:3] op_sel_hi:[0,1,1]
	v_add_u32_e32 v4, 28, v73
	v_lshlrev_b32_e32 v2, 1, v4
	v_and_b32_e32 v3, 15, v4
	v_and_or_b32 v2, v2, s4, v3
	v_mad_u32_u24 v5, v2, s6, 0
	v_add_u32_e32 v2, v5, v9
	ds_read2st64_b32 v[2:3], v2 offset1:17
	v_add_u32_e32 v11, 32, v73
	global_store_dwordx2 v6, v[0:1], s[2:3] offset:512
	v_lshlrev_b32_e32 v6, 1, v11
	v_and_or_b32 v6, v6, s4, v8
	v_lshlrev_b32_e32 v4, 7, v4
	ds_read2st64_b32 v[0:1], v5 offset0:1 offset1:18
	v_mad_u32_u24 v12, v6, s6, 0
	v_add_lshl_u32 v10, v68, v4, 3
	s_waitcnt lgkmcnt(1)
	v_cvt_f32_f16_e32 v4, v2
	v_cvt_f32_f16_sdwa v5, v2 dst_sel:DWORD dst_unused:UNUSED_PAD src0_sel:WORD_1
	v_add_u32_e32 v6, v12, v9
	v_cvt_f32_f16_e32 v2, v3
	v_cvt_f32_f16_sdwa v3, v3 dst_sel:DWORD dst_unused:UNUSED_PAD src0_sel:WORD_1
	ds_read2st64_b32 v[6:7], v6 offset1:17
	s_waitcnt lgkmcnt(1)
	v_pk_fma_f32 v[4:5], v[0:1], v[4:5], 0 op_sel_hi:[0,1,0]
	v_mov_b32_e32 v0, v1
	v_pk_fma_f32 v[0:1], v[0:1], v[2:3], v[4:5] op_sel_hi:[0,1,1]
	ds_read2st64_b32 v[2:3], v12 offset0:1 offset1:18
	s_waitcnt lgkmcnt(1)
	v_cvt_f32_f16_e32 v4, v6
	v_cvt_f32_f16_sdwa v5, v6 dst_sel:DWORD dst_unused:UNUSED_PAD src0_sel:WORD_1
	global_store_dwordx2 v10, v[0:1], s[2:3] offset:512
	v_lshlrev_b32_e32 v0, 7, v11
	v_add_lshl_u32 v10, v68, v0, 3
	s_waitcnt lgkmcnt(0)
	v_pk_fma_f32 v[0:1], v[2:3], v[4:5], 0 op_sel_hi:[0,1,0]
	v_mov_b32_e32 v2, v3
	v_add_u32_e32 v3, 36, v73
	v_cvt_f32_f16_e32 v4, v7
	v_cvt_f32_f16_sdwa v5, v7 dst_sel:DWORD dst_unused:UNUSED_PAD src0_sel:WORD_1
	v_lshlrev_b32_e32 v6, 1, v3
	v_and_b32_e32 v7, 15, v3
	v_and_or_b32 v6, v6, s4, v7
	v_mad_u32_u24 v11, v6, s6, 0
	v_add_u32_e32 v6, v11, v9
	ds_read2st64_b32 v[6:7], v6 offset1:17
	v_pk_fma_f32 v[0:1], v[2:3], v[4:5], v[0:1] op_sel_hi:[0,1,1]
	global_store_dwordx2 v10, v[0:1], s[2:3] offset:512
	ds_read2st64_b32 v[0:1], v11 offset0:1 offset1:18
	v_lshlrev_b32_e32 v10, 7, v3
	s_waitcnt lgkmcnt(1)
	v_cvt_f32_f16_e32 v2, v6
	v_cvt_f32_f16_sdwa v3, v6 dst_sel:DWORD dst_unused:UNUSED_PAD src0_sel:WORD_1
	v_cvt_f32_f16_e32 v4, v7
	v_cvt_f32_f16_sdwa v5, v7 dst_sel:DWORD dst_unused:UNUSED_PAD src0_sel:WORD_1
	v_add_lshl_u32 v6, v68, v10, 3
	s_waitcnt lgkmcnt(0)
	v_pk_fma_f32 v[2:3], v[0:1], v[2:3], 0 op_sel_hi:[0,1,0]
	v_mov_b32_e32 v0, v1
	v_pk_fma_f32 v[0:1], v[0:1], v[4:5], v[2:3] op_sel_hi:[0,1,1]
	v_add_u32_e32 v4, 40, v73
	v_lshlrev_b32_e32 v2, 1, v4
	v_and_b32_e32 v3, 15, v4
	v_and_or_b32 v2, v2, s4, v3
	v_mad_u32_u24 v5, v2, s6, 0
	v_add_u32_e32 v2, v5, v9
	ds_read2st64_b32 v[2:3], v2 offset1:17
	v_add_u32_e32 v11, 44, v73
	global_store_dwordx2 v6, v[0:1], s[2:3] offset:512
	v_lshlrev_b32_e32 v6, 1, v11
	v_and_b32_e32 v7, 15, v11
	v_and_or_b32 v6, v6, s4, v7
	v_lshlrev_b32_e32 v4, 7, v4
	ds_read2st64_b32 v[0:1], v5 offset0:1 offset1:18
	v_mad_u32_u24 v12, v6, s6, 0
	v_add_lshl_u32 v10, v68, v4, 3
	s_waitcnt lgkmcnt(1)
	v_cvt_f32_f16_e32 v4, v2
	v_cvt_f32_f16_sdwa v5, v2 dst_sel:DWORD dst_unused:UNUSED_PAD src0_sel:WORD_1
	v_add_u32_e32 v6, v12, v9
	v_cvt_f32_f16_e32 v2, v3
	v_cvt_f32_f16_sdwa v3, v3 dst_sel:DWORD dst_unused:UNUSED_PAD src0_sel:WORD_1
	ds_read2st64_b32 v[6:7], v6 offset1:17
	s_waitcnt lgkmcnt(1)
	v_pk_fma_f32 v[4:5], v[0:1], v[4:5], 0 op_sel_hi:[0,1,0]
	v_mov_b32_e32 v0, v1
	v_pk_fma_f32 v[0:1], v[0:1], v[2:3], v[4:5] op_sel_hi:[0,1,1]
	ds_read2st64_b32 v[2:3], v12 offset0:1 offset1:18
	s_waitcnt lgkmcnt(1)
	v_cvt_f32_f16_e32 v4, v6
	v_cvt_f32_f16_sdwa v5, v6 dst_sel:DWORD dst_unused:UNUSED_PAD src0_sel:WORD_1
	global_store_dwordx2 v10, v[0:1], s[2:3] offset:512
	v_lshlrev_b32_e32 v0, 7, v11
	v_add_lshl_u32 v10, v68, v0, 3
	s_waitcnt lgkmcnt(0)
	v_pk_fma_f32 v[0:1], v[2:3], v[4:5], 0 op_sel_hi:[0,1,0]
	v_mov_b32_e32 v2, v3
	v_add_u32_e32 v3, 48, v73
	v_lshlrev_b32_e32 v6, 1, v3
	v_and_or_b32 v6, v6, s4, v8
	v_mad_u32_u24 v8, v6, s6, 0
	v_cvt_f32_f16_e32 v4, v7
	v_cvt_f32_f16_sdwa v5, v7 dst_sel:DWORD dst_unused:UNUSED_PAD src0_sel:WORD_1
	v_add_u32_e32 v6, v8, v9
	ds_read2st64_b32 v[6:7], v6 offset1:17
	v_pk_fma_f32 v[0:1], v[2:3], v[4:5], v[0:1] op_sel_hi:[0,1,1]
	global_store_dwordx2 v10, v[0:1], s[2:3] offset:512
	ds_read2st64_b32 v[0:1], v8 offset0:1 offset1:18
	v_lshlrev_b32_e32 v10, 7, v3
	s_waitcnt lgkmcnt(1)
	v_cvt_f32_f16_e32 v2, v6
	v_cvt_f32_f16_sdwa v3, v6 dst_sel:DWORD dst_unused:UNUSED_PAD src0_sel:WORD_1
	v_cvt_f32_f16_e32 v4, v7
	v_cvt_f32_f16_sdwa v5, v7 dst_sel:DWORD dst_unused:UNUSED_PAD src0_sel:WORD_1
	v_add_lshl_u32 v6, v68, v10, 3
	s_waitcnt lgkmcnt(0)
	v_pk_fma_f32 v[2:3], v[0:1], v[2:3], 0 op_sel_hi:[0,1,0]
	v_mov_b32_e32 v0, v1
	v_pk_fma_f32 v[0:1], v[0:1], v[4:5], v[2:3] op_sel_hi:[0,1,1]
	v_add_u32_e32 v4, 52, v73
	v_lshlrev_b32_e32 v2, 1, v4
	v_and_b32_e32 v3, 15, v4
	v_and_or_b32 v2, v2, s4, v3
	v_mad_u32_u24 v5, v2, s6, 0
	v_add_u32_e32 v2, v5, v9
	ds_read2st64_b32 v[2:3], v2 offset1:17
	v_add_u32_e32 v10, 56, v73
	global_store_dwordx2 v6, v[0:1], s[2:3] offset:512
	v_lshlrev_b32_e32 v6, 1, v10
	v_and_b32_e32 v7, 15, v10
	v_and_or_b32 v6, v6, s4, v7
	v_lshlrev_b32_e32 v4, 7, v4
	ds_read2st64_b32 v[0:1], v5 offset0:1 offset1:18
	v_mad_u32_u24 v11, v6, s6, 0
	v_add_lshl_u32 v8, v68, v4, 3
	s_waitcnt lgkmcnt(1)
	v_cvt_f32_f16_e32 v4, v2
	v_cvt_f32_f16_sdwa v5, v2 dst_sel:DWORD dst_unused:UNUSED_PAD src0_sel:WORD_1
	v_add_u32_e32 v6, v11, v9
	v_cvt_f32_f16_e32 v2, v3
	v_cvt_f32_f16_sdwa v3, v3 dst_sel:DWORD dst_unused:UNUSED_PAD src0_sel:WORD_1
	ds_read2st64_b32 v[6:7], v6 offset1:17
	s_waitcnt lgkmcnt(1)
	v_pk_fma_f32 v[4:5], v[0:1], v[4:5], 0 op_sel_hi:[0,1,0]
	v_mov_b32_e32 v0, v1
	v_pk_fma_f32 v[0:1], v[0:1], v[2:3], v[4:5] op_sel_hi:[0,1,1]
	ds_read2st64_b32 v[2:3], v11 offset0:1 offset1:18
	s_waitcnt lgkmcnt(1)
	v_cvt_f32_f16_e32 v4, v6
	v_cvt_f32_f16_sdwa v5, v6 dst_sel:DWORD dst_unused:UNUSED_PAD src0_sel:WORD_1
	global_store_dwordx2 v8, v[0:1], s[2:3] offset:512
	v_lshlrev_b32_e32 v0, 7, v10
	v_add_lshl_u32 v8, v68, v0, 3
	s_waitcnt lgkmcnt(0)
	v_pk_fma_f32 v[0:1], v[2:3], v[4:5], 0 op_sel_hi:[0,1,0]
	v_mov_b32_e32 v2, v3
	v_add_u32_e32 v3, 60, v73
	v_cvt_f32_f16_e32 v4, v7
	v_cvt_f32_f16_sdwa v5, v7 dst_sel:DWORD dst_unused:UNUSED_PAD src0_sel:WORD_1
	v_lshlrev_b32_e32 v6, 1, v3
	v_and_b32_e32 v7, 15, v3
	v_and_or_b32 v6, v6, s4, v7
	v_mad_u32_u24 v10, v6, s6, 0
	v_add_u32_e32 v6, v10, v9
	ds_read2st64_b32 v[6:7], v6 offset1:17
	v_pk_fma_f32 v[0:1], v[2:3], v[4:5], v[0:1] op_sel_hi:[0,1,1]
	global_store_dwordx2 v8, v[0:1], s[2:3] offset:512
	ds_read2st64_b32 v[0:1], v10 offset0:1 offset1:18
	v_lshlrev_b32_e32 v8, 7, v3
	s_waitcnt lgkmcnt(1)
	v_cvt_f32_f16_e32 v2, v6
	v_cvt_f32_f16_sdwa v3, v6 dst_sel:DWORD dst_unused:UNUSED_PAD src0_sel:WORD_1
	v_cvt_f32_f16_e32 v4, v7
	v_cvt_f32_f16_sdwa v5, v7 dst_sel:DWORD dst_unused:UNUSED_PAD src0_sel:WORD_1
	v_add_lshl_u32 v6, v68, v8, 3
	s_waitcnt lgkmcnt(0)
	v_pk_fma_f32 v[2:3], v[0:1], v[2:3], 0 op_sel_hi:[0,1,0]
	v_mov_b32_e32 v0, v1
	v_pk_fma_f32 v[0:1], v[0:1], v[4:5], v[2:3] op_sel_hi:[0,1,1]
	global_store_dwordx2 v6, v[0:1], s[2:3] offset:512
.LBB29_485:
	s_or_b64 exec, exec, s[0:1]
	s_barrier
	s_endpgm
	.section	.rodata,"a",@progbits
	.p2align	6, 0x0
	.amdhsa_kernel _ZL18flash_attn_ext_f16ILi256ELi256ELi16ELi4ELb0ELb0EEvPKcS1_S1_S1_S1_PKiPfP15HIP_vector_typeIfLj2EEffffjfiS5_IjLj3EEiiiiiiiiiiiliiliiiiil
		.amdhsa_group_segment_fixed_size 0
		.amdhsa_private_segment_fixed_size 256
		.amdhsa_kernarg_size 464
		.amdhsa_user_sgpr_count 6
		.amdhsa_user_sgpr_private_segment_buffer 1
		.amdhsa_user_sgpr_dispatch_ptr 0
		.amdhsa_user_sgpr_queue_ptr 0
		.amdhsa_user_sgpr_kernarg_segment_ptr 1
		.amdhsa_user_sgpr_dispatch_id 0
		.amdhsa_user_sgpr_flat_scratch_init 0
		.amdhsa_user_sgpr_kernarg_preload_length 0
		.amdhsa_user_sgpr_kernarg_preload_offset 0
		.amdhsa_user_sgpr_private_segment_size 0
		.amdhsa_uses_dynamic_stack 0
		.amdhsa_system_sgpr_private_segment_wavefront_offset 1
		.amdhsa_system_sgpr_workgroup_id_x 1
		.amdhsa_system_sgpr_workgroup_id_y 0
		.amdhsa_system_sgpr_workgroup_id_z 0
		.amdhsa_system_sgpr_workgroup_info 0
		.amdhsa_system_vgpr_workitem_id 1
		.amdhsa_next_free_vgpr 256
		.amdhsa_next_free_sgpr 100
		.amdhsa_accum_offset 256
		.amdhsa_reserve_vcc 1
		.amdhsa_reserve_flat_scratch 0
		.amdhsa_float_round_mode_32 0
		.amdhsa_float_round_mode_16_64 0
		.amdhsa_float_denorm_mode_32 3
		.amdhsa_float_denorm_mode_16_64 3
		.amdhsa_dx10_clamp 1
		.amdhsa_ieee_mode 1
		.amdhsa_fp16_overflow 0
		.amdhsa_tg_split 0
		.amdhsa_exception_fp_ieee_invalid_op 0
		.amdhsa_exception_fp_denorm_src 0
		.amdhsa_exception_fp_ieee_div_zero 0
		.amdhsa_exception_fp_ieee_overflow 0
		.amdhsa_exception_fp_ieee_underflow 0
		.amdhsa_exception_fp_ieee_inexact 0
		.amdhsa_exception_int_div_zero 0
	.end_amdhsa_kernel
	.section	.text._ZL18flash_attn_ext_f16ILi256ELi256ELi16ELi4ELb0ELb0EEvPKcS1_S1_S1_S1_PKiPfP15HIP_vector_typeIfLj2EEffffjfiS5_IjLj3EEiiiiiiiiiiiliiliiiiil,"axG",@progbits,_ZL18flash_attn_ext_f16ILi256ELi256ELi16ELi4ELb0ELb0EEvPKcS1_S1_S1_S1_PKiPfP15HIP_vector_typeIfLj2EEffffjfiS5_IjLj3EEiiiiiiiiiiiliiliiiiil,comdat
.Lfunc_end29:
	.size	_ZL18flash_attn_ext_f16ILi256ELi256ELi16ELi4ELb0ELb0EEvPKcS1_S1_S1_S1_PKiPfP15HIP_vector_typeIfLj2EEffffjfiS5_IjLj3EEiiiiiiiiiiiliiliiiiil, .Lfunc_end29-_ZL18flash_attn_ext_f16ILi256ELi256ELi16ELi4ELb0ELb0EEvPKcS1_S1_S1_S1_PKiPfP15HIP_vector_typeIfLj2EEffffjfiS5_IjLj3EEiiiiiiiiiiiliiliiiiil
                                        ; -- End function
	.section	.AMDGPU.csdata,"",@progbits
; Kernel info:
; codeLenInByte = 77024
; NumSgprs: 104
; NumVgprs: 256
; NumAgprs: 0
; TotalNumVgprs: 256
; ScratchSize: 256
; MemoryBound: 0
; FloatMode: 240
; IeeeMode: 1
; LDSByteSize: 0 bytes/workgroup (compile time only)
; SGPRBlocks: 12
; VGPRBlocks: 31
; NumSGPRsForWavesPerEU: 104
; NumVGPRsForWavesPerEU: 256
; AccumOffset: 256
; Occupancy: 2
; WaveLimiterHint : 1
; COMPUTE_PGM_RSRC2:SCRATCH_EN: 1
; COMPUTE_PGM_RSRC2:USER_SGPR: 6
; COMPUTE_PGM_RSRC2:TRAP_HANDLER: 0
; COMPUTE_PGM_RSRC2:TGID_X_EN: 1
; COMPUTE_PGM_RSRC2:TGID_Y_EN: 0
; COMPUTE_PGM_RSRC2:TGID_Z_EN: 0
; COMPUTE_PGM_RSRC2:TIDIG_COMP_CNT: 1
; COMPUTE_PGM_RSRC3_GFX90A:ACCUM_OFFSET: 63
; COMPUTE_PGM_RSRC3_GFX90A:TG_SPLIT: 0
	.section	.text._ZL18flash_attn_ext_f16ILi256ELi256ELi16ELi4ELb1ELb0EEvPKcS1_S1_S1_S1_PKiPfP15HIP_vector_typeIfLj2EEffffjfiS5_IjLj3EEiiiiiiiiiiiliiliiiiil,"axG",@progbits,_ZL18flash_attn_ext_f16ILi256ELi256ELi16ELi4ELb1ELb0EEvPKcS1_S1_S1_S1_PKiPfP15HIP_vector_typeIfLj2EEffffjfiS5_IjLj3EEiiiiiiiiiiiliiliiiiil,comdat
	.globl	_ZL18flash_attn_ext_f16ILi256ELi256ELi16ELi4ELb1ELb0EEvPKcS1_S1_S1_S1_PKiPfP15HIP_vector_typeIfLj2EEffffjfiS5_IjLj3EEiiiiiiiiiiiliiliiiiil ; -- Begin function _ZL18flash_attn_ext_f16ILi256ELi256ELi16ELi4ELb1ELb0EEvPKcS1_S1_S1_S1_PKiPfP15HIP_vector_typeIfLj2EEffffjfiS5_IjLj3EEiiiiiiiiiiiliiliiiiil
	.p2align	8
	.type	_ZL18flash_attn_ext_f16ILi256ELi256ELi16ELi4ELb1ELb0EEvPKcS1_S1_S1_S1_PKiPfP15HIP_vector_typeIfLj2EEffffjfiS5_IjLj3EEiiiiiiiiiiiliiliiiiil,@function
_ZL18flash_attn_ext_f16ILi256ELi256ELi16ELi4ELb1ELb0EEvPKcS1_S1_S1_S1_PKiPfP15HIP_vector_typeIfLj2EEffffjfiS5_IjLj3EEiiiiiiiiiiiliiliiiiil: ; @_ZL18flash_attn_ext_f16ILi256ELi256ELi16ELi4ELb1ELb0EEvPKcS1_S1_S1_S1_PKiPfP15HIP_vector_typeIfLj2EEffffjfiS5_IjLj3EEiiiiiiiiiiiliiliiiiil
; %bb.0:
	s_mov_b64 s[98:99], s[2:3]
	s_mov_b64 s[96:97], s[0:1]
	s_load_dwordx2 s[2:3], s[4:5], 0x80
	s_load_dwordx4 s[28:31], s[4:5], 0x64
	s_add_u32 s96, s96, s7
	s_addc_u32 s97, s97, 0
	v_mov_b32_e32 v4, v0
	s_waitcnt lgkmcnt(0)
	s_abs_i32 s1, s3
	v_cvt_f32_u32_e32 v0, s1
	s_sub_i32 s8, 0, s1
	s_abs_i32 s7, s29
	s_mov_b32 s35, s6
	v_rcp_iflag_f32_e32 v0, v0
	s_xor_b32 s6, s29, s3
	s_ashr_i32 s6, s6, 31
                                        ; implicit-def: $vgpr255 : SGPR spill to VGPR lane
	s_load_dword s34, s[4:5], 0xd0
	v_mul_f32_e32 v0, 0x4f7ffffe, v0
	v_cvt_u32_f32_e32 v0, v0
	s_mov_b32 s0, 0
	v_cvt_f32_ubyte0_e32 v2, 0
	v_readfirstlane_b32 s9, v0
	s_mul_i32 s8, s8, s9
	s_mul_hi_u32 s8, s9, s8
	s_add_i32 s9, s9, s8
	s_mul_hi_u32 s8, s7, s9
	s_mul_i32 s9, s8, s1
	s_sub_i32 s7, s7, s9
	s_add_i32 s10, s8, 1
	s_sub_i32 s9, s7, s1
	s_cmp_ge_u32 s7, s1
	s_cselect_b32 s8, s10, s8
	s_cselect_b32 s7, s9, s7
	s_add_i32 s9, s8, 1
	s_cmp_ge_u32 s7, s1
	s_cselect_b32 s1, s9, s8
	s_add_i32 s2, s2, 63
	s_xor_b32 s1, s1, s6
	s_ashr_i32 s7, s2, 31
	s_sub_i32 s82, s1, s6
	s_lshr_b32 s1, s7, 26
	s_add_i32 s2, s2, s1
	s_add_i32 s1, s28, 15
	s_lshr_b32 s6, s1, 4
	s_add_i32 s1, s82, 3
	s_ashr_i32 s87, s2, 6
	s_ashr_i32 s2, s1, 31
	s_lshr_b32 s2, s2, 30
	s_add_i32 s1, s1, s2
	s_ashr_i32 s1, s1, 2
	v_writelane_b32 v255, s6, 0
	s_mul_i32 s2, s6, s87
	v_writelane_b32 v255, s2, 1
	s_mul_i32 s1, s2, s1
	;; [unrolled: 2-line block ×3, first 2 shown]
	s_mul_i32 s6, s1, s30
	s_ashr_i32 s7, s6, 31
	v_writelane_b32 v255, s1, 3
	s_mul_i32 s1, s7, s35
	s_mul_hi_u32 s2, s6, s35
	s_add_i32 s1, s2, s1
	s_waitcnt lgkmcnt(0)
	v_cvt_f32_u32_e32 v0, s34
	s_add_u32 s54, s4, 0xd0
	s_addc_u32 s55, s5, 0
	s_mul_i32 s8, s6, s35
	s_cmp_lg_u64 s[0:1], 0
	s_cbranch_scc0 .LBB30_2
; %bb.1:
	v_madmk_f32 v1, v2, 0x4f800000, v0
	v_rcp_f32_e32 v1, v1
	s_sub_u32 s0, 0, s34
	s_subb_u32 s9, 0, 0
	s_mov_b64 s[2:3], 0
	v_mul_f32_e32 v1, 0x5f7ffffc, v1
	v_mul_f32_e32 v3, 0x2f800000, v1
	v_trunc_f32_e32 v3, v3
	v_madmk_f32 v1, v3, 0xcf800000, v1
	v_cvt_u32_f32_e32 v3, v3
	v_cvt_u32_f32_e32 v1, v1
	v_readfirstlane_b32 s10, v3
	v_readfirstlane_b32 s11, v1
	s_mul_hi_u32 s13, s0, s11
	s_mul_i32 s14, s0, s10
	s_mul_i32 s12, s9, s11
	s_add_i32 s13, s13, s14
	s_add_i32 s13, s13, s12
	s_mul_i32 s15, s0, s11
	s_mul_hi_u32 s12, s11, s13
	s_mul_i32 s14, s11, s13
	s_mul_hi_u32 s11, s11, s15
	s_add_u32 s11, s11, s14
	s_addc_u32 s12, 0, s12
	s_mul_hi_u32 s16, s10, s15
	s_mul_i32 s15, s10, s15
	s_add_u32 s11, s11, s15
	s_mul_hi_u32 s14, s10, s13
	s_addc_u32 s11, s12, s16
	s_addc_u32 s12, s14, 0
	s_mul_i32 s13, s10, s13
	s_add_u32 s11, s11, s13
	s_addc_u32 s12, 0, s12
	v_add_co_u32_e32 v1, vcc, s11, v1
	s_cmp_lg_u64 vcc, 0
	s_addc_u32 s10, s10, s12
	v_readfirstlane_b32 s12, v1
	s_mul_i32 s11, s0, s10
	s_mul_hi_u32 s13, s0, s12
	s_add_i32 s11, s13, s11
	s_mul_i32 s9, s9, s12
	s_add_i32 s11, s11, s9
	s_mul_i32 s0, s0, s12
	s_mul_hi_u32 s13, s10, s0
	s_mul_i32 s14, s10, s0
	s_mul_i32 s16, s12, s11
	s_mul_hi_u32 s0, s12, s0
	s_mul_hi_u32 s15, s12, s11
	s_add_u32 s0, s0, s16
	s_addc_u32 s12, 0, s15
	s_add_u32 s0, s0, s14
	s_mul_hi_u32 s9, s10, s11
	s_addc_u32 s0, s12, s13
	s_addc_u32 s9, s9, 0
	s_mul_i32 s11, s10, s11
	s_add_u32 s0, s0, s11
	s_addc_u32 s9, 0, s9
	v_add_co_u32_e32 v1, vcc, s0, v1
	s_cmp_lg_u64 vcc, 0
	s_addc_u32 s9, s10, s9
	s_ashr_i32 s10, s1, 31
	s_add_u32 s0, s8, s10
	s_mov_b32 s11, s10
	s_addc_u32 s1, s1, s10
	s_xor_b64 s[0:1], s[0:1], s[10:11]
	v_readfirstlane_b32 s14, v1
	s_mul_i32 s13, s0, s9
	s_mul_hi_u32 s15, s0, s14
	s_mul_hi_u32 s12, s0, s9
	s_add_u32 s13, s15, s13
	s_addc_u32 s12, 0, s12
	s_mul_hi_u32 s16, s1, s14
	s_mul_i32 s14, s1, s14
	s_add_u32 s13, s13, s14
	s_mul_hi_u32 s15, s1, s9
	s_addc_u32 s12, s12, s16
	s_addc_u32 s13, s15, 0
	s_mul_i32 s9, s1, s9
	s_add_u32 s9, s12, s9
	s_addc_u32 s12, 0, s13
	s_add_u32 s13, s9, 1
	s_addc_u32 s14, s12, 0
	s_add_u32 s15, s9, 2
	s_mul_i32 s17, s34, s12
	s_mul_hi_u32 s18, s34, s9
	s_addc_u32 s16, s12, 0
	s_add_i32 s18, s18, s17
	s_mul_i32 s17, s34, s9
	v_mov_b32_e32 v1, s17
	v_sub_co_u32_e32 v1, vcc, s0, v1
	s_cmp_lg_u64 vcc, 0
	s_subb_u32 s0, s1, s18
	v_subrev_co_u32_e32 v3, vcc, s34, v1
	s_cmp_lg_u64 vcc, 0
	s_subb_u32 s1, s0, 0
	v_readfirstlane_b32 s17, v3
	s_cmp_ge_u32 s17, s34
	s_cselect_b32 s17, -1, 0
	s_cmp_eq_u32 s1, 0
	s_cselect_b32 s1, s17, -1
	s_cmp_lg_u32 s1, 0
	s_cselect_b32 s1, s16, s14
	v_readfirstlane_b32 s14, v1
	s_cselect_b32 s13, s15, s13
	s_cmp_ge_u32 s14, s34
	s_cselect_b32 s14, -1, 0
	s_cmp_eq_u32 s0, 0
	s_cselect_b32 s0, s14, -1
	s_cmp_lg_u32 s0, 0
	s_cselect_b32 s1, s1, s12
	s_cselect_b32 s0, s13, s9
	s_xor_b64 s[0:1], s[0:1], s[10:11]
	s_sub_u32 s56, s0, s10
	s_branch .LBB30_3
.LBB30_2:
	s_mov_b64 s[2:3], -1
                                        ; implicit-def: $sgpr56_sgpr57
.LBB30_3:
	s_load_dwordx2 s[0:1], s[4:5], 0x74
	v_cvt_f32_u32_e32 v1, s34
	s_andn2_b64 vcc, exec, s[2:3]
	s_waitcnt lgkmcnt(0)
	v_writelane_b32 v255, s0, 4
	v_writelane_b32 v255, s1, 5
	s_cbranch_vccnz .LBB30_5
; %bb.4:
	v_rcp_iflag_f32_e32 v3, v1
	s_sub_i32 s0, 0, s34
	v_mul_f32_e32 v3, 0x4f7ffffe, v3
	v_cvt_u32_f32_e32 v3, v3
	v_readfirstlane_b32 s1, v3
	s_mul_i32 s0, s0, s1
	s_mul_hi_u32 s0, s1, s0
	s_add_i32 s1, s1, s0
	s_mul_hi_u32 s0, s8, s1
	s_mul_i32 s2, s0, s34
	s_sub_i32 s2, s8, s2
	s_add_i32 s1, s0, 1
	s_sub_i32 s3, s2, s34
	s_cmp_ge_u32 s2, s34
	s_cselect_b32 s0, s1, s0
	s_cselect_b32 s2, s3, s2
	s_add_i32 s1, s0, 1
	s_cmp_ge_u32 s2, s34
	s_cselect_b32 s56, s1, s0
.LBB30_5:
	s_add_i32 s0, s35, 1
	s_mul_i32 s1, s7, s0
	s_mul_hi_u32 s2, s6, s0
	s_add_i32 s3, s2, s1
	s_mov_b32 s2, 0
	s_cmp_lg_u64 s[2:3], 0
	s_mul_i32 s2, s6, s0
	s_cbranch_scc0 .LBB30_596
; %bb.6:
	v_madmk_f32 v0, v2, 0x4f800000, v0
	v_rcp_f32_e32 v0, v0
	s_sub_u32 s6, 0, s34
	s_subb_u32 s7, 0, 0
	v_mul_f32_e32 v0, 0x5f7ffffc, v0
	v_mul_f32_e32 v2, 0x2f800000, v0
	v_trunc_f32_e32 v2, v2
	v_madmk_f32 v0, v2, 0xcf800000, v0
	v_cvt_u32_f32_e32 v2, v2
	v_cvt_u32_f32_e32 v0, v0
	v_readfirstlane_b32 s8, v2
	v_readfirstlane_b32 s9, v0
	s_mul_hi_u32 s11, s6, s9
	s_mul_i32 s12, s6, s8
	s_mul_i32 s10, s7, s9
	s_add_i32 s11, s11, s12
	s_add_i32 s11, s11, s10
	s_mul_i32 s13, s6, s9
	s_mul_hi_u32 s10, s9, s11
	s_mul_i32 s12, s9, s11
	s_mul_hi_u32 s9, s9, s13
	s_add_u32 s9, s9, s12
	s_addc_u32 s10, 0, s10
	s_mul_hi_u32 s14, s8, s13
	s_mul_i32 s13, s8, s13
	s_add_u32 s9, s9, s13
	s_mul_hi_u32 s12, s8, s11
	s_addc_u32 s9, s10, s14
	s_addc_u32 s10, s12, 0
	s_mul_i32 s11, s8, s11
	s_add_u32 s9, s9, s11
	s_addc_u32 s10, 0, s10
	v_add_co_u32_e32 v0, vcc, s9, v0
	s_cmp_lg_u64 vcc, 0
	s_addc_u32 s8, s8, s10
	v_readfirstlane_b32 s10, v0
	s_mul_i32 s9, s6, s8
	s_mul_hi_u32 s11, s6, s10
	s_add_i32 s9, s11, s9
	s_mul_i32 s7, s7, s10
	s_add_i32 s9, s9, s7
	s_mul_i32 s6, s6, s10
	s_mul_hi_u32 s11, s8, s6
	s_mul_i32 s12, s8, s6
	s_mul_i32 s14, s10, s9
	s_mul_hi_u32 s6, s10, s6
	s_mul_hi_u32 s13, s10, s9
	s_add_u32 s6, s6, s14
	s_addc_u32 s10, 0, s13
	s_add_u32 s6, s6, s12
	s_mul_hi_u32 s7, s8, s9
	s_addc_u32 s6, s10, s11
	s_addc_u32 s7, s7, 0
	s_mul_i32 s9, s8, s9
	s_add_u32 s6, s6, s9
	s_addc_u32 s7, 0, s7
	v_add_co_u32_e32 v0, vcc, s6, v0
	s_cmp_lg_u64 vcc, 0
	s_addc_u32 s10, s8, s7
	s_ashr_i32 s6, s3, 31
	s_add_u32 s8, s2, s6
	s_mov_b32 s7, s6
	s_addc_u32 s9, s3, s6
	s_xor_b64 s[8:9], s[8:9], s[6:7]
	v_readfirstlane_b32 s12, v0
	s_mul_i32 s11, s8, s10
	s_mul_hi_u32 s13, s8, s12
	s_mul_hi_u32 s3, s8, s10
	s_add_u32 s11, s13, s11
	s_addc_u32 s3, 0, s3
	s_mul_hi_u32 s14, s9, s12
	s_mul_i32 s12, s9, s12
	s_add_u32 s11, s11, s12
	s_mul_hi_u32 s13, s9, s10
	s_addc_u32 s3, s3, s14
	s_addc_u32 s11, s13, 0
	s_mul_i32 s10, s9, s10
	s_add_u32 s3, s3, s10
	s_addc_u32 s10, 0, s11
	s_add_u32 s11, s3, 1
	s_addc_u32 s12, s10, 0
	s_add_u32 s13, s3, 2
	s_mul_i32 s15, s34, s10
	s_mul_hi_u32 s16, s34, s3
	s_addc_u32 s14, s10, 0
	s_add_i32 s16, s16, s15
	s_mul_i32 s15, s34, s3
	v_mov_b32_e32 v0, s15
	v_sub_co_u32_e32 v0, vcc, s8, v0
	s_cmp_lg_u64 vcc, 0
	s_subb_u32 s8, s9, s16
	v_subrev_co_u32_e32 v2, vcc, s34, v0
	s_cmp_lg_u64 vcc, 0
	s_subb_u32 s9, s8, 0
	v_readfirstlane_b32 s15, v2
	s_cmp_ge_u32 s15, s34
	s_cselect_b32 s15, -1, 0
	s_cmp_eq_u32 s9, 0
	s_cselect_b32 s9, s15, -1
	s_cmp_lg_u32 s9, 0
	s_cselect_b32 s9, s14, s12
	v_readfirstlane_b32 s12, v0
	s_cselect_b32 s11, s13, s11
	s_cmp_ge_u32 s12, s34
	s_cselect_b32 s12, -1, 0
	s_cmp_eq_u32 s8, 0
	s_cselect_b32 s8, s12, -1
	s_cmp_lg_u32 s8, 0
	s_cselect_b32 s9, s9, s10
	s_cselect_b32 s8, s11, s3
	s_xor_b64 s[8:9], s[8:9], s[6:7]
	s_sub_u32 s60, s8, s6
	s_load_dwordx2 s[46:47], s[4:5], 0x5c
	s_cbranch_execnz .LBB30_8
.LBB30_7:
	v_rcp_iflag_f32_e32 v0, v1
	s_sub_i32 s0, 0, s34
	v_mul_f32_e32 v0, 0x4f7ffffe, v0
	v_cvt_u32_f32_e32 v0, v0
	v_readfirstlane_b32 s1, v0
	s_mul_i32 s0, s0, s1
	s_mul_hi_u32 s0, s1, s0
	s_add_i32 s1, s1, s0
	s_mul_hi_u32 s0, s2, s1
	s_mul_i32 s3, s0, s34
	s_sub_i32 s2, s2, s3
	s_add_i32 s1, s0, 1
	s_sub_i32 s3, s2, s34
	s_cmp_ge_u32 s2, s34
	s_cselect_b32 s0, s1, s0
	s_cselect_b32 s2, s3, s2
	s_add_i32 s1, s0, 1
	s_cmp_ge_u32 s2, s34
	s_cselect_b32 s60, s1, s0
.LBB30_8:
	s_abs_i32 s61, s87
	v_cvt_f32_u32_e32 v0, s61
	v_readlane_b32 s2, v255, 4
	s_load_dwordx16 s[12:27], s[4:5], 0x0
	s_load_dword s6, s[4:5], 0x40
	s_load_dword s40, s[4:5], 0x54
	s_load_dwordx2 s[0:1], s[4:5], 0x8c
	s_load_dwordx4 s[36:39], s[4:5], 0x98
	s_load_dwordx2 s[48:49], s[4:5], 0xa8
	s_load_dwordx2 s[10:11], s[4:5], 0xb8
	;; [unrolled: 1-line block ×3, first 2 shown]
	s_ashr_i32 s33, s31, 3
	v_rcp_iflag_f32_e32 v0, v0
	s_ashr_i32 s31, s2, 3
	s_sub_i32 s2, 0, s61
	v_readlane_b32 s3, v255, 5
	v_mul_f32_e32 v0, 0x4f7ffffe, v0
	v_cvt_u32_f32_e32 v0, v0
	s_waitcnt lgkmcnt(0)
	v_writelane_b32 v255, s0, 6
	v_writelane_b32 v255, s1, 7
	s_ashr_i32 s1, s87, 31
	v_readfirstlane_b32 s52, v0
	s_mul_i32 s2, s2, s52
	s_mul_hi_u32 s2, s52, s2
	v_writelane_b32 v255, s1, 8
	s_abs_i32 s1, s56
	s_add_i32 s52, s52, s2
	s_mul_hi_u32 s2, s1, s52
	s_mul_i32 s2, s2, s61
	s_sub_i32 s1, s1, s2
	s_ashr_i32 s42, s0, 2
	s_ashr_i32 s44, s11, 1
	s_ashr_i32 s30, s38, 2
	s_ashr_i32 s0, s56, 31
	s_sub_i32 s2, s1, s61
	s_cmp_ge_u32 s1, s61
	s_cselect_b32 s1, s2, s1
	s_sub_i32 s2, s1, s61
	s_cmp_ge_u32 s1, s61
	s_cselect_b32 s1, s2, s1
	s_xor_b32 s1, s1, s0
	s_sub_i32 s78, s1, s0
	s_sub_i32 s0, s60, s56
	s_add_i32 s2, s0, s78
	s_min_i32 s65, s87, s2
	s_cmp_gt_i32 s60, s56
	s_cselect_b64 s[8:9], -1, 0
	s_cmp_le_i32 s60, s56
	v_cvt_f16_f32_e32 v0, s6
	s_cselect_b64 s[0:1], -1, 0
	s_cmp_gt_i32 s87, s2
	s_cselect_b64 s[2:3], -1, 0
	s_or_b64 s[0:1], s[2:3], s[0:1]
	v_bfe_u32 v79, v4, 10, 10
	s_mov_b32 s63, 0
	s_and_b64 vcc, exec, s[0:1]
	v_pack_b32_f16 v85, v0, v0
	v_lshlrev_b32_e32 v245, 3, v79
	v_and_b32_e32 v246, 1, v79
	v_lshrrev_b32_e32 v77, 1, v79
	v_and_b32_e32 v87, 3, v79
	v_lshrrev_b32_e32 v94, 2, v79
	v_add_u32_e32 v69, 8, v79
	v_add_u32_e32 v67, 16, v79
	;; [unrolled: 1-line block ×7, first 2 shown]
	s_cbranch_vccz .LBB30_11
; %bb.9:
	s_andn2_b64 vcc, exec, s[8:9]
	s_cbranch_vccz .LBB30_560
.LBB30_10:
	s_endpgm
.LBB30_11:
	v_and_b32_e32 v95, 0x3ff, v4
	v_writelane_b32 v255, s54, 9
	v_lshrrev_b32_e32 v1, 3, v95
	v_writelane_b32 v255, s55, 10
	s_cmp_eq_u64 s[20:21], 0
	buffer_store_dword v4, off, s[96:99], 0 offset:108 ; 4-byte Folded Spill
	v_and_b32_e32 v4, 15, v95
	v_and_b32_e32 v5, 62, v1
	v_writelane_b32 v255, s34, 11
	s_cselect_b64 s[0:1], -1, 0
	v_mul_u32_u24_e32 v0, 0x210, v4
	v_lshlrev_b32_e32 v1, 2, v5
	v_writelane_b32 v255, s0, 12
	s_cmp_lg_u64 s[22:23], 0
	v_add3_u32 v6, 0, v0, v1
	v_lshrrev_b32_e32 v0, 5, v95
	v_writelane_b32 v255, s1, 13
	s_cselect_b64 s[0:1], -1, 0
	v_lshl_add_u32 v97, v79, 1, v0
	v_lshlrev_b32_e32 v0, 2, v95
	v_writelane_b32 v255, s0, 14
	v_and_b32_e32 v2, 0x7c, v0
	v_lshlrev_b32_e32 v0, 4, v79
	v_writelane_b32 v255, s1, 15
	v_and_b32_e32 v3, 0xff0, v245
	s_movk_i32 s0, 0x210
	v_and_b32_e32 v7, 16, v0
	s_movk_i32 s1, 0x90
	v_mad_u32_u24 v96, v3, s0, v6
	v_mad_u32_u24 v1, v97, s1, 0
	v_mul_u32_u24_e32 v8, 0x180, v97
	v_lshlrev_b32_e32 v9, 2, v2
	v_mad_u32_u24 v99, v7, s0, v6
	v_lshrrev_b32_e32 v6, 2, v95
	v_add3_u32 v98, v1, v8, v9
	v_and_b32_e32 v8, 0x7c, v6
	v_and_or_b32 v3, v95, 12, v3
	v_add_u32_e32 v9, v8, v7
	v_lshrrev_b32_e32 v3, 2, v3
	v_add_u16_e32 v7, v8, v7
	v_mad_u32_u24 v3, v3, s1, 0
	v_lshrrev_b16_e32 v7, 1, v7
	v_lshl_add_u32 v100, v7, 2, v3
	v_lshl_add_u32 v3, v9, 1, v3
	v_and_b32_e32 v7, 8, v245
	v_mul_u32_u24_e32 v9, 0x108, v8
	s_movk_i32 s1, 0x420
	v_or_b32_e32 v9, v9, v4
	v_mul_u32_u24_e32 v10, 0x210, v8
	v_or_b32_e32 v6, 3, v6
	v_mul_u32_u24_e32 v11, 0x420, v7
	v_mad_u32_u24 v12, v7, s1, 0
	v_lshlrev_b32_e32 v13, 1, v4
	v_mul_u32_u24_e32 v6, 0x210, v6
	v_lshlrev_b32_e32 v9, 1, v9
	v_add3_u32 v102, v12, v10, v13
	v_add3_u32 v10, 0, 32, v11
	v_add_u32_e32 v101, v12, v9
	v_add3_u32 v103, v12, v6, v13
	v_add_u32_e32 v104, v10, v9
	v_mad_u32_u24 v12, v8, s0, v10
	v_add3_u32 v105, v10, v6, v13
	v_add3_u32 v10, 0, 64, v11
	s_add_i32 s2, 0, 0x60
	v_add_u32_e32 v106, v10, v9
	v_mad_u32_u24 v11, v8, s0, v10
	v_add3_u32 v107, v10, v6, v13
	v_mov_b32_e32 v10, s2
	v_mad_u32_u24 v10, v7, s1, v10
	s_add_i32 s2, 0, 0x80
	v_add_u32_e32 v108, v10, v9
	v_mad_u32_u24 v14, v8, s0, v10
	v_add3_u32 v109, v10, v6, v13
	v_mov_b32_e32 v10, s2
	v_mad_u32_u24 v10, v7, s1, v10
	;; [unrolled: 6-line block ×3, first 2 shown]
	s_add_i32 s2, 0, 0xc0
	v_add_u32_e32 v112, v10, v9
	v_mad_u32_u24 v16, v8, s0, v10
	v_add3_u32 v113, v10, v6, v13
	v_mov_b32_e32 v10, s2
	s_add_i32 s2, 0, 0xe0
	v_mov_b32_e32 v17, s2
	s_add_i32 s2, 0, 0x100
	;; [unrolled: 2-line block ×9, first 2 shown]
	v_mov_b32_e32 v25, s2
	v_mad_u32_u24 v10, v7, s1, v10
	v_mad_u32_u24 v17, v7, s1, v17
	;; [unrolled: 1-line block ×10, first 2 shown]
	v_add_u32_e32 v114, v10, v9
	v_mad_u32_u24 v25, v8, s0, v10
	v_add3_u32 v115, v10, v6, v13
	v_add_u32_e32 v116, v17, v9
	v_mad_u32_u24 v10, v8, s0, v17
	v_add3_u32 v117, v17, v6, v13
	;; [unrolled: 3-line block ×8, first 2 shown]
	v_mad_u32_u24 v23, v8, s0, v24
	v_mad_u32_u24 v8, v8, s0, v7
	s_movk_i32 s0, 0x4200
	v_add3_u32 v134, v12, v13, s0
	v_lshlrev_b32_e32 v12, 1, v95
	v_and_b32_e32 v44, 62, v12
	s_movk_i32 s34, 0x84
	v_lshl_add_u32 v151, v44, 1, v1
	v_mad_u32_u24 v1, v79, s34, v95
	v_lshl_add_u32 v154, v1, 2, 0
	v_or_b32_e32 v1, v0, v95
	s_lshl_b32 s62, s35, 6
	s_movk_i32 s6, 0x44
	v_or_b32_e32 v4, v0, v4
	v_mul_u32_u24_e32 v155, 0x110, v1
	v_and_b32_e32 v1, 31, v95
	v_add3_u32 v135, v11, v13, s0
	v_add3_u32 v136, v14, v13, s0
	;; [unrolled: 1-line block ×14, first 2 shown]
	s_ashr_i32 s45, s44, 31
	s_ashr_i32 s43, s42, 31
	s_lshl_b32 s1, s42, 4
	s_mov_b32 s38, s31
	s_ashr_i32 s31, s30, 31
	s_lshl_b32 s0, s30, 4
	s_lshl_b64 s[2:3], s[62:63], 3
	v_mad_u32_u24 v20, v4, s6, v5
	v_add_u32_e32 v152, 64, v3
	v_add_u32_e32 v153, 0x44, v3
	v_or_b32_e32 v0, v0, v1
	v_add_u32_e32 v3, 16, v77
	v_add_u32_e32 v47, 32, v77
	;; [unrolled: 1-line block ×3, first 2 shown]
	v_add3_u32 v131, v24, v6, v13
	v_add3_u32 v133, v7, v6, v13
	s_add_u32 s2, s26, s2
	v_or_b32_e32 v6, v245, v95
	s_movk_i32 s7, 0x3e0
	v_add_u32_e32 v21, 4, v77
	s_movk_i32 s11, 0x1e0
	v_mul_u32_u24_e32 v156, 0x110, v0
	v_lshl_add_u32 v157, v20, 2, 0
	v_bfe_u32 v0, v79, 1, 4
	v_lshlrev_b32_e32 v20, 1, v3
	v_lshlrev_b32_e32 v48, 1, v47
	;; [unrolled: 1-line block ×3, first 2 shown]
	s_addc_u32 s3, s27, s3
	v_lshlrev_b32_e32 v6, 3, v6
	v_lshlrev_b32_e32 v4, 1, v21
	v_and_b32_e32 v5, 15, v21
	v_and_or_b32 v20, v20, s7, v0
	v_and_or_b32 v48, v48, s7, v0
	v_and_or_b32 v50, v50, s7, v0
	v_and_or_b32 v0, v79, s11, v0
	v_add_u32_e32 v132, v7, v9
	v_mov_b32_e32 v7, s3
	v_add_co_u32_e32 v6, vcc, s2, v6
	v_and_or_b32 v22, v4, s7, v5
	v_mul_u32_u24_e32 v158, 0x110, v0
	v_mad_u32_u24 v0, v0, s6, v95
	v_addc_co_u32_e32 v7, vcc, 0, v7, vcc
	v_lshl_add_u32 v159, v0, 2, 0
	v_mul_u32_u24_e32 v0, 0x110, v22
	buffer_store_dword v6, off, s[96:99], 0 offset:64 ; 4-byte Folded Spill
	s_nop 0
	buffer_store_dword v7, off, s[96:99], 0 offset:68 ; 4-byte Folded Spill
	v_add_u32_e32 v23, 8, v77
	buffer_store_dword v0, off, s[96:99], 0 ; 4-byte Folded Spill
	v_mad_u32_u24 v0, v22, s6, v95
	v_lshlrev_b32_e32 v4, 1, v23
	v_and_b32_e32 v5, 15, v23
	v_lshl_add_u32 v0, v0, 2, 0
	v_add_u32_e32 v130, v24, v9
	v_and_or_b32 v24, v4, s7, v5
	buffer_store_dword v0, off, s[96:99], 0 offset:4 ; 4-byte Folded Spill
	v_lshrrev_b32_e32 v0, 2, v23
	buffer_store_dword v0, off, s[96:99], 0 offset:8 ; 4-byte Folded Spill
	v_mul_u32_u24_e32 v0, 0x110, v24
	v_add_u32_e32 v25, 12, v77
	buffer_store_dword v0, off, s[96:99], 0 offset:72 ; 4-byte Folded Spill
	v_mad_u32_u24 v0, v24, s6, v95
	v_lshlrev_b32_e32 v4, 1, v25
	v_and_b32_e32 v5, 15, v25
	v_lshl_add_u32 v0, v0, 2, 0
	v_and_or_b32 v26, v4, s7, v5
	buffer_store_dword v0, off, s[96:99], 0 offset:76 ; 4-byte Folded Spill
	v_lshrrev_b32_e32 v0, 2, v25
	buffer_store_dword v0, off, s[96:99], 0 offset:80 ; 4-byte Folded Spill
	v_mul_u32_u24_e32 v0, 0x110, v26
	buffer_store_dword v0, off, s[96:99], 0 offset:84 ; 4-byte Folded Spill
	v_mad_u32_u24 v0, v26, s6, v95
	v_lshl_add_u32 v0, v0, 2, 0
	buffer_store_dword v0, off, s[96:99], 0 offset:88 ; 4-byte Folded Spill
	v_lshrrev_b32_e32 v0, 2, v3
	buffer_store_dword v0, off, s[96:99], 0 offset:92 ; 4-byte Folded Spill
	v_mul_u32_u24_e32 v0, 0x110, v20
	v_add_u32_e32 v27, 20, v77
	buffer_store_dword v0, off, s[96:99], 0 offset:96 ; 4-byte Folded Spill
	v_mad_u32_u24 v0, v20, s6, v95
	v_lshlrev_b32_e32 v4, 1, v27
	v_and_b32_e32 v5, 15, v27
	v_lshl_add_u32 v0, v0, 2, 0
	v_and_or_b32 v28, v4, s7, v5
	buffer_store_dword v0, off, s[96:99], 0 offset:100 ; 4-byte Folded Spill
	v_lshrrev_b32_e32 v0, 2, v27
	buffer_store_dword v0, off, s[96:99], 0 offset:104 ; 4-byte Folded Spill
	v_mul_u32_u24_e32 v0, 0x110, v28
	v_add_u32_e32 v29, 24, v77
	buffer_store_dword v0, off, s[96:99], 0 offset:112 ; 4-byte Folded Spill
	v_mad_u32_u24 v0, v28, s6, v95
	v_lshlrev_b32_e32 v4, 1, v29
	v_and_b32_e32 v5, 15, v29
	v_lshl_add_u32 v0, v0, 2, 0
	v_and_or_b32 v30, v4, s7, v5
	;; [unrolled: 11-line block ×3, first 2 shown]
	buffer_store_dword v0, off, s[96:99], 0 offset:128 ; 4-byte Folded Spill
	v_lshrrev_b32_e32 v0, 2, v31
	buffer_store_dword v0, off, s[96:99], 0 offset:132 ; 4-byte Folded Spill
	v_mul_u32_u24_e32 v0, 0x110, v32
	buffer_store_dword v0, off, s[96:99], 0 offset:136 ; 4-byte Folded Spill
	v_mad_u32_u24 v0, v32, s6, v95
	v_lshl_add_u32 v0, v0, 2, 0
	buffer_store_dword v0, off, s[96:99], 0 offset:140 ; 4-byte Folded Spill
	v_lshrrev_b32_e32 v0, 2, v47
	buffer_store_dword v0, off, s[96:99], 0 offset:144 ; 4-byte Folded Spill
	v_mul_u32_u24_e32 v0, 0x110, v48
	v_add_u32_e32 v33, 36, v77
	buffer_store_dword v0, off, s[96:99], 0 offset:148 ; 4-byte Folded Spill
	v_mad_u32_u24 v0, v48, s6, v95
	v_lshlrev_b32_e32 v4, 1, v33
	v_and_b32_e32 v5, 15, v33
	v_lshl_add_u32 v0, v0, 2, 0
	v_and_or_b32 v34, v4, s7, v5
	buffer_store_dword v0, off, s[96:99], 0 offset:152 ; 4-byte Folded Spill
	v_lshrrev_b32_e32 v0, 2, v33
	buffer_store_dword v0, off, s[96:99], 0 offset:156 ; 4-byte Folded Spill
	v_mul_u32_u24_e32 v0, 0x110, v34
	v_add_u32_e32 v35, 40, v77
	buffer_store_dword v0, off, s[96:99], 0 offset:160 ; 4-byte Folded Spill
	v_mad_u32_u24 v0, v34, s6, v95
	v_lshlrev_b32_e32 v4, 1, v35
	v_and_b32_e32 v5, 15, v35
	v_lshl_add_u32 v0, v0, 2, 0
	v_and_or_b32 v36, v4, s7, v5
	buffer_store_dword v0, off, s[96:99], 0 offset:164 ; 4-byte Folded Spill
	v_lshrrev_b32_e32 v0, 2, v35
	buffer_store_dword v0, off, s[96:99], 0 offset:168 ; 4-byte Folded Spill
	v_mul_u32_u24_e32 v0, 0x110, v36
	v_add_u32_e32 v37, 44, v77
	buffer_store_dword v0, off, s[96:99], 0 offset:172 ; 4-byte Folded Spill
	v_mad_u32_u24 v0, v36, s6, v95
	v_lshlrev_b32_e32 v4, 1, v37
	v_and_b32_e32 v5, 15, v37
	v_lshl_add_u32 v0, v0, 2, 0
	v_writelane_b32 v255, s35, 16
	v_and_or_b32 v38, v4, s7, v5
	v_add_u32_e32 v39, 52, v77
	buffer_store_dword v0, off, s[96:99], 0 offset:176 ; 4-byte Folded Spill
	v_lshrrev_b32_e32 v0, 2, v37
	v_lshlrev_b32_e32 v4, 1, v39
	v_and_b32_e32 v5, 15, v39
	v_add_u32_e32 v41, 56, v77
	v_readlane_b32 s54, v255, 3
	buffer_store_dword v0, off, s[96:99], 0 offset:180 ; 4-byte Folded Spill
	v_mul_u32_u24_e32 v0, 0x110, v38
	v_and_or_b32 v40, v4, s7, v5
	v_lshlrev_b32_e32 v4, 1, v41
	v_and_b32_e32 v5, 15, v41
	s_abs_i32 s59, s54
	buffer_store_dword v0, off, s[96:99], 0 offset:184 ; 4-byte Folded Spill
	v_mad_u32_u24 v0, v38, s6, v95
	v_and_or_b32 v42, v4, s7, v5
	v_cvt_f32_u32_e32 v4, s59
	v_lshl_add_u32 v0, v0, 2, 0
	buffer_store_dword v0, off, s[96:99], 0 offset:188 ; 4-byte Folded Spill
	v_lshrrev_b32_e32 v0, 2, v49
	buffer_store_dword v0, off, s[96:99], 0 offset:192 ; 4-byte Folded Spill
	v_mul_u32_u24_e32 v0, 0x110, v50
	v_readlane_b32 s53, v255, 2
	buffer_store_dword v0, off, s[96:99], 0 offset:196 ; 4-byte Folded Spill
	v_mad_u32_u24 v0, v50, s6, v95
	v_rcp_iflag_f32_e32 v4, v4
	s_abs_i32 s88, s53
	v_lshl_add_u32 v0, v0, 2, 0
	v_cvt_f32_u32_e32 v7, s88
	buffer_store_dword v0, off, s[96:99], 0 offset:200 ; 4-byte Folded Spill
	v_lshrrev_b32_e32 v0, 2, v39
	buffer_store_dword v0, off, s[96:99], 0 offset:204 ; 4-byte Folded Spill
	v_mul_u32_u24_e32 v0, 0x110, v40
	v_add_u32_e32 v43, 60, v77
	v_readlane_b32 s35, v255, 1
	buffer_store_dword v0, off, s[96:99], 0 offset:208 ; 4-byte Folded Spill
	v_mad_u32_u24 v0, v40, s6, v95
	v_lshlrev_b32_e32 v5, 1, v43
	v_and_b32_e32 v6, 15, v43
	v_mul_f32_e32 v4, 0x4f7ffffe, v4
	s_abs_i32 s89, s35
	s_abs_i32 s90, s10
	v_lshl_add_u32 v0, v0, 2, 0
	v_and_or_b32 v45, v5, s7, v6
	v_cvt_u32_f32_e32 v4, v4
	v_rcp_iflag_f32_e32 v5, v7
	v_cvt_f32_u32_e32 v6, s89
	v_cvt_f32_u32_e32 v7, s90
	buffer_store_dword v0, off, s[96:99], 0 offset:212 ; 4-byte Folded Spill
	v_lshrrev_b32_e32 v0, 2, v41
	buffer_store_dword v0, off, s[96:99], 0 offset:216 ; 4-byte Folded Spill
	v_mul_u32_u24_e32 v0, 0x110, v42
	buffer_store_dword v0, off, s[96:99], 0 offset:220 ; 4-byte Folded Spill
	v_mad_u32_u24 v0, v42, s6, v95
	v_lshl_add_u32 v0, v0, 2, 0
	s_mov_b32 s2, s10
	v_readfirstlane_b32 s8, v4
	v_rcp_iflag_f32_e32 v4, v6
	v_rcp_iflag_f32_e32 v6, v7
	buffer_store_dword v0, off, s[96:99], 0 offset:224 ; 4-byte Folded Spill
	v_lshrrev_b32_e32 v0, 2, v43
	v_writelane_b32 v255, s2, 17
	buffer_store_dword v0, off, s[96:99], 0 offset:228 ; 4-byte Folded Spill
	v_mul_u32_u24_e32 v0, 0x110, v45
	v_writelane_b32 v255, s3, 18
	v_cmp_gt_u32_e64 s[66:67], 32, v95
	buffer_store_dword v0, off, s[96:99], 0 offset:232 ; 4-byte Folded Spill
	v_mad_u32_u24 v0, v45, s6, v95
	v_mul_lo_u32 v12, s30, v97
	v_writelane_b32 v255, s66, 19
	v_lshl_add_u32 v0, v0, 2, 0
	v_mul_f32_e32 v4, 0x4f7ffffe, v4
	v_mul_f32_e32 v6, 0x4f7ffffe, v6
	v_mov_b32_e32 v46, s19
	v_ashrrev_i32_e32 v13, 31, v12
	v_writelane_b32 v255, s67, 20
	buffer_store_dword v0, off, s[96:99], 0 offset:236 ; 4-byte Folded Spill
	s_ashr_i32 s6, s54, 31
	v_add_co_u32_e32 v0, vcc, s18, v2
	v_mul_f32_e32 v5, 0x4f7ffffe, v5
	v_cvt_u32_f32_e32 v4, v4
	v_cvt_u32_f32_e32 v6, v6
	v_add_u32_e32 v14, s0, v12
	v_writelane_b32 v255, s6, 21
	s_sub_i32 s6, 0, s59
	buffer_store_dword v0, off, s[96:99], 0 offset:12 ; 4-byte Folded Spill
	v_addc_co_u32_e32 v0, vcc, 0, v46, vcc
	v_lshlrev_b64 v[46:47], 2, v[12:13]
	v_cvt_u32_f32_e32 v5, v5
	v_lshlrev_b32_e32 v150, 2, v2
	v_ashrrev_i32_e32 v15, 31, v14
	s_mul_i32 s6, s6, s8
	buffer_store_dword v0, off, s[96:99], 0 offset:16 ; 4-byte Folded Spill
	v_mov_b32_e32 v0, s17
	v_add_co_u32_e32 v2, vcc, s16, v46
	v_add_u32_e32 v16, s0, v14
	s_mul_hi_u32 s6, s8, s6
	v_addc_co_u32_e32 v0, vcc, v0, v47, vcc
	v_lshlrev_b64 v[48:49], 2, v[14:15]
	s_sub_i32 s2, 0, s90
	v_ashrrev_i32_e32 v17, 31, v16
	s_add_i32 s6, s8, s6
	buffer_store_dword v2, off, s[96:99], 0 offset:20 ; 4-byte Folded Spill
	buffer_store_dword v0, off, s[96:99], 0 offset:24 ; 4-byte Folded Spill
	v_mov_b32_e32 v0, s17
	v_add_co_u32_e32 v2, vcc, s16, v48
	v_readfirstlane_b32 s10, v4
	v_mul_lo_u32 v4, s2, v6
	v_add_u32_e32 v18, s0, v16
	v_writelane_b32 v255, s6, 22
	s_ashr_i32 s6, s53, 31
	v_addc_co_u32_e32 v0, vcc, v0, v49, vcc
	v_lshlrev_b64 v[50:51], 2, v[16:17]
	v_readfirstlane_b32 s9, v5
	v_mul_hi_u32 v4, v6, v4
	v_ashrrev_i32_e32 v19, 31, v18
	v_writelane_b32 v255, s6, 23
	s_sub_i32 s6, 0, s88
	buffer_store_dword v2, off, s[96:99], 0 offset:28 ; 4-byte Folded Spill
	buffer_store_dword v0, off, s[96:99], 0 offset:32 ; 4-byte Folded Spill
	v_mov_b32_e32 v0, s17
	v_add_co_u32_e32 v2, vcc, s16, v50
	v_add_u32_e32 v149, v6, v4
	v_mul_lo_u32 v4, s42, v97
	s_mul_i32 s6, s6, s9
	v_addc_co_u32_e32 v0, vcc, v0, v51, vcc
	v_lshlrev_b64 v[52:53], 2, v[18:19]
	v_ashrrev_i32_e32 v5, 31, v4
	s_mul_hi_u32 s6, s9, s6
	buffer_store_dword v2, off, s[96:99], 0 offset:36 ; 4-byte Folded Spill
	buffer_store_dword v0, off, s[96:99], 0 offset:40 ; 4-byte Folded Spill
	v_mov_b32_e32 v0, s17
	v_add_co_u32_e32 v2, vcc, s16, v52
	v_add_u32_e32 v6, s1, v4
	s_add_i32 s6, s9, s6
	v_addc_co_u32_e32 v0, vcc, v0, v53, vcc
	v_lshlrev_b64 v[54:55], 2, v[4:5]
	v_ashrrev_i32_e32 v7, 31, v6
	v_writelane_b32 v255, s6, 24
	s_ashr_i32 s6, s35, 31
	buffer_store_dword v2, off, s[96:99], 0 offset:44 ; 4-byte Folded Spill
	buffer_store_dword v0, off, s[96:99], 0 offset:48 ; 4-byte Folded Spill
	v_mov_b32_e32 v0, s15
	v_add_co_u32_e32 v2, vcc, s14, v54
	v_add_u32_e32 v8, s1, v6
	v_writelane_b32 v255, s6, 25
	s_sub_i32 s6, 0, s89
	v_addc_co_u32_e32 v0, vcc, v0, v55, vcc
	v_lshlrev_b64 v[56:57], 2, v[6:7]
	v_ashrrev_i32_e32 v9, 31, v8
	s_mul_i32 s6, s6, s10
	buffer_store_dword v2, off, s[96:99], 0 offset:52 ; 4-byte Folded Spill
	buffer_store_dword v0, off, s[96:99], 0 offset:56 ; 4-byte Folded Spill
	v_mov_b32_e32 v0, s15
	v_add_co_u32_e32 v2, vcc, s14, v56
	v_add_u32_e32 v10, s1, v8
	s_mul_hi_u32 s6, s10, s6
	v_addc_co_u32_e32 v221, vcc, v0, v57, vcc
	v_lshlrev_b64 v[58:59], 2, v[8:9]
	v_ashrrev_i32_e32 v11, 31, v10
	s_add_i32 s6, s10, s6
	v_add_co_u32_e32 v222, vcc, s14, v58
	v_writelane_b32 v255, s6, 26
	s_lshl_b64 s[6:7], s[44:45], 1
	v_addc_co_u32_e32 v218, vcc, v0, v59, vcc
	v_lshlrev_b64 v[60:61], 2, v[10:11]
	v_writelane_b32 v255, s6, 27
	v_add_co_u32_e32 v219, vcc, s14, v60
	v_writelane_b32 v255, s7, 28
	v_addc_co_u32_e32 v220, vcc, v0, v61, vcc
	v_mbcnt_lo_u32_b32 v0, -1, 0
	s_movk_i32 s92, 0x80
	v_cmp_eq_u32_e64 s[0:1], 0, v246
	v_cmp_eq_u32_e64 s[2:3], 1, v246
	v_cmp_gt_u32_e64 s[4:5], 16, v95
	v_lshrrev_b32_e32 v160, 2, v21
	s_mov_b32 s41, s40
	s_lshl_b64 s[70:71], s[30:31], 8
	s_lshl_b64 s[72:73], s[42:43], 8
	s_mov_b32 s45, 0x3f200000
	s_mov_b32 s69, 0x3fb8aa3b
	;; [unrolled: 1-line block ×4, first 2 shown]
	s_brev_b32 s7, -2
	s_mov_b32 s6, 0xc1a00000
	s_mov_b32 s91, 0x5040100
	s_movk_i32 s53, 0x47
	v_mbcnt_hi_u32_b32 v223, -1, v0
	v_add_u32_e32 v224, 64, v95
	v_mov_b32_e32 v225, 0
	v_add_u32_e32 v226, 0x2100, v98
	v_add_u32_e32 v227, 0x4200, v98
	;; [unrolled: 1-line block ×34, first 2 shown]
	v_writelane_b32 v255, s38, 29
	v_mul_lo_u32 v197, v87, s38
	v_lshrrev_b32_e32 v198, 2, v69
	v_add_u32_e32 v199, 0x1080, v154
	v_lshrrev_b32_e32 v194, 2, v67
	v_lshrrev_b32_e32 v195, 2, v66
	;; [unrolled: 1-line block ×7, first 2 shown]
	v_lshlrev_b32_e32 v62, 4, v1
	v_mov_b32_e32 v189, 0xbd5c1c4e
	v_mov_b32_e32 v190, 0x3e088382
	;; [unrolled: 1-line block ×4, first 2 shown]
	v_and_b32_e32 v64, 3, v95
	v_bfe_u32 v66, v79, 1, 2
	buffer_store_dword v2, off, s[96:99], 0 offset:60 ; 4-byte Folded Spill
	s_branch .LBB30_14
.LBB30_12:                              ;   in Loop: Header=BB30_14 Depth=1
	s_or_b64 exec, exec, s[74:75]
	s_barrier
.LBB30_13:                              ;   in Loop: Header=BB30_14 Depth=1
	s_add_i32 s8, s56, s87
	s_abs_i32 s10, s8
	s_mul_hi_u32 s11, s10, s52
	s_mul_i32 s11, s11, s61
	s_sub_i32 s10, s10, s11
	s_ashr_i32 s9, s8, 31
	s_sub_i32 s11, s10, s61
	s_cmp_ge_u32 s10, s61
	s_cselect_b32 s10, s11, s10
	s_sub_i32 s11, s10, s61
	s_cmp_ge_u32 s10, s61
	s_cselect_b32 s10, s11, s10
	s_xor_b32 s10, s10, s9
	s_sub_i32 s9, s9, s10
	s_add_i32 s56, s8, s9
	s_sub_i32 s10, s60, s56
	s_min_i32 s65, s87, s10
	s_cmp_gt_i32 s60, s56
	s_cselect_b64 s[8:9], -1, 0
	s_cmp_le_i32 s87, s10
	s_cselect_b64 s[10:11], -1, 0
	s_and_b64 s[10:11], s[10:11], s[8:9]
	s_mov_b32 s78, 0
	s_and_b64 vcc, exec, s[10:11]
	s_cbranch_vccz .LBB30_559
.LBB30_14:                              ; =>This Loop Header: Depth=1
                                        ;     Child Loop BB30_327 Depth 2
                                        ;     Child Loop BB30_55 Depth 2
	s_ashr_i32 s8, s56, 31
	v_readlane_b32 s9, v255, 21
	s_xor_b32 s8, s8, s9
	s_abs_i32 s9, s56
	v_readlane_b32 s10, v255, 22
	s_mul_hi_u32 s10, s9, s10
	s_mul_i32 s11, s10, s59
	s_sub_i32 s9, s9, s11
	s_add_i32 s11, s10, 1
	s_sub_i32 s34, s9, s59
	s_cmp_ge_u32 s9, s59
	s_cselect_b32 s10, s11, s10
	s_cselect_b32 s9, s34, s9
	s_add_i32 s11, s10, 1
	s_cmp_ge_u32 s9, s59
	s_cselect_b32 s9, s11, s10
	s_xor_b32 s9, s9, s8
	s_sub_i32 s8, s9, s8
	v_readlane_b32 s9, v255, 3
	s_mul_i32 s9, s8, s9
	s_sub_i32 s10, s56, s9
	s_ashr_i32 s9, s10, 31
	v_readlane_b32 s11, v255, 23
	s_xor_b32 s9, s9, s11
	s_abs_i32 s11, s10
	v_readlane_b32 s34, v255, 24
	s_mul_hi_u32 s34, s11, s34
	s_mul_i32 s35, s34, s88
	s_sub_i32 s11, s11, s35
	s_add_i32 s35, s34, 1
	s_sub_i32 s38, s11, s88
	s_cmp_ge_u32 s11, s88
	s_cselect_b32 s34, s35, s34
	s_cselect_b32 s11, s38, s11
	s_add_i32 s35, s34, 1
	s_cmp_ge_u32 s11, s88
	s_cselect_b32 s11, s35, s34
	s_xor_b32 s11, s11, s9
	s_sub_i32 s9, s11, s9
	v_readlane_b32 s11, v255, 2
	s_mul_i32 s11, s9, s11
	s_sub_i32 s11, s10, s11
	s_ashr_i32 s10, s11, 31
	v_readlane_b32 s34, v255, 25
	s_xor_b32 s10, s10, s34
	s_abs_i32 s34, s11
	v_readlane_b32 s35, v255, 26
	s_mul_hi_u32 s35, s34, s35
	s_mul_i32 s38, s35, s89
	s_sub_i32 s34, s34, s38
	s_add_i32 s38, s35, 1
	s_sub_i32 s54, s34, s89
	s_cmp_ge_u32 s34, s89
	s_cselect_b32 s35, s38, s35
	s_cselect_b32 s34, s54, s34
	s_add_i32 s38, s35, 1
	s_cmp_ge_u32 s34, s89
	s_cselect_b32 s34, s38, s35
	s_xor_b32 s34, s34, s10
	s_sub_i32 s10, s34, s10
	v_readlane_b32 s34, v255, 1
	s_mul_i32 s34, s10, s34
	s_sub_i32 s11, s11, s34
	s_ashr_i32 s34, s11, 31
	v_readlane_b32 s35, v255, 8
	s_abs_i32 s11, s11
	s_xor_b32 s34, s34, s35
	s_mul_hi_u32 s35, s11, s52
	s_mul_i32 s38, s35, s61
	s_sub_i32 s11, s11, s38
	s_add_i32 s38, s35, 1
	s_sub_i32 s54, s11, s61
	s_cmp_ge_u32 s11, s61
	s_cselect_b32 s35, s38, s35
	s_cselect_b32 s11, s54, s11
	s_add_i32 s38, s35, 1
	s_cmp_ge_u32 s11, s61
	s_cselect_b32 s11, s38, s35
	v_readlane_b32 s54, v255, 14
	s_xor_b32 s11, s11, s34
	v_readlane_b32 s55, v255, 15
	s_andn2_b64 vcc, exec, s[54:55]
	s_sub_i32 s55, s11, s34
	s_cbranch_vccnz .LBB30_16
; %bb.15:                               ;   in Loop: Header=BB30_14 Depth=1
	v_readlane_b32 s11, v255, 0
	s_mul_i32 s11, s8, s11
	s_add_i32 s34, s55, s11
	s_ashr_i32 s35, s34, 31
	s_lshl_b64 s[34:35], s[34:35], 2
	s_add_u32 s34, s22, s34
	s_addc_u32 s35, s23, s35
	global_load_dword v0, v225, s[34:35]
	s_waitcnt vmcnt(0)
	v_readfirstlane_b32 s11, v0
	s_ashr_i32 s34, s11, 31
	s_lshr_b32 s34, s34, 26
	s_add_i32 s11, s11, s34
	s_ashr_i32 s11, s11, 6
	s_min_i32 s65, s65, s11
.LBB30_16:                              ;   in Loop: Header=BB30_14 Depth=1
	v_readlane_b32 s34, v255, 4
	v_readlane_b32 s35, v255, 5
	s_mul_i32 s11, s9, s82
	s_lshl_b32 s84, s10, 2
	s_mul_i32 s10, s8, s35
	s_add_i32 s74, s84, s11
	s_ashr_i32 s11, s10, 31
	s_add_u32 s10, s12, s10
	s_mul_i32 s34, s74, s34
	s_addc_u32 s11, s13, s11
	s_ashr_i32 s35, s34, 31
	s_add_u32 s54, s10, s34
	s_addc_u32 s35, s11, s35
	s_ashr_i32 s34, s8, 31
	s_mul_i32 s10, s8, s37
	s_mul_hi_u32 s11, s8, s36
	s_add_i32 s10, s11, s10
	s_mul_i32 s11, s34, s36
	v_readlane_b32 s76, v255, 6
	s_add_i32 s66, s10, s11
	s_mul_i32 s67, s8, s36
	v_readlane_b32 s77, v255, 7
	s_add_u32 s10, s14, s67
	s_mul_i32 s93, s9, s77
	s_addc_u32 s11, s15, s66
	s_ashr_i32 s94, s93, 31
	s_add_u32 s83, s10, s93
	s_addc_u32 s64, s11, s94
	s_abs_i32 s10, s8
	v_mul_hi_u32 v0, s10, v149
	v_mul_lo_u32 v0, v0, s90
	v_sub_u32_e32 v0, s10, v0
	s_mul_i32 s10, s28, s29
	v_subrev_u32_e32 v1, s90, v0
	v_cmp_le_u32_e32 vcc, s90, v0
	s_mul_i32 s10, s10, s8
	v_cndmask_b32_e32 v0, v0, v1, vcc
	s_add_i32 s10, s74, s10
	v_subrev_u32_e32 v1, s90, v0
	v_cmp_le_u32_e32 vcc, s90, v0
	s_lshl_b32 s62, s10, 7
	v_cndmask_b32_e32 v0, v0, v1, vcc
	s_lshl_b64 s[10:11], s[62:63], 3
	v_xor_b32_e32 v0, s34, v0
	s_add_u32 s10, s24, s10
	s_mul_i32 s38, s8, s49
	s_mul_hi_u32 s58, s8, s48
	v_subrev_u32_e32 v0, s34, v0
	s_addc_u32 s11, s25, s11
	s_add_i32 s38, s58, s38
	s_mul_i32 s34, s34, s48
	s_add_i32 s62, s38, s34
	s_mul_i32 s95, s8, s48
	s_add_u32 s8, s16, s95
	s_mul_i32 s58, s9, s39
	s_addc_u32 s38, s17, s62
	s_ashr_i32 s34, s58, 31
	s_add_u32 s85, s8, s58
	s_addc_u32 s86, s38, s34
	s_ashr_i32 s75, s74, 31
	s_lshl_b64 s[8:9], s[74:75], 2
	v_ashrrev_i32_e32 v1, 31, v0
	v_mul_lo_u32 v2, v0, s51
	v_mul_hi_u32 v3, v0, s50
	s_add_u32 s38, s20, s8
	v_add_u32_e32 v2, v3, v2
	v_mul_lo_u32 v1, v1, s50
	v_mul_lo_u32 v68, v0, s50
	s_addc_u32 s74, s21, s9
	v_readlane_b32 s8, v255, 12
	v_add_u32_e32 v69, v2, v1
	v_mov_b32_e32 v0, s19
	v_add_co_u32_e32 v182, vcc, s18, v68
	v_readlane_b32 s9, v255, 13
	v_addc_co_u32_e32 v187, vcc, v0, v69, vcc
	s_and_b64 s[8:9], s[8:9], exec
	v_or_b32_e32 v45, s84, v87
	s_cselect_b32 s75, 0, s74
	s_cselect_b32 s74, 0, s38
	s_cmp_lg_u32 s78, 0
	v_cmp_gt_i32_e32 vcc, s82, v45
	s_cbranch_scc0 .LBB30_51
; %bb.17:                               ;   in Loop: Header=BB30_14 Depth=1
	s_lshl_b32 s38, s55, 4
	v_add_u32_e32 v0, s38, v94
	v_cmp_le_i32_e64 s[8:9], s28, v0
	s_xor_b64 s[76:77], vcc, -1
	s_or_b64 s[8:9], s[8:9], s[76:77]
	s_and_saveexec_b64 s[80:81], s[8:9]
	s_xor_b64 s[8:9], exec, s[80:81]
	s_cbranch_execz .LBB30_19
; %bb.18:                               ;   in Loop: Header=BB30_14 Depth=1
	ds_write2st64_b32 v154, v225, v225 offset1:1
                                        ; implicit-def: $vgpr0
.LBB30_19:                              ;   in Loop: Header=BB30_14 Depth=1
	s_andn2_saveexec_b64 s[8:9], s[8:9]
	s_cbranch_execz .LBB30_21
; %bb.20:                               ;   in Loop: Header=BB30_14 Depth=1
	v_mul_lo_u32 v0, v0, s33
	v_add3_u32 v0, v0, v197, v95
	v_ashrrev_i32_e32 v1, 31, v0
	v_lshlrev_b64 v[0:1], 3, v[0:1]
	v_add_co_u32_e32 v0, vcc, s54, v0
	v_mov_b32_e32 v2, s35
	v_addc_co_u32_e32 v1, vcc, v2, v1, vcc
	global_load_dwordx2 v[2:3], v[0:1], off
	s_waitcnt vmcnt(0)
	v_cvt_f16_f32_e32 v2, v2
	global_load_dwordx2 v[0:1], v[0:1], off offset:512
	v_cvt_f16_f32_e32 v3, v3
	v_pack_b32_f16 v2, v2, v3
	v_pk_mul_f16 v2, v85, v2
	s_waitcnt vmcnt(0)
	v_cvt_f16_f32_e32 v0, v0
	v_cvt_f16_f32_e32 v1, v1
	v_pack_b32_f16 v0, v0, v1
	v_pk_mul_f16 v0, v85, v0
	ds_write2st64_b32 v154, v2, v0 offset1:1
.LBB30_21:                              ;   in Loop: Header=BB30_14 Depth=1
	s_or_b64 exec, exec, s[8:9]
	v_add_u32_e32 v0, s38, v198
	v_cmp_le_i32_e32 vcc, s28, v0
	s_or_b64 s[8:9], vcc, s[76:77]
	s_and_saveexec_b64 s[80:81], s[8:9]
	s_xor_b64 s[8:9], exec, s[80:81]
	s_cbranch_execz .LBB30_23
; %bb.22:                               ;   in Loop: Header=BB30_14 Depth=1
	ds_write2st64_b32 v199, v225, v225 offset1:1
                                        ; implicit-def: $vgpr0
.LBB30_23:                              ;   in Loop: Header=BB30_14 Depth=1
	s_andn2_saveexec_b64 s[8:9], s[8:9]
	s_cbranch_execz .LBB30_25
; %bb.24:                               ;   in Loop: Header=BB30_14 Depth=1
	v_mul_lo_u32 v0, v0, s33
	v_add3_u32 v0, v0, v197, v95
	v_ashrrev_i32_e32 v1, 31, v0
	v_lshlrev_b64 v[0:1], 3, v[0:1]
	v_add_co_u32_e32 v0, vcc, s54, v0
	v_mov_b32_e32 v2, s35
	v_addc_co_u32_e32 v1, vcc, v2, v1, vcc
	global_load_dwordx2 v[2:3], v[0:1], off
	s_waitcnt vmcnt(0)
	v_cvt_f16_f32_e32 v2, v2
	global_load_dwordx2 v[0:1], v[0:1], off offset:512
	v_cvt_f16_f32_e32 v3, v3
	v_pack_b32_f16 v2, v2, v3
	v_pk_mul_f16 v2, v85, v2
	s_waitcnt vmcnt(0)
	v_cvt_f16_f32_e32 v0, v0
	v_cvt_f16_f32_e32 v1, v1
	v_pack_b32_f16 v0, v0, v1
	v_pk_mul_f16 v0, v85, v0
	ds_write2st64_b32 v199, v2, v0 offset1:1
.LBB30_25:                              ;   in Loop: Header=BB30_14 Depth=1
	s_or_b64 exec, exec, s[8:9]
	v_add_u32_e32 v0, s38, v194
	v_cmp_le_i32_e32 vcc, s28, v0
	s_or_b64 s[8:9], vcc, s[76:77]
	s_and_saveexec_b64 s[80:81], s[8:9]
	s_xor_b64 s[8:9], exec, s[80:81]
	s_cbranch_execz .LBB30_27
; %bb.26:                               ;   in Loop: Header=BB30_14 Depth=1
	v_add_u32_e32 v0, 0x80, v199
	ds_write2st64_b32 v0, v225, v225 offset0:16 offset1:17
                                        ; implicit-def: $vgpr0
.LBB30_27:                              ;   in Loop: Header=BB30_14 Depth=1
	s_andn2_saveexec_b64 s[8:9], s[8:9]
	s_cbranch_execz .LBB30_29
; %bb.28:                               ;   in Loop: Header=BB30_14 Depth=1
	v_mul_lo_u32 v0, v0, s33
	v_add3_u32 v0, v0, v197, v95
	v_ashrrev_i32_e32 v1, 31, v0
	v_lshlrev_b64 v[0:1], 3, v[0:1]
	v_add_co_u32_e32 v0, vcc, s54, v0
	v_mov_b32_e32 v2, s35
	v_addc_co_u32_e32 v1, vcc, v2, v1, vcc
	global_load_dwordx2 v[2:3], v[0:1], off
	s_waitcnt vmcnt(0)
	v_cvt_f16_f32_e32 v2, v2
	global_load_dwordx2 v[0:1], v[0:1], off offset:512
	v_cvt_f16_f32_e32 v3, v3
	v_pack_b32_f16 v2, v2, v3
	v_pk_mul_f16 v2, v85, v2
	s_waitcnt vmcnt(0)
	v_cvt_f16_f32_e32 v0, v0
	v_cvt_f16_f32_e32 v1, v1
	v_pack_b32_f16 v0, v0, v1
	v_pk_mul_f16 v0, v85, v0
	v_add_u32_e32 v1, 0x80, v199
	ds_write2st64_b32 v1, v2, v0 offset0:16 offset1:17
.LBB30_29:                              ;   in Loop: Header=BB30_14 Depth=1
	s_or_b64 exec, exec, s[8:9]
	v_add_u32_e32 v0, s38, v195
	v_cmp_le_i32_e32 vcc, s28, v0
	s_or_b64 s[8:9], vcc, s[76:77]
	s_and_saveexec_b64 s[80:81], s[8:9]
	s_xor_b64 s[8:9], exec, s[80:81]
	s_cbranch_execz .LBB30_31
; %bb.30:                               ;   in Loop: Header=BB30_14 Depth=1
	ds_write2st64_b32 v199, v225, v225 offset0:33 offset1:34
                                        ; implicit-def: $vgpr0
.LBB30_31:                              ;   in Loop: Header=BB30_14 Depth=1
	s_andn2_saveexec_b64 s[8:9], s[8:9]
	s_cbranch_execz .LBB30_33
; %bb.32:                               ;   in Loop: Header=BB30_14 Depth=1
	v_mul_lo_u32 v0, v0, s33
	v_add3_u32 v0, v0, v197, v95
	v_ashrrev_i32_e32 v1, 31, v0
	v_lshlrev_b64 v[0:1], 3, v[0:1]
	v_add_co_u32_e32 v0, vcc, s54, v0
	v_mov_b32_e32 v2, s35
	v_addc_co_u32_e32 v1, vcc, v2, v1, vcc
	global_load_dwordx2 v[2:3], v[0:1], off
	s_waitcnt vmcnt(0)
	v_cvt_f16_f32_e32 v2, v2
	global_load_dwordx2 v[0:1], v[0:1], off offset:512
	v_cvt_f16_f32_e32 v3, v3
	v_pack_b32_f16 v2, v2, v3
	v_pk_mul_f16 v2, v85, v2
	s_waitcnt vmcnt(0)
	v_cvt_f16_f32_e32 v0, v0
	v_cvt_f16_f32_e32 v1, v1
	v_pack_b32_f16 v0, v0, v1
	v_pk_mul_f16 v0, v85, v0
	ds_write2st64_b32 v199, v2, v0 offset0:33 offset1:34
.LBB30_33:                              ;   in Loop: Header=BB30_14 Depth=1
	s_or_b64 exec, exec, s[8:9]
	v_add_u32_e32 v0, s38, v196
	v_cmp_le_i32_e32 vcc, s28, v0
	s_or_b64 s[8:9], vcc, s[76:77]
	s_and_saveexec_b64 s[80:81], s[8:9]
	s_xor_b64 s[8:9], exec, s[80:81]
	s_cbranch_execz .LBB30_35
; %bb.34:                               ;   in Loop: Header=BB30_14 Depth=1
	v_add_u32_e32 v0, 0x80, v199
	ds_write2st64_b32 v0, v225, v225 offset0:49 offset1:50
                                        ; implicit-def: $vgpr0
.LBB30_35:                              ;   in Loop: Header=BB30_14 Depth=1
	s_andn2_saveexec_b64 s[8:9], s[8:9]
	s_cbranch_execz .LBB30_37
; %bb.36:                               ;   in Loop: Header=BB30_14 Depth=1
	v_mul_lo_u32 v0, v0, s33
	v_add3_u32 v0, v0, v197, v95
	v_ashrrev_i32_e32 v1, 31, v0
	v_lshlrev_b64 v[0:1], 3, v[0:1]
	v_add_co_u32_e32 v0, vcc, s54, v0
	v_mov_b32_e32 v2, s35
	v_addc_co_u32_e32 v1, vcc, v2, v1, vcc
	global_load_dwordx2 v[2:3], v[0:1], off
	s_waitcnt vmcnt(0)
	v_cvt_f16_f32_e32 v2, v2
	global_load_dwordx2 v[0:1], v[0:1], off offset:512
	v_cvt_f16_f32_e32 v3, v3
	v_pack_b32_f16 v2, v2, v3
	v_pk_mul_f16 v2, v85, v2
	s_waitcnt vmcnt(0)
	v_cvt_f16_f32_e32 v0, v0
	v_cvt_f16_f32_e32 v1, v1
	v_pack_b32_f16 v0, v0, v1
	v_pk_mul_f16 v0, v85, v0
	v_add_u32_e32 v1, 0x80, v199
	ds_write2st64_b32 v1, v2, v0 offset0:49 offset1:50
.LBB30_37:                              ;   in Loop: Header=BB30_14 Depth=1
	s_or_b64 exec, exec, s[8:9]
	v_add_u32_e32 v0, s38, v191
	v_cmp_le_i32_e32 vcc, s28, v0
	s_or_b64 s[8:9], vcc, s[76:77]
	s_and_saveexec_b64 s[80:81], s[8:9]
	s_xor_b64 s[8:9], exec, s[80:81]
	s_cbranch_execz .LBB30_39
; %bb.38:                               ;   in Loop: Header=BB30_14 Depth=1
	ds_write2st64_b32 v199, v225, v225 offset0:66 offset1:67
                                        ; implicit-def: $vgpr0
.LBB30_39:                              ;   in Loop: Header=BB30_14 Depth=1
	s_andn2_saveexec_b64 s[8:9], s[8:9]
	s_cbranch_execz .LBB30_41
; %bb.40:                               ;   in Loop: Header=BB30_14 Depth=1
	v_mul_lo_u32 v0, v0, s33
	v_add3_u32 v0, v0, v197, v95
	v_ashrrev_i32_e32 v1, 31, v0
	v_lshlrev_b64 v[0:1], 3, v[0:1]
	v_add_co_u32_e32 v0, vcc, s54, v0
	v_mov_b32_e32 v2, s35
	v_addc_co_u32_e32 v1, vcc, v2, v1, vcc
	global_load_dwordx2 v[2:3], v[0:1], off
	s_waitcnt vmcnt(0)
	v_cvt_f16_f32_e32 v2, v2
	global_load_dwordx2 v[0:1], v[0:1], off offset:512
	v_cvt_f16_f32_e32 v3, v3
	v_pack_b32_f16 v2, v2, v3
	v_pk_mul_f16 v2, v85, v2
	s_waitcnt vmcnt(0)
	v_cvt_f16_f32_e32 v0, v0
	v_cvt_f16_f32_e32 v1, v1
	v_pack_b32_f16 v0, v0, v1
	v_pk_mul_f16 v0, v85, v0
	ds_write2st64_b32 v199, v2, v0 offset0:66 offset1:67
.LBB30_41:                              ;   in Loop: Header=BB30_14 Depth=1
	s_or_b64 exec, exec, s[8:9]
	v_add_u32_e32 v0, s38, v192
	v_cmp_le_i32_e32 vcc, s28, v0
	s_or_b64 s[8:9], vcc, s[76:77]
	s_and_saveexec_b64 s[80:81], s[8:9]
	s_xor_b64 s[8:9], exec, s[80:81]
	s_cbranch_execz .LBB30_43
; %bb.42:                               ;   in Loop: Header=BB30_14 Depth=1
	v_add_u32_e32 v0, 0x80, v199
	ds_write2st64_b32 v0, v225, v225 offset0:82 offset1:83
                                        ; implicit-def: $vgpr0
.LBB30_43:                              ;   in Loop: Header=BB30_14 Depth=1
	s_andn2_saveexec_b64 s[8:9], s[8:9]
	s_cbranch_execz .LBB30_45
; %bb.44:                               ;   in Loop: Header=BB30_14 Depth=1
	v_mul_lo_u32 v0, v0, s33
	v_add3_u32 v0, v0, v197, v95
	v_ashrrev_i32_e32 v1, 31, v0
	v_lshlrev_b64 v[0:1], 3, v[0:1]
	v_add_co_u32_e32 v0, vcc, s54, v0
	v_mov_b32_e32 v2, s35
	v_addc_co_u32_e32 v1, vcc, v2, v1, vcc
	global_load_dwordx2 v[2:3], v[0:1], off
	s_waitcnt vmcnt(0)
	v_cvt_f16_f32_e32 v2, v2
	global_load_dwordx2 v[0:1], v[0:1], off offset:512
	v_cvt_f16_f32_e32 v3, v3
	v_pack_b32_f16 v2, v2, v3
	v_pk_mul_f16 v2, v85, v2
	s_waitcnt vmcnt(0)
	v_cvt_f16_f32_e32 v0, v0
	v_cvt_f16_f32_e32 v1, v1
	v_pack_b32_f16 v0, v0, v1
	v_pk_mul_f16 v0, v85, v0
	v_add_u32_e32 v1, 0x80, v199
	ds_write2st64_b32 v1, v2, v0 offset0:82 offset1:83
.LBB30_45:                              ;   in Loop: Header=BB30_14 Depth=1
	s_or_b64 exec, exec, s[8:9]
	v_add_u32_e32 v0, s38, v193
	v_cmp_le_i32_e32 vcc, s28, v0
	s_or_b64 s[8:9], vcc, s[76:77]
	s_and_saveexec_b64 s[76:77], s[8:9]
	s_xor_b64 s[8:9], exec, s[76:77]
	s_cbranch_execz .LBB30_47
; %bb.46:                               ;   in Loop: Header=BB30_14 Depth=1
	ds_write2st64_b32 v199, v225, v225 offset0:99 offset1:100
                                        ; implicit-def: $vgpr0
.LBB30_47:                              ;   in Loop: Header=BB30_14 Depth=1
	s_andn2_saveexec_b64 s[8:9], s[8:9]
	s_cbranch_execz .LBB30_49
; %bb.48:                               ;   in Loop: Header=BB30_14 Depth=1
	v_mul_lo_u32 v0, v0, s33
	v_add3_u32 v0, v0, v197, v95
	v_ashrrev_i32_e32 v1, 31, v0
	v_lshlrev_b64 v[0:1], 3, v[0:1]
	v_add_co_u32_e32 v0, vcc, s54, v0
	v_mov_b32_e32 v2, s35
	v_addc_co_u32_e32 v1, vcc, v2, v1, vcc
	global_load_dwordx2 v[2:3], v[0:1], off
	s_waitcnt vmcnt(0)
	v_cvt_f16_f32_e32 v2, v2
	global_load_dwordx2 v[0:1], v[0:1], off offset:512
	v_cvt_f16_f32_e32 v3, v3
	v_pack_b32_f16 v2, v2, v3
	v_pk_mul_f16 v2, v85, v2
	s_waitcnt vmcnt(0)
	v_cvt_f16_f32_e32 v0, v0
	v_cvt_f16_f32_e32 v1, v1
	v_pack_b32_f16 v0, v0, v1
	v_pk_mul_f16 v0, v85, v0
	ds_write2st64_b32 v199, v2, v0 offset0:99 offset1:100
.LBB30_49:                              ;   in Loop: Header=BB30_14 Depth=1
	s_or_b64 exec, exec, s[8:9]
	s_waitcnt lgkmcnt(0)
	s_barrier
	ds_read2_b64 v[30:33], v96 offset1:4
	ds_read2_b64 v[26:29], v96 offset0:8 offset1:12
	ds_read2_b64 v[22:25], v96 offset0:16 offset1:20
	;; [unrolled: 1-line block ×7, first 2 shown]
	v_add_u32_e32 v0, s38, v97
	v_mul_hi_u32 v1, s46, v0
	v_add_u32_e32 v1, v0, v1
	v_lshrrev_b32_e32 v1, s47, v1
	v_mul_lo_u32 v1, v1, s28
	s_add_i32 s79, s65, -1
	v_sub_u32_e32 v0, v0, v1
	s_cmp_gt_i32 s79, s78
	v_mad_i64_i32 v[34:35], s[8:9], v0, s44, 0
	s_waitcnt lgkmcnt(0)
	s_barrier
	s_cbranch_scc1 .LBB30_52
; %bb.50:                               ;   in Loop: Header=BB30_14 Depth=1
	s_mov_b64 s[8:9], 0
	s_mov_b32 s76, 0xfeffffff
	s_mov_b32 s80, 0
	;; [unrolled: 1-line block ×3, first 2 shown]
	s_branch .LBB30_53
.LBB30_51:                              ;   in Loop: Header=BB30_14 Depth=1
	s_cbranch_execz .LBB30_13
	s_branch .LBB30_290
.LBB30_52:                              ;   in Loop: Header=BB30_14 Depth=1
	s_mov_b64 s[8:9], -1
                                        ; implicit-def: $sgpr77
                                        ; implicit-def: $sgpr80
                                        ; implicit-def: $sgpr76
.LBB30_53:                              ;   in Loop: Header=BB30_14 Depth=1
	s_andn2_b64 vcc, exec, s[8:9]
	v_mov_b32_e32 v1, s77
	v_mov_b32_e32 v39, s80
	;; [unrolled: 1-line block ×3, first 2 shown]
	v_lshlrev_b64 v[70:71], 1, v[34:35]
	v_mov_b32_e32 v63, s77
	v_mov_b32_e32 v65, s77
	;; [unrolled: 1-line block ×31, first 2 shown]
	s_cbranch_vccnz .LBB30_89
; %bb.54:                               ;   in Loop: Header=BB30_14 Depth=1
	v_add_co_u32_e32 v0, vcc, v182, v70
	v_addc_co_u32_e32 v1, vcc, v187, v71, vcc
	v_lshlrev_b32_e32 v34, 1, v44
	v_add_co_u32_e32 v80, vcc, v0, v34
	v_and_b32_e32 v0, 64, v223
	v_addc_co_u32_e32 v82, vcc, 0, v1, vcc
	v_add_u32_e32 v0, 64, v0
	v_xor_b32_e32 v1, 32, v223
	v_cmp_lt_i32_e32 vcc, v1, v0
	v_cndmask_b32_e32 v1, v223, v1, vcc
	v_lshlrev_b32_e32 v84, 2, v1
	v_xor_b32_e32 v1, 16, v223
	v_cmp_lt_i32_e32 vcc, v1, v0
	v_cndmask_b32_e32 v0, v223, v1, vcc
	v_mov_b32_e32 v81, 0
	v_lshlrev_b32_e32 v171, 2, v0
	s_lshl_b32 s8, s78, 6
	v_mov_b32_e32 v173, 0
	v_mov_b32_e32 v174, 0xfeffffff
	;; [unrolled: 1-line block ×33, first 2 shown]
.LBB30_55:                              ;   Parent Loop BB30_14 Depth=1
                                        ; =>  This Inner Loop Header: Depth=2
	s_ashr_i32 s9, s8, 31
	s_lshl_b64 s[76:77], s[8:9], 1
	v_add_co_u32_e32 v34, vcc, s76, v80
	v_mov_b32_e32 v0, s77
	v_addc_co_u32_e32 v35, vcc, v82, v0, vcc
	global_load_dword v0, v[34:35], off
	s_mul_hi_i32 s77, s8, s42
	s_mul_i32 s76, s8, s42
	s_lshl_b64 s[76:77], s[76:77], 2
	s_add_u32 s9, s83, s76
	s_addc_u32 s76, s64, s77
	v_mov_b32_e32 v34, s76
	s_waitcnt vmcnt(0)
	ds_write_b32 v151, v0 offset:33792
	v_add_co_u32_e32 v0, vcc, s9, v54
	v_addc_co_u32_e32 v35, vcc, v34, v55, vcc
	v_add_co_u32_e32 v34, vcc, v0, v150
	v_addc_co_u32_e32 v35, vcc, 0, v35, vcc
	global_load_dwordx4 v[34:37], v[34:35], off
	v_add_co_u32_e32 v0, vcc, s9, v56
	s_waitcnt vmcnt(0)
	ds_write_b128 v98, v[34:37]
	v_mov_b32_e32 v34, s76
	v_addc_co_u32_e32 v35, vcc, v34, v57, vcc
	v_add_co_u32_e32 v34, vcc, v0, v150
	v_addc_co_u32_e32 v35, vcc, 0, v35, vcc
	global_load_dwordx4 v[34:37], v[34:35], off
	v_add_co_u32_e32 v0, vcc, s9, v58
	s_waitcnt vmcnt(0)
	ds_write_b128 v226, v[34:37]
	v_mov_b32_e32 v34, s76
	;; [unrolled: 8-line block ×3, first 2 shown]
	v_addc_co_u32_e32 v35, vcc, v34, v61, vcc
	v_add_co_u32_e32 v34, vcc, v0, v150
	v_addc_co_u32_e32 v35, vcc, 0, v35, vcc
	global_load_dwordx4 v[34:37], v[34:35], off
	v_add_u32_e32 v0, 0x4000, v99
	s_waitcnt vmcnt(0)
	ds_write_b128 v228, v[34:37]
	s_waitcnt lgkmcnt(0)
	s_barrier
	ds_read2_b64 v[34:37], v99 offset1:4
	s_waitcnt lgkmcnt(0)
	v_mfma_f32_16x16x16f16 v[38:41], v[34:35], v[30:31], 0
	v_mfma_f32_16x16x16f16 v[34:37], v[36:37], v[32:33], v[38:41]
	s_nop 7
	s_nop 1
	ds_read2_b64 v[38:41], v99 offset0:8 offset1:12
	s_waitcnt lgkmcnt(0)
	v_mfma_f32_16x16x16f16 v[34:37], v[38:39], v[26:27], v[34:37]
	v_mfma_f32_16x16x16f16 v[34:37], v[40:41], v[28:29], v[34:37]
	ds_read2_b64 v[38:41], v99 offset0:16 offset1:20
	s_waitcnt lgkmcnt(0)
	v_mfma_f32_16x16x16f16 v[34:37], v[38:39], v[22:23], v[34:37]
	v_mfma_f32_16x16x16f16 v[34:37], v[40:41], v[24:25], v[34:37]
	;; [unrolled: 4-line block ×7, first 2 shown]
	ds_read2_b64 v[38:41], v0 offset0:64 offset1:68
	s_waitcnt lgkmcnt(0)
	v_mfma_f32_16x16x16f16 v[176:179], v[38:39], v[30:31], 0
	s_nop 7
	v_cmp_nlt_f32_e64 s[76:77], |v34|, s45
	v_mfma_f32_16x16x16f16 v[38:41], v[40:41], v[32:33], v[176:179]
	s_nop 6
	ds_read2_b64 v[176:179], v0 offset0:72 offset1:76
	s_waitcnt lgkmcnt(0)
	v_mfma_f32_16x16x16f16 v[38:41], v[176:177], v[26:27], v[38:41]
	v_mfma_f32_16x16x16f16 v[38:41], v[178:179], v[28:29], v[38:41]
	ds_read2_b64 v[176:179], v0 offset0:80 offset1:84
	s_waitcnt lgkmcnt(0)
	v_mfma_f32_16x16x16f16 v[38:41], v[176:177], v[22:23], v[38:41]
	v_mfma_f32_16x16x16f16 v[38:41], v[178:179], v[24:25], v[38:41]
	;; [unrolled: 4-line block ×6, first 2 shown]
	ds_read2_b64 v[176:179], v0 offset0:120 offset1:124
	s_waitcnt lgkmcnt(0)
	s_barrier
	s_waitcnt lgkmcnt(0)
                                        ; implicit-def: $vgpr0
	v_mfma_f32_16x16x16f16 v[38:41], v[176:177], v[2:3], v[38:41]
	v_mfma_f32_16x16x16f16 v[38:41], v[178:179], v[4:5], v[38:41]
	s_and_saveexec_b64 s[80:81], s[76:77]
	s_xor_b64 s[76:77], exec, s[80:81]
	s_cbranch_execz .LBB30_57
; %bb.56:                               ;   in Loop: Header=BB30_55 Depth=2
	v_add_f32_e64 v0, |v34|, |v34|
	v_mul_f32_e32 v175, 0x3fb8aa3b, v0
	v_rndne_f32_e32 v176, v175
	v_sub_f32_e32 v177, v175, v176
	v_fma_f32 v175, v0, s69, -v175
	v_fmac_f32_e32 v175, 0x32a5705f, v0
	v_add_f32_e32 v175, v177, v175
	v_cvt_i32_f32_e32 v176, v176
	v_exp_f32_e32 v175, v175
	v_cmp_ngt_f32_e32 vcc, s57, v0
	v_ldexp_f32 v175, v175, v176
	v_cndmask_b32_e32 v175, 0, v175, vcc
	v_cmp_nlt_f32_e32 vcc, s68, v0
	v_cndmask_b32_e32 v0, v186, v175, vcc
	v_add_f32_e32 v0, 1.0, v0
	v_rcp_f32_e32 v0, v0
	v_fma_f32 v0, v0, -2.0, 1.0
.LBB30_57:                              ;   in Loop: Header=BB30_55 Depth=2
	s_andn2_saveexec_b64 s[76:77], s[76:77]
; %bb.58:                               ;   in Loop: Header=BB30_55 Depth=2
	v_mul_f32_e32 v0, v34, v34
	v_mov_b32_e32 v175, 0x3ca908c9
	v_fmac_f32_e32 v175, 0xbbbac73d, v0
	v_fma_f32 v175, v0, v175, v189
	v_fma_f32 v175, v0, v175, v190
	;; [unrolled: 1-line block ×3, first 2 shown]
	v_mul_f32_e64 v175, |v34|, v175
	v_fma_f32 v0, v0, v175, |v34|
; %bb.59:                               ;   in Loop: Header=BB30_55 Depth=2
	s_or_b64 exec, exec, s[76:77]
	v_cmp_nlt_f32_e64 s[76:77], |v35|, s45
                                        ; implicit-def: $vgpr175
	s_and_saveexec_b64 s[80:81], s[76:77]
	s_xor_b64 s[76:77], exec, s[80:81]
	s_cbranch_execz .LBB30_61
; %bb.60:                               ;   in Loop: Header=BB30_55 Depth=2
	v_add_f32_e64 v175, |v35|, |v35|
	v_mul_f32_e32 v176, 0x3fb8aa3b, v175
	v_rndne_f32_e32 v177, v176
	v_sub_f32_e32 v178, v176, v177
	v_fma_f32 v176, v175, s69, -v176
	v_fmac_f32_e32 v176, 0x32a5705f, v175
	v_add_f32_e32 v176, v178, v176
	v_cvt_i32_f32_e32 v177, v177
	v_exp_f32_e32 v176, v176
	v_cmp_ngt_f32_e32 vcc, s57, v175
	v_ldexp_f32 v176, v176, v177
	v_cndmask_b32_e32 v176, 0, v176, vcc
	v_cmp_nlt_f32_e32 vcc, s68, v175
	v_cndmask_b32_e32 v175, v186, v176, vcc
	v_add_f32_e32 v175, 1.0, v175
	v_rcp_f32_e32 v175, v175
	v_fma_f32 v175, v175, -2.0, 1.0
.LBB30_61:                              ;   in Loop: Header=BB30_55 Depth=2
	s_andn2_saveexec_b64 s[76:77], s[76:77]
; %bb.62:                               ;   in Loop: Header=BB30_55 Depth=2
	v_mul_f32_e32 v175, v35, v35
	v_mov_b32_e32 v176, 0x3ca908c9
	v_fmac_f32_e32 v176, 0xbbbac73d, v175
	v_fma_f32 v176, v175, v176, v189
	v_fma_f32 v176, v175, v176, v190
	;; [unrolled: 1-line block ×3, first 2 shown]
	v_mul_f32_e64 v176, |v35|, v176
	v_fma_f32 v175, v175, v176, |v35|
; %bb.63:                               ;   in Loop: Header=BB30_55 Depth=2
	s_or_b64 exec, exec, s[76:77]
	v_cmp_nlt_f32_e64 s[76:77], |v36|, s45
                                        ; implicit-def: $vgpr176
	s_and_saveexec_b64 s[80:81], s[76:77]
	s_xor_b64 s[76:77], exec, s[80:81]
	s_cbranch_execz .LBB30_65
; %bb.64:                               ;   in Loop: Header=BB30_55 Depth=2
	v_add_f32_e64 v176, |v36|, |v36|
	v_mul_f32_e32 v177, 0x3fb8aa3b, v176
	v_rndne_f32_e32 v178, v177
	v_sub_f32_e32 v179, v177, v178
	v_fma_f32 v177, v176, s69, -v177
	v_fmac_f32_e32 v177, 0x32a5705f, v176
	v_add_f32_e32 v177, v179, v177
	v_cvt_i32_f32_e32 v178, v178
	v_exp_f32_e32 v177, v177
	v_cmp_ngt_f32_e32 vcc, s57, v176
	v_ldexp_f32 v177, v177, v178
	v_cndmask_b32_e32 v177, 0, v177, vcc
	v_cmp_nlt_f32_e32 vcc, s68, v176
	v_cndmask_b32_e32 v176, v186, v177, vcc
	v_add_f32_e32 v176, 1.0, v176
	v_rcp_f32_e32 v176, v176
	v_fma_f32 v176, v176, -2.0, 1.0
.LBB30_65:                              ;   in Loop: Header=BB30_55 Depth=2
	s_andn2_saveexec_b64 s[76:77], s[76:77]
; %bb.66:                               ;   in Loop: Header=BB30_55 Depth=2
	v_mul_f32_e32 v176, v36, v36
	v_mov_b32_e32 v177, 0x3ca908c9
	v_fmac_f32_e32 v177, 0xbbbac73d, v176
	v_fma_f32 v177, v176, v177, v189
	v_fma_f32 v177, v176, v177, v190
	;; [unrolled: 1-line block ×3, first 2 shown]
	v_mul_f32_e64 v177, |v36|, v177
	v_fma_f32 v176, v176, v177, |v36|
; %bb.67:                               ;   in Loop: Header=BB30_55 Depth=2
	s_or_b64 exec, exec, s[76:77]
	v_cmp_nlt_f32_e64 s[76:77], |v37|, s45
                                        ; implicit-def: $vgpr177
	s_and_saveexec_b64 s[80:81], s[76:77]
	s_xor_b64 s[76:77], exec, s[80:81]
	s_cbranch_execz .LBB30_69
; %bb.68:                               ;   in Loop: Header=BB30_55 Depth=2
	v_add_f32_e64 v177, |v37|, |v37|
	v_mul_f32_e32 v178, 0x3fb8aa3b, v177
	v_rndne_f32_e32 v179, v178
	v_sub_f32_e32 v180, v178, v179
	v_fma_f32 v178, v177, s69, -v178
	v_fmac_f32_e32 v178, 0x32a5705f, v177
	v_add_f32_e32 v178, v180, v178
	v_cvt_i32_f32_e32 v179, v179
	v_exp_f32_e32 v178, v178
	v_cmp_ngt_f32_e32 vcc, s57, v177
	v_ldexp_f32 v178, v178, v179
	v_cndmask_b32_e32 v178, 0, v178, vcc
	v_cmp_nlt_f32_e32 vcc, s68, v177
	v_cndmask_b32_e32 v177, v186, v178, vcc
	v_add_f32_e32 v177, 1.0, v177
	v_rcp_f32_e32 v177, v177
	v_fma_f32 v177, v177, -2.0, 1.0
.LBB30_69:                              ;   in Loop: Header=BB30_55 Depth=2
	s_andn2_saveexec_b64 s[76:77], s[76:77]
; %bb.70:                               ;   in Loop: Header=BB30_55 Depth=2
	v_mul_f32_e32 v177, v37, v37
	v_mov_b32_e32 v178, 0x3ca908c9
	v_fmac_f32_e32 v178, 0xbbbac73d, v177
	v_fma_f32 v178, v177, v178, v189
	v_fma_f32 v178, v177, v178, v190
	v_fma_f32 v178, v177, v178, v185
	v_mul_f32_e64 v178, |v37|, v178
	v_fma_f32 v177, v177, v178, |v37|
; %bb.71:                               ;   in Loop: Header=BB30_55 Depth=2
	s_or_b64 exec, exec, s[76:77]
	v_cmp_nlt_f32_e64 s[76:77], |v38|, s45
                                        ; implicit-def: $vgpr178
	s_and_saveexec_b64 s[80:81], s[76:77]
	s_xor_b64 s[76:77], exec, s[80:81]
	s_cbranch_execz .LBB30_73
; %bb.72:                               ;   in Loop: Header=BB30_55 Depth=2
	v_add_f32_e64 v178, |v38|, |v38|
	v_mul_f32_e32 v179, 0x3fb8aa3b, v178
	v_rndne_f32_e32 v180, v179
	v_sub_f32_e32 v181, v179, v180
	v_fma_f32 v179, v178, s69, -v179
	v_fmac_f32_e32 v179, 0x32a5705f, v178
	v_add_f32_e32 v179, v181, v179
	v_cvt_i32_f32_e32 v180, v180
	v_exp_f32_e32 v179, v179
	v_cmp_ngt_f32_e32 vcc, s57, v178
	v_ldexp_f32 v179, v179, v180
	v_cndmask_b32_e32 v179, 0, v179, vcc
	v_cmp_nlt_f32_e32 vcc, s68, v178
	v_cndmask_b32_e32 v178, v186, v179, vcc
	v_add_f32_e32 v178, 1.0, v178
	v_rcp_f32_e32 v178, v178
	v_fma_f32 v178, v178, -2.0, 1.0
.LBB30_73:                              ;   in Loop: Header=BB30_55 Depth=2
	s_andn2_saveexec_b64 s[76:77], s[76:77]
; %bb.74:                               ;   in Loop: Header=BB30_55 Depth=2
	v_mul_f32_e32 v178, v38, v38
	v_mov_b32_e32 v179, 0x3ca908c9
	v_fmac_f32_e32 v179, 0xbbbac73d, v178
	v_fma_f32 v179, v178, v179, v189
	v_fma_f32 v179, v178, v179, v190
	;; [unrolled: 1-line block ×3, first 2 shown]
	v_mul_f32_e64 v179, |v38|, v179
	v_fma_f32 v178, v178, v179, |v38|
; %bb.75:                               ;   in Loop: Header=BB30_55 Depth=2
	s_or_b64 exec, exec, s[76:77]
	v_cmp_nlt_f32_e64 s[76:77], |v39|, s45
                                        ; implicit-def: $vgpr179
	s_and_saveexec_b64 s[80:81], s[76:77]
	s_xor_b64 s[76:77], exec, s[80:81]
	s_cbranch_execz .LBB30_77
; %bb.76:                               ;   in Loop: Header=BB30_55 Depth=2
	v_add_f32_e64 v179, |v39|, |v39|
	v_mul_f32_e32 v180, 0x3fb8aa3b, v179
	v_rndne_f32_e32 v181, v180
	v_sub_f32_e32 v183, v180, v181
	v_fma_f32 v180, v179, s69, -v180
	v_fmac_f32_e32 v180, 0x32a5705f, v179
	v_add_f32_e32 v180, v183, v180
	v_cvt_i32_f32_e32 v181, v181
	v_exp_f32_e32 v180, v180
	v_cmp_ngt_f32_e32 vcc, s57, v179
	v_ldexp_f32 v180, v180, v181
	v_cndmask_b32_e32 v180, 0, v180, vcc
	v_cmp_nlt_f32_e32 vcc, s68, v179
	v_cndmask_b32_e32 v179, v186, v180, vcc
	v_add_f32_e32 v179, 1.0, v179
	v_rcp_f32_e32 v179, v179
	v_fma_f32 v179, v179, -2.0, 1.0
.LBB30_77:                              ;   in Loop: Header=BB30_55 Depth=2
	s_andn2_saveexec_b64 s[76:77], s[76:77]
; %bb.78:                               ;   in Loop: Header=BB30_55 Depth=2
	v_mul_f32_e32 v179, v39, v39
	v_mov_b32_e32 v180, 0x3ca908c9
	v_fmac_f32_e32 v180, 0xbbbac73d, v179
	v_fma_f32 v180, v179, v180, v189
	v_fma_f32 v180, v179, v180, v190
	;; [unrolled: 1-line block ×3, first 2 shown]
	v_mul_f32_e64 v180, |v39|, v180
	v_fma_f32 v179, v179, v180, |v39|
; %bb.79:                               ;   in Loop: Header=BB30_55 Depth=2
	s_or_b64 exec, exec, s[76:77]
	v_cmp_nlt_f32_e64 s[76:77], |v40|, s45
                                        ; implicit-def: $vgpr180
	s_and_saveexec_b64 s[80:81], s[76:77]
	s_xor_b64 s[76:77], exec, s[80:81]
	s_cbranch_execz .LBB30_81
; %bb.80:                               ;   in Loop: Header=BB30_55 Depth=2
	v_add_f32_e64 v180, |v40|, |v40|
	v_mul_f32_e32 v181, 0x3fb8aa3b, v180
	v_rndne_f32_e32 v183, v181
	v_sub_f32_e32 v184, v181, v183
	v_fma_f32 v181, v180, s69, -v181
	v_fmac_f32_e32 v181, 0x32a5705f, v180
	v_add_f32_e32 v181, v184, v181
	v_cvt_i32_f32_e32 v183, v183
	v_exp_f32_e32 v181, v181
	v_cmp_ngt_f32_e32 vcc, s57, v180
	v_ldexp_f32 v181, v181, v183
	v_cndmask_b32_e32 v181, 0, v181, vcc
	v_cmp_nlt_f32_e32 vcc, s68, v180
	v_cndmask_b32_e32 v180, v186, v181, vcc
	v_add_f32_e32 v180, 1.0, v180
	v_rcp_f32_e32 v180, v180
	v_fma_f32 v180, v180, -2.0, 1.0
.LBB30_81:                              ;   in Loop: Header=BB30_55 Depth=2
	s_andn2_saveexec_b64 s[76:77], s[76:77]
; %bb.82:                               ;   in Loop: Header=BB30_55 Depth=2
	v_mul_f32_e32 v180, v40, v40
	v_mov_b32_e32 v181, 0x3ca908c9
	v_fmac_f32_e32 v181, 0xbbbac73d, v180
	v_fma_f32 v181, v180, v181, v189
	v_fma_f32 v181, v180, v181, v190
	;; [unrolled: 1-line block ×3, first 2 shown]
	v_mul_f32_e64 v181, |v40|, v181
	v_fma_f32 v180, v180, v181, |v40|
; %bb.83:                               ;   in Loop: Header=BB30_55 Depth=2
	s_or_b64 exec, exec, s[76:77]
	v_cmp_nlt_f32_e64 s[76:77], |v41|, s45
                                        ; implicit-def: $vgpr181
	s_and_saveexec_b64 s[80:81], s[76:77]
	s_xor_b64 s[76:77], exec, s[80:81]
	s_cbranch_execz .LBB30_85
; %bb.84:                               ;   in Loop: Header=BB30_55 Depth=2
	v_add_f32_e64 v181, |v41|, |v41|
	v_mul_f32_e32 v183, 0x3fb8aa3b, v181
	v_rndne_f32_e32 v184, v183
	v_sub_f32_e32 v205, v183, v184
	v_fma_f32 v183, v181, s69, -v183
	v_fmac_f32_e32 v183, 0x32a5705f, v181
	v_add_f32_e32 v183, v205, v183
	v_cvt_i32_f32_e32 v184, v184
	v_exp_f32_e32 v183, v183
	v_cmp_ngt_f32_e32 vcc, s57, v181
	v_ldexp_f32 v183, v183, v184
	v_cndmask_b32_e32 v183, 0, v183, vcc
	v_cmp_nlt_f32_e32 vcc, s68, v181
	v_cndmask_b32_e32 v181, v186, v183, vcc
	v_add_f32_e32 v181, 1.0, v181
	v_rcp_f32_e32 v181, v181
	v_fma_f32 v181, v181, -2.0, 1.0
.LBB30_85:                              ;   in Loop: Header=BB30_55 Depth=2
	s_andn2_saveexec_b64 s[76:77], s[76:77]
; %bb.86:                               ;   in Loop: Header=BB30_55 Depth=2
	v_mul_f32_e32 v181, v41, v41
	v_mov_b32_e32 v183, 0x3ca908c9
	v_fmac_f32_e32 v183, 0xbbbac73d, v181
	v_fma_f32 v183, v181, v183, v189
	v_fma_f32 v183, v181, v183, v190
	;; [unrolled: 1-line block ×3, first 2 shown]
	v_mul_f32_e64 v183, |v41|, v183
	v_fma_f32 v181, v181, v183, |v41|
; %bb.87:                               ;   in Loop: Header=BB30_55 Depth=2
	s_or_b64 exec, exec, s[76:77]
	v_bfi_b32 v34, s7, v0, v34
	v_add_u32_e32 v0, 0x8400, v100
	v_bfi_b32 v37, s7, v177, v37
	v_bfi_b32 v36, s7, v176, v36
	;; [unrolled: 1-line block ×3, first 2 shown]
	ds_read2_b32 v[176:177], v0 offset1:1
	ds_read_b32 v0, v152 offset:33792
	ds_read_b32 v175, v153 offset:33792
	v_bfi_b32 v39, s7, v179, v39
	v_bfi_b32 v38, s7, v178, v38
	s_waitcnt lgkmcnt(2)
	v_cvt_f32_f16_e32 v178, v176
	v_cvt_f32_f16_sdwa v179, v176 dst_sel:DWORD dst_unused:UNUSED_PAD src0_sel:WORD_1
	v_bfi_b32 v41, s7, v181, v41
	v_bfi_b32 v40, s7, v180, v40
	s_mul_hi_i32 s77, s8, s30
	v_pk_fma_f32 v[178:179], v[34:35], s[40:41], v[178:179]
	v_add_f32_e32 v34, 0x40051340, v178
	v_add_f32_e32 v35, 0x40051340, v179
	v_max3_f32 v176, v174, v34, v35
	s_waitcnt lgkmcnt(0)
	v_cvt_f32_f16_sdwa v35, v175 dst_sel:DWORD dst_unused:UNUSED_PAD src0_sel:WORD_1
	v_cvt_f32_f16_e32 v34, v175
	s_mul_i32 s76, s8, s30
	s_lshl_b64 s[76:77], s[76:77], 2
	s_add_u32 s9, s85, s76
	v_pk_fma_f32 v[34:35], v[40:41], s[40:41], v[34:35]
	v_cvt_f32_f16_sdwa v41, v0 dst_sel:DWORD dst_unused:UNUSED_PAD src0_sel:WORD_1
	v_cvt_f32_f16_e32 v40, v0
	v_add_f32_e32 v175, 0x40051340, v34
	v_add_f32_e32 v180, 0x40051340, v35
	s_addc_u32 s76, s86, s77
	v_pk_fma_f32 v[40:41], v[38:39], s[40:41], v[40:41]
	v_cvt_f32_f16_e32 v38, v177
	v_cvt_f32_f16_sdwa v39, v177 dst_sel:DWORD dst_unused:UNUSED_PAD src0_sel:WORD_1
	v_add_f32_e32 v0, 0x40051340, v40
	v_add_f32_e32 v181, 0x40051340, v41
	s_add_i32 s78, s78, 1
	v_pk_fma_f32 v[36:37], v[36:37], s[40:41], v[38:39]
	v_add_f32_e32 v38, 0x40051340, v36
	v_add_f32_e32 v39, 0x40051340, v37
	v_max3_f32 v38, v176, v38, v39
	v_max3_f32 v0, v38, v0, v181
	;; [unrolled: 1-line block ×3, first 2 shown]
	ds_bpermute_b32 v38, v84, v0
	s_add_i32 s8, s8, 64
	s_cmp_lt_i32 s78, s79
	s_waitcnt lgkmcnt(0)
	v_max_f32_e32 v38, v38, v38
	v_max_f32_e32 v0, v0, v38
	ds_bpermute_b32 v38, v171, v0
	s_waitcnt lgkmcnt(0)
	v_max_f32_e32 v38, v38, v38
	v_max_f32_e32 v38, v0, v38
	v_pk_add_f32 v[176:177], v[178:179], v[38:39] op_sel_hi:[1,0] neg_lo:[0,1] neg_hi:[0,1]
	v_mul_f32_e32 v0, 0x3fb8aa3b, v177
	v_fma_f32 v39, v177, s69, -v0
	v_rndne_f32_e32 v175, v0
	v_fmac_f32_e32 v39, 0x32a5705f, v177
	v_sub_f32_e32 v0, v0, v175
	v_add_f32_e32 v0, v0, v39
	v_exp_f32_e32 v0, v0
	v_cvt_i32_f32_e32 v39, v175
	v_cmp_ngt_f32_e32 vcc, s57, v177
	v_ldexp_f32 v0, v0, v39
	v_cndmask_b32_e32 v0, 0, v0, vcc
	v_cmp_nlt_f32_e32 vcc, s68, v177
	v_cndmask_b32_e32 v175, v186, v0, vcc
	v_mul_f32_e32 v0, 0x3fb8aa3b, v176
	v_fma_f32 v39, v176, s69, -v0
	v_rndne_f32_e32 v177, v0
	v_fmac_f32_e32 v39, 0x32a5705f, v176
	v_sub_f32_e32 v0, v0, v177
	v_add_f32_e32 v0, v0, v39
	v_exp_f32_e32 v0, v0
	v_cvt_i32_f32_e32 v39, v177
	v_cmp_ngt_f32_e32 vcc, s57, v176
	v_ldexp_f32 v0, v0, v39
	v_cndmask_b32_e32 v0, 0, v0, vcc
	v_cmp_nlt_f32_e32 vcc, s68, v176
	v_pk_add_f32 v[36:37], v[36:37], v[38:39] op_sel_hi:[1,0] neg_lo:[0,1] neg_hi:[0,1]
	v_cndmask_b32_e32 v176, v186, v0, vcc
	v_mul_f32_e32 v0, 0x3fb8aa3b, v37
	v_fma_f32 v39, v37, s69, -v0
	v_rndne_f32_e32 v177, v0
	v_fmac_f32_e32 v39, 0x32a5705f, v37
	v_sub_f32_e32 v0, v0, v177
	v_add_f32_e32 v0, v0, v39
	v_exp_f32_e32 v0, v0
	v_cvt_i32_f32_e32 v39, v177
	v_cmp_ngt_f32_e32 vcc, s57, v37
	v_ldexp_f32 v0, v0, v39
	v_cndmask_b32_e32 v0, 0, v0, vcc
	v_cmp_nlt_f32_e32 vcc, s68, v37
	v_cndmask_b32_e32 v177, v186, v0, vcc
	v_mul_f32_e32 v0, 0x3fb8aa3b, v36
	v_fma_f32 v37, v36, s69, -v0
	v_rndne_f32_e32 v39, v0
	v_fmac_f32_e32 v37, 0x32a5705f, v36
	v_sub_f32_e32 v0, v0, v39
	v_add_f32_e32 v0, v0, v37
	v_exp_f32_e32 v0, v0
	v_cvt_i32_f32_e32 v37, v39
	v_cmp_ngt_f32_e32 vcc, s57, v36
	v_ldexp_f32 v0, v0, v37
	v_cndmask_b32_e32 v0, 0, v0, vcc
	v_cmp_nlt_f32_e32 vcc, s68, v36
	v_pk_add_f32 v[36:37], v[40:41], v[38:39] op_sel_hi:[1,0] neg_lo:[0,1] neg_hi:[0,1]
	v_cndmask_b32_e32 v178, v186, v0, vcc
	v_mul_f32_e32 v0, 0x3fb8aa3b, v37
	v_fma_f32 v39, v37, s69, -v0
	v_rndne_f32_e32 v40, v0
	v_fmac_f32_e32 v39, 0x32a5705f, v37
	v_sub_f32_e32 v0, v0, v40
	v_add_f32_e32 v0, v0, v39
	v_exp_f32_e32 v0, v0
	v_cvt_i32_f32_e32 v39, v40
	v_cmp_ngt_f32_e32 vcc, s57, v37
	v_ldexp_f32 v0, v0, v39
	v_cndmask_b32_e32 v0, 0, v0, vcc
	v_cmp_nlt_f32_e32 vcc, s68, v37
	v_cndmask_b32_e32 v179, v186, v0, vcc
	v_mul_f32_e32 v0, 0x3fb8aa3b, v36
	v_fma_f32 v37, v36, s69, -v0
	v_rndne_f32_e32 v39, v0
	v_fmac_f32_e32 v37, 0x32a5705f, v36
	v_sub_f32_e32 v0, v0, v39
	v_add_f32_e32 v0, v0, v37
	v_exp_f32_e32 v0, v0
	v_cvt_i32_f32_e32 v37, v39
	v_cmp_ngt_f32_e32 vcc, s57, v36
	v_pk_add_f32 v[34:35], v[34:35], v[38:39] op_sel_hi:[1,0] neg_lo:[0,1] neg_hi:[0,1]
	v_ldexp_f32 v0, v0, v37
	v_cndmask_b32_e32 v0, 0, v0, vcc
	v_cmp_nlt_f32_e32 vcc, s68, v36
	v_cndmask_b32_e32 v180, v186, v0, vcc
	v_mul_f32_e32 v0, 0x3fb8aa3b, v35
	v_fma_f32 v36, v35, s69, -v0
	v_rndne_f32_e32 v37, v0
	v_fmac_f32_e32 v36, 0x32a5705f, v35
	v_sub_f32_e32 v0, v0, v37
	v_add_f32_e32 v0, v0, v36
	v_exp_f32_e32 v0, v0
	v_cvt_i32_f32_e32 v36, v37
	v_cmp_ngt_f32_e32 vcc, s57, v35
	v_ldexp_f32 v0, v0, v36
	v_cndmask_b32_e32 v0, 0, v0, vcc
	v_cmp_nlt_f32_e32 vcc, s68, v35
	v_cndmask_b32_e32 v35, v186, v0, vcc
	v_mul_f32_e32 v0, 0x3fb8aa3b, v34
	v_fma_f32 v36, v34, s69, -v0
	v_rndne_f32_e32 v37, v0
	v_fmac_f32_e32 v36, 0x32a5705f, v34
	v_sub_f32_e32 v0, v0, v37
	v_add_f32_e32 v0, v0, v36
	v_exp_f32_e32 v0, v0
	v_cvt_i32_f32_e32 v36, v37
	v_cmp_ngt_f32_e32 vcc, s57, v34
	v_ldexp_f32 v0, v0, v36
	v_cndmask_b32_e32 v0, 0, v0, vcc
	v_cmp_nlt_f32_e32 vcc, s68, v34
	v_cndmask_b32_e32 v181, v186, v0, vcc
	v_add_f32_e32 v0, v176, v175
	v_add_f32_e32 v0, v178, v0
	;; [unrolled: 1-line block ×7, first 2 shown]
	v_sub_f32_e32 v0, v174, v38
	v_mul_f32_e32 v34, 0x3fb8aa3b, v0
	v_fma_f32 v36, v0, s69, -v34
	v_rndne_f32_e32 v37, v34
	v_fmac_f32_e32 v36, 0x32a5705f, v0
	v_sub_f32_e32 v34, v34, v37
	v_add_f32_e32 v34, v34, v36
	v_exp_f32_e32 v34, v34
	v_cvt_i32_f32_e32 v36, v37
	v_cmp_ngt_f32_e32 vcc, s57, v0
	v_cvt_f16_f32_e32 v37, v178
	v_cvt_f16_f32_e32 v35, v35
	v_ldexp_f32 v34, v34, v36
	v_cndmask_b32_e32 v34, 0, v34, vcc
	v_cmp_nlt_f32_e32 vcc, s68, v0
	v_cndmask_b32_e32 v34, v186, v34, vcc
	v_cmp_le_f32_e32 vcc, s6, v0
	v_cndmask_b32_e32 v0, 0, v34, vcc
	v_cvt_f16_f32_e32 v34, v0
	v_fmac_f32_e32 v39, v173, v0
	v_cvt_f16_f32_e32 v36, v175
	v_pk_mul_f16 v63, v34, v63 op_sel_hi:[0,1]
	v_pk_mul_f16 v1, v34, v1 op_sel_hi:[0,1]
	;; [unrolled: 1-line block ×32, first 2 shown]
	v_cvt_f16_f32_e32 v34, v176
	v_cvt_f16_f32_e32 v76, v180
	v_mov_b32_e32 v81, s76
	v_pack_b32_f16 v36, v34, v36
	v_cvt_f16_f32_e32 v34, v177
	v_pack_b32_f16 v37, v37, v34
	v_cvt_f16_f32_e32 v34, v179
	;; [unrolled: 2-line block ×3, first 2 shown]
	v_pack_b32_f16 v35, v76, v35
	v_add_co_u32_e32 v76, vcc, s9, v46
	v_addc_co_u32_e32 v81, vcc, v81, v47, vcc
	v_add_co_u32_e32 v172, vcc, v76, v150
	v_addc_co_u32_e32 v173, vcc, 0, v81, vcc
	global_load_dwordx4 v[172:175], v[172:173], off
	v_add_co_u32_e32 v76, vcc, s9, v48
	v_mov_b32_e32 v81, s76
	v_addc_co_u32_e32 v81, vcc, v81, v49, vcc
	v_add_co_u32_e32 v176, vcc, v76, v150
	v_addc_co_u32_e32 v177, vcc, 0, v81, vcc
	v_add_co_u32_e32 v76, vcc, s9, v50
	v_mov_b32_e32 v81, s76
	v_addc_co_u32_e32 v81, vcc, v81, v51, vcc
	v_add_co_u32_e32 v178, vcc, v76, v150
	v_addc_co_u32_e32 v179, vcc, 0, v81, vcc
	;; [unrolled: 5-line block ×3, first 2 shown]
	s_waitcnt vmcnt(0)
	ds_write_b128 v98, v[172:175]
	global_load_dwordx4 v[172:175], v[176:177], off
	s_waitcnt vmcnt(0)
	ds_write_b128 v226, v[172:175]
	global_load_dwordx4 v[172:175], v[178:179], off
	;; [unrolled: 3-line block ×3, first 2 shown]
	s_waitcnt vmcnt(0)
	ds_write_b128 v228, v[172:175]
	s_waitcnt lgkmcnt(0)
	s_barrier
	ds_read_u16 v76, v102 offset:528
	ds_read_u16 v81, v102 offset:1056
	v_cvt_f32_f16_e32 v174, v1
	v_cvt_f32_f16_sdwa v175, v1 dst_sel:DWORD dst_unused:UNUSED_PAD src0_sel:WORD_1
	ds_read_u16 v1, v103
	ds_read_u16 v178, v103 offset:32
	v_cvt_f32_f16_e32 v172, v63
	v_cvt_f32_f16_sdwa v173, v63 dst_sel:DWORD dst_unused:UNUSED_PAD src0_sel:WORD_1
	s_waitcnt lgkmcnt(1)
	v_perm_b32 v177, v1, v81, s91
	ds_read_u16 v1, v101
	ds_read_u16 v81, v101 offset:32
	s_waitcnt lgkmcnt(1)
	v_perm_b32 v176, v76, v1, s91
	s_nop 1
	v_mfma_f32_16x16x16f16 v[172:175], v[176:177], v[36:37], v[172:175]
	ds_read_u16 v176, v101 offset:16896
	ds_read_u16 v179, v229 offset:528
	;; [unrolled: 1-line block ×4, first 2 shown]
	s_waitcnt lgkmcnt(2)
	v_perm_b32 v176, v179, v176, s91
	s_waitcnt lgkmcnt(0)
	v_perm_b32 v177, v180, v177, s91
	s_nop 2
	v_cvt_f16_f32_e32 v1, v172
	v_cvt_f16_f32_e32 v63, v173
	;; [unrolled: 1-line block ×4, first 2 shown]
	v_cvt_f32_f16_e32 v172, v1
	v_cvt_f32_f16_e32 v173, v63
	;; [unrolled: 1-line block ×4, first 2 shown]
	s_nop 1
	v_mfma_f32_16x16x16f16 v[172:175], v[176:177], v[34:35], v[172:175]
	s_nop 7
	s_nop 2
	v_cvt_f16_f32_e32 v1, v172
	v_cvt_f16_f32_e32 v63, v173
	;; [unrolled: 1-line block ×4, first 2 shown]
	v_cvt_f32_f16_sdwa v173, v67 dst_sel:DWORD dst_unused:UNUSED_PAD src0_sel:WORD_1
	v_pack_b32_f16 v63, v1, v63
	v_cvt_f32_f16_e32 v174, v65
	v_pack_b32_f16 v1, v76, v172
	ds_read_u16 v76, v230 offset:528
	ds_read_u16 v176, v230 offset:1056
	v_cvt_f32_f16_e32 v172, v67
	v_cvt_f32_f16_sdwa v175, v65 dst_sel:DWORD dst_unused:UNUSED_PAD src0_sel:WORD_1
	s_waitcnt lgkmcnt(0)
	v_perm_b32 v177, v178, v176, s91
	v_perm_b32 v176, v76, v81, s91
	s_nop 1
	v_mfma_f32_16x16x16f16 v[172:175], v[176:177], v[36:37], v[172:175]
	ds_read_u16 v176, v104 offset:16896
	ds_read_u16 v178, v134 offset:528
	;; [unrolled: 1-line block ×4, first 2 shown]
	s_waitcnt lgkmcnt(2)
	v_perm_b32 v176, v178, v176, s91
	s_waitcnt lgkmcnt(0)
	v_perm_b32 v177, v179, v177, s91
	s_nop 2
	v_cvt_f16_f32_e32 v65, v172
	v_cvt_f16_f32_e32 v67, v173
	;; [unrolled: 1-line block ×4, first 2 shown]
	v_cvt_f32_f16_e32 v172, v65
	v_cvt_f32_f16_e32 v173, v67
	v_cvt_f32_f16_e32 v174, v76
	v_cvt_f32_f16_e32 v175, v81
	s_nop 1
	v_mfma_f32_16x16x16f16 v[172:175], v[176:177], v[34:35], v[172:175]
	s_nop 7
	s_nop 2
	v_cvt_f16_f32_e32 v65, v172
	v_cvt_f16_f32_e32 v67, v173
	;; [unrolled: 1-line block ×4, first 2 shown]
	v_cvt_f32_f16_e32 v172, v73
	v_pack_b32_f16 v67, v65, v67
	v_cvt_f32_f16_sdwa v173, v73 dst_sel:DWORD dst_unused:UNUSED_PAD src0_sel:WORD_1
	v_pack_b32_f16 v65, v76, v81
	ds_read_u16 v76, v101 offset:64
	ds_read_u16 v81, v232 offset:528
	;; [unrolled: 1-line block ×4, first 2 shown]
	v_cvt_f32_f16_e32 v174, v72
	v_cvt_f32_f16_sdwa v175, v72 dst_sel:DWORD dst_unused:UNUSED_PAD src0_sel:WORD_1
	s_waitcnt lgkmcnt(2)
	v_perm_b32 v72, v81, v76, s91
	s_waitcnt lgkmcnt(0)
	v_perm_b32 v73, v177, v176, s91
	ds_read_u16 v176, v106 offset:16896
	ds_read_u16 v177, v135 offset:528
	;; [unrolled: 1-line block ×4, first 2 shown]
	v_mfma_f32_16x16x16f16 v[172:175], v[72:73], v[36:37], v[172:175]
	s_nop 7
	s_nop 2
	v_cvt_f16_f32_e32 v72, v172
	v_cvt_f16_f32_e32 v73, v173
	;; [unrolled: 1-line block ×4, first 2 shown]
	v_cvt_f32_f16_e32 v172, v72
	v_cvt_f32_f16_e32 v173, v73
	s_waitcnt lgkmcnt(0)
	v_perm_b32 v73, v179, v178, s91
	v_perm_b32 v72, v177, v176, s91
	v_cvt_f32_f16_e32 v174, v76
	v_cvt_f32_f16_e32 v175, v81
	s_nop 1
	v_mfma_f32_16x16x16f16 v[172:175], v[72:73], v[34:35], v[172:175]
	s_nop 7
	s_nop 2
	v_cvt_f16_f32_e32 v72, v172
	v_cvt_f16_f32_e32 v73, v173
	;; [unrolled: 1-line block ×4, first 2 shown]
	v_cvt_f32_f16_e32 v172, v75
	v_pack_b32_f16 v73, v72, v73
	v_cvt_f32_f16_sdwa v173, v75 dst_sel:DWORD dst_unused:UNUSED_PAD src0_sel:WORD_1
	v_pack_b32_f16 v72, v76, v81
	ds_read_u16 v76, v101 offset:96
	ds_read_u16 v81, v234 offset:528
	;; [unrolled: 1-line block ×4, first 2 shown]
	v_cvt_f32_f16_e32 v174, v74
	v_cvt_f32_f16_sdwa v175, v74 dst_sel:DWORD dst_unused:UNUSED_PAD src0_sel:WORD_1
	s_waitcnt lgkmcnt(2)
	v_perm_b32 v74, v81, v76, s91
	s_waitcnt lgkmcnt(0)
	v_perm_b32 v75, v177, v176, s91
	ds_read_u16 v176, v108 offset:16896
	ds_read_u16 v177, v136 offset:528
	ds_read_u16 v178, v235 offset:1056
	ds_read_u16 v179, v109 offset:16896
	v_mfma_f32_16x16x16f16 v[172:175], v[74:75], v[36:37], v[172:175]
	s_nop 7
	s_nop 2
	v_cvt_f16_f32_e32 v74, v172
	v_cvt_f16_f32_e32 v75, v173
	;; [unrolled: 1-line block ×4, first 2 shown]
	v_cvt_f32_f16_e32 v172, v74
	v_cvt_f32_f16_e32 v173, v75
	s_waitcnt lgkmcnt(0)
	v_perm_b32 v75, v179, v178, s91
	v_perm_b32 v74, v177, v176, s91
	v_cvt_f32_f16_e32 v174, v76
	v_cvt_f32_f16_e32 v175, v81
	s_nop 1
	v_mfma_f32_16x16x16f16 v[172:175], v[74:75], v[34:35], v[172:175]
	s_nop 7
	s_nop 2
	v_cvt_f16_f32_e32 v74, v172
	v_cvt_f16_f32_e32 v75, v173
	;; [unrolled: 1-line block ×4, first 2 shown]
	v_cvt_f32_f16_e32 v172, v78
	v_pack_b32_f16 v75, v74, v75
	v_cvt_f32_f16_sdwa v173, v78 dst_sel:DWORD dst_unused:UNUSED_PAD src0_sel:WORD_1
	v_pack_b32_f16 v74, v76, v81
	ds_read_u16 v76, v101 offset:128
	ds_read_u16 v81, v236 offset:528
	;; [unrolled: 1-line block ×4, first 2 shown]
	v_cvt_f32_f16_e32 v174, v0
	v_cvt_f32_f16_sdwa v175, v0 dst_sel:DWORD dst_unused:UNUSED_PAD src0_sel:WORD_1
	s_waitcnt lgkmcnt(0)
	v_perm_b32 v177, v177, v176, s91
	v_perm_b32 v176, v81, v76, s91
	s_nop 1
	v_mfma_f32_16x16x16f16 v[172:175], v[176:177], v[36:37], v[172:175]
	ds_read_u16 v176, v110 offset:16896
	ds_read_u16 v178, v137 offset:528
	;; [unrolled: 1-line block ×4, first 2 shown]
	s_waitcnt lgkmcnt(2)
	v_perm_b32 v176, v178, v176, s91
	s_waitcnt lgkmcnt(0)
	v_perm_b32 v177, v179, v177, s91
	s_nop 2
	v_cvt_f16_f32_e32 v0, v172
	v_cvt_f16_f32_e32 v76, v173
	;; [unrolled: 1-line block ×4, first 2 shown]
	v_cvt_f32_f16_e32 v172, v0
	v_cvt_f32_f16_e32 v173, v76
	v_cvt_f32_f16_e32 v174, v78
	v_cvt_f32_f16_e32 v175, v81
	s_nop 1
	v_mfma_f32_16x16x16f16 v[172:175], v[176:177], v[34:35], v[172:175]
	s_nop 7
	s_nop 2
	v_cvt_f16_f32_e32 v0, v172
	v_cvt_f16_f32_e32 v76, v173
	;; [unrolled: 1-line block ×4, first 2 shown]
	v_cvt_f32_f16_sdwa v173, v170 dst_sel:DWORD dst_unused:UNUSED_PAD src0_sel:WORD_1
	v_pack_b32_f16 v78, v0, v76
	v_cvt_f32_f16_e32 v174, v167
	v_pack_b32_f16 v76, v81, v172
	ds_read_u16 v0, v101 offset:160
	ds_read_u16 v81, v238 offset:528
	;; [unrolled: 1-line block ×4, first 2 shown]
	v_cvt_f32_f16_e32 v172, v170
	v_cvt_f32_f16_sdwa v175, v167 dst_sel:DWORD dst_unused:UNUSED_PAD src0_sel:WORD_1
	s_waitcnt lgkmcnt(0)
	v_perm_b32 v177, v177, v176, s91
	v_perm_b32 v176, v81, v0, s91
	s_nop 1
	v_mfma_f32_16x16x16f16 v[172:175], v[176:177], v[36:37], v[172:175]
	ds_read_u16 v176, v112 offset:16896
	ds_read_u16 v178, v138 offset:528
	;; [unrolled: 1-line block ×4, first 2 shown]
	s_waitcnt lgkmcnt(2)
	v_perm_b32 v176, v178, v176, s91
	s_waitcnt lgkmcnt(0)
	v_perm_b32 v177, v179, v177, s91
	s_nop 2
	v_cvt_f16_f32_e32 v0, v172
	v_cvt_f16_f32_e32 v81, v173
	;; [unrolled: 1-line block ×4, first 2 shown]
	v_cvt_f32_f16_e32 v172, v0
	v_cvt_f32_f16_e32 v173, v81
	v_cvt_f32_f16_e32 v174, v167
	v_cvt_f32_f16_e32 v175, v170
	s_nop 1
	v_mfma_f32_16x16x16f16 v[172:175], v[176:177], v[34:35], v[172:175]
	s_nop 7
	s_nop 2
	v_cvt_f16_f32_e32 v0, v172
	v_cvt_f16_f32_e32 v81, v173
	v_cvt_f16_f32_e32 v167, v174
	v_cvt_f16_f32_e32 v172, v175
	v_cvt_f32_f16_sdwa v173, v169 dst_sel:DWORD dst_unused:UNUSED_PAD src0_sel:WORD_1
	v_pack_b32_f16 v170, v0, v81
	ds_read_u16 v0, v101 offset:192
	ds_read_u16 v81, v240 offset:528
	ds_read_u16 v176, v240 offset:1056
	ds_read_u16 v177, v103 offset:192
	v_pack_b32_f16 v167, v167, v172
	v_cvt_f32_f16_e32 v172, v169
	v_cvt_f32_f16_e32 v174, v168
	v_cvt_f32_f16_sdwa v175, v168 dst_sel:DWORD dst_unused:UNUSED_PAD src0_sel:WORD_1
	s_waitcnt lgkmcnt(0)
	v_perm_b32 v169, v177, v176, s91
	v_perm_b32 v168, v81, v0, s91
	ds_read_u16 v176, v114 offset:16896
	ds_read_u16 v177, v139 offset:528
	;; [unrolled: 1-line block ×4, first 2 shown]
	v_mfma_f32_16x16x16f16 v[172:175], v[168:169], v[36:37], v[172:175]
	s_nop 7
	s_nop 2
	v_cvt_f16_f32_e32 v168, v174
	v_cvt_f16_f32_e32 v169, v175
	;; [unrolled: 1-line block ×4, first 2 shown]
	v_cvt_f32_f16_e32 v174, v168
	v_cvt_f32_f16_e32 v175, v169
	s_waitcnt lgkmcnt(0)
	v_perm_b32 v169, v179, v178, s91
	v_perm_b32 v168, v177, v176, s91
	v_cvt_f32_f16_e32 v172, v0
	v_cvt_f32_f16_e32 v173, v81
	s_nop 1
	v_mfma_f32_16x16x16f16 v[172:175], v[168:169], v[34:35], v[172:175]
	s_nop 7
	s_nop 2
	v_cvt_f16_f32_e32 v0, v172
	v_cvt_f16_f32_e32 v81, v173
	v_cvt_f16_f32_e32 v168, v174
	v_cvt_f16_f32_e32 v172, v175
	v_cvt_f32_f16_sdwa v173, v164 dst_sel:DWORD dst_unused:UNUSED_PAD src0_sel:WORD_1
	v_pack_b32_f16 v169, v0, v81
	ds_read_u16 v0, v101 offset:224
	ds_read_u16 v81, v242 offset:528
	ds_read_u16 v176, v242 offset:1056
	ds_read_u16 v177, v103 offset:224
	v_pack_b32_f16 v168, v168, v172
	v_cvt_f32_f16_e32 v172, v164
	v_cvt_f32_f16_e32 v174, v83
	v_cvt_f32_f16_sdwa v175, v83 dst_sel:DWORD dst_unused:UNUSED_PAD src0_sel:WORD_1
	s_waitcnt lgkmcnt(0)
	v_perm_b32 v177, v177, v176, s91
	v_perm_b32 v176, v81, v0, s91
	s_nop 1
	v_mfma_f32_16x16x16f16 v[172:175], v[176:177], v[36:37], v[172:175]
	ds_read_u16 v176, v116 offset:16896
	ds_read_u16 v178, v140 offset:528
	ds_read_u16 v177, v243 offset:1056
	ds_read_u16 v179, v117 offset:16896
	s_waitcnt lgkmcnt(2)
	v_perm_b32 v176, v178, v176, s91
	s_waitcnt lgkmcnt(0)
	v_perm_b32 v177, v179, v177, s91
	s_nop 2
	v_cvt_f16_f32_e32 v0, v172
	v_cvt_f16_f32_e32 v81, v173
	v_cvt_f16_f32_e32 v83, v174
	v_cvt_f16_f32_e32 v164, v175
	v_cvt_f32_f16_e32 v172, v0
	v_cvt_f32_f16_e32 v173, v81
	v_cvt_f32_f16_e32 v174, v83
	v_cvt_f32_f16_e32 v175, v164
	s_nop 1
	v_mfma_f32_16x16x16f16 v[172:175], v[176:177], v[34:35], v[172:175]
	s_nop 7
	s_nop 2
	v_cvt_f16_f32_e32 v0, v172
	v_cvt_f16_f32_e32 v81, v173
	v_cvt_f16_f32_e32 v83, v174
	v_cvt_f16_f32_e32 v172, v175
	v_cvt_f32_f16_sdwa v173, v166 dst_sel:DWORD dst_unused:UNUSED_PAD src0_sel:WORD_1
	v_pack_b32_f16 v164, v0, v81
	ds_read_u16 v0, v101 offset:256
	ds_read_u16 v81, v244 offset:528
	ds_read_u16 v176, v244 offset:1056
	ds_read_u16 v177, v103 offset:256
	v_pack_b32_f16 v83, v83, v172
	v_cvt_f32_f16_e32 v172, v166
	v_cvt_f32_f16_e32 v174, v165
	v_cvt_f32_f16_sdwa v175, v165 dst_sel:DWORD dst_unused:UNUSED_PAD src0_sel:WORD_1
	s_waitcnt lgkmcnt(0)
	v_perm_b32 v177, v177, v176, s91
	v_perm_b32 v176, v81, v0, s91
	s_nop 1
	v_mfma_f32_16x16x16f16 v[172:175], v[176:177], v[36:37], v[172:175]
	ds_read_u16 v176, v118 offset:16896
	ds_read_u16 v178, v141 offset:528
	ds_read_u16 v177, v245 offset:1056
	ds_read_u16 v179, v119 offset:16896
	s_waitcnt lgkmcnt(2)
	v_perm_b32 v176, v178, v176, s91
	s_waitcnt lgkmcnt(0)
	v_perm_b32 v177, v179, v177, s91
	s_nop 2
	v_cvt_f16_f32_e32 v0, v172
	v_cvt_f16_f32_e32 v81, v173
	v_cvt_f16_f32_e32 v165, v174
	v_cvt_f16_f32_e32 v166, v175
	v_cvt_f32_f16_e32 v172, v0
	v_cvt_f32_f16_e32 v173, v81
	;; [unrolled: 40-line block ×6, first 2 shown]
	v_cvt_f32_f16_e32 v174, v93
	v_cvt_f32_f16_e32 v175, v161
	s_nop 1
	v_mfma_f32_16x16x16f16 v[172:175], v[176:177], v[34:35], v[172:175]
	v_cvt_f32_f16_e32 v176, v162
	v_cvt_f32_f16_sdwa v177, v162 dst_sel:DWORD dst_unused:UNUSED_PAD src0_sel:WORD_1
	s_nop 7
	s_nop 0
	v_cvt_f16_f32_e32 v0, v172
	v_cvt_f16_f32_e32 v81, v173
	;; [unrolled: 1-line block ×4, first 2 shown]
	v_cvt_f32_f16_e32 v174, v163
	v_pack_b32_f16 v161, v0, v81
	v_cvt_f32_f16_sdwa v175, v163 dst_sel:DWORD dst_unused:UNUSED_PAD src0_sel:WORD_1
	v_pack_b32_f16 v93, v93, v172
	ds_read_u16 v0, v101 offset:416
	ds_read_u16 v81, v254 offset:528
	;; [unrolled: 1-line block ×4, first 2 shown]
	s_waitcnt lgkmcnt(2)
	v_perm_b32 v162, v81, v0, s91
	s_waitcnt lgkmcnt(0)
	v_perm_b32 v163, v173, v172, s91
	s_nop 1
	v_mfma_f32_16x16x16f16 v[172:175], v[162:163], v[36:37], v[174:177]
	s_nop 6
	ds_read_u16 v176, v128 offset:16896
	ds_read_u16 v177, v146 offset:528
	;; [unrolled: 1-line block ×4, first 2 shown]
	v_cvt_f16_f32_e32 v162, v174
	v_cvt_f16_f32_e32 v163, v175
	v_cvt_f16_f32_e32 v0, v172
	v_cvt_f16_f32_e32 v81, v173
	v_cvt_f32_f16_e32 v174, v162
	v_cvt_f32_f16_e32 v175, v163
	s_waitcnt lgkmcnt(0)
	v_perm_b32 v163, v179, v178, s91
	v_perm_b32 v162, v177, v176, s91
	v_cvt_f32_f16_e32 v172, v0
	v_cvt_f32_f16_e32 v173, v81
	s_nop 1
	v_mfma_f32_16x16x16f16 v[172:175], v[162:163], v[34:35], v[172:175]
	s_nop 7
	s_nop 2
	v_cvt_f16_f32_e32 v0, v172
	v_cvt_f16_f32_e32 v81, v173
	;; [unrolled: 1-line block ×4, first 2 shown]
	v_cvt_f32_f16_sdwa v173, v43 dst_sel:DWORD dst_unused:UNUSED_PAD src0_sel:WORD_1
	v_pack_b32_f16 v163, v0, v81
	ds_read_u16 v0, v101 offset:448
	ds_read_u16 v81, v204 offset:528
	;; [unrolled: 1-line block ×4, first 2 shown]
	v_pack_b32_f16 v162, v162, v172
	v_cvt_f32_f16_e32 v172, v43
	v_cvt_f32_f16_e32 v174, v42
	v_cvt_f32_f16_sdwa v175, v42 dst_sel:DWORD dst_unused:UNUSED_PAD src0_sel:WORD_1
	s_waitcnt lgkmcnt(0)
	v_perm_b32 v43, v177, v176, s91
	v_perm_b32 v42, v81, v0, s91
	ds_read_u16 v176, v130 offset:16896
	ds_read_u16 v177, v147 offset:528
	ds_read_u16 v178, v200 offset:1056
	ds_read_u16 v179, v131 offset:16896
	v_mfma_f32_16x16x16f16 v[172:175], v[42:43], v[36:37], v[172:175]
	s_nop 7
	s_nop 2
	v_cvt_f16_f32_e32 v42, v173
	v_cvt_f16_f32_e32 v43, v174
	;; [unrolled: 1-line block ×4, first 2 shown]
	v_cvt_f32_f16_e32 v173, v42
	v_cvt_f32_f16_e32 v174, v43
	s_waitcnt lgkmcnt(0)
	v_perm_b32 v43, v179, v178, s91
	v_perm_b32 v42, v177, v176, s91
	v_cvt_f32_f16_e32 v172, v0
	v_cvt_f32_f16_e32 v175, v81
	s_nop 1
	v_mfma_f32_16x16x16f16 v[172:175], v[42:43], v[34:35], v[172:175]
	s_nop 7
	s_nop 2
	v_cvt_f16_f32_e32 v0, v172
	v_cvt_f16_f32_e32 v42, v173
	;; [unrolled: 1-line block ×4, first 2 shown]
	v_cvt_f32_f16_sdwa v173, v41 dst_sel:DWORD dst_unused:UNUSED_PAD src0_sel:WORD_1
	v_pack_b32_f16 v43, v0, v42
	v_cvt_f32_f16_e32 v174, v40
	v_pack_b32_f16 v42, v81, v172
	ds_read_u16 v0, v101 offset:480
	ds_read_u16 v81, v201 offset:528
	;; [unrolled: 1-line block ×4, first 2 shown]
	v_cvt_f32_f16_e32 v172, v41
	v_cvt_f32_f16_sdwa v175, v40 dst_sel:DWORD dst_unused:UNUSED_PAD src0_sel:WORD_1
	s_waitcnt lgkmcnt(2)
	v_perm_b32 v40, v81, v0, s91
	s_waitcnt lgkmcnt(0)
	v_perm_b32 v41, v177, v176, s91
	s_nop 1
	v_mfma_f32_16x16x16f16 v[172:175], v[40:41], v[36:37], v[172:175]
	ds_read_u16 v41, v132 offset:16896
	ds_read_u16 v81, v148 offset:528
	;; [unrolled: 1-line block ×4, first 2 shown]
	s_waitcnt lgkmcnt(0)
	s_barrier
	s_nop 4
	v_cvt_f16_f32_e32 v36, v173
	v_cvt_f16_f32_e32 v37, v174
	;; [unrolled: 1-line block ×4, first 2 shown]
	v_cvt_f32_f16_e32 v173, v36
	v_cvt_f32_f16_e32 v174, v37
	v_perm_b32 v37, v177, v176, s91
	v_perm_b32 v36, v81, v41, s91
	v_cvt_f32_f16_e32 v172, v0
	v_cvt_f32_f16_e32 v175, v40
	s_nop 1
	v_mfma_f32_16x16x16f16 v[34:37], v[36:37], v[34:35], v[172:175]
	s_nop 7
	s_nop 2
	v_cvt_f16_f32_e32 v0, v34
	v_cvt_f16_f32_e32 v34, v35
	;; [unrolled: 1-line block ×4, first 2 shown]
	v_pack_b32_f16 v81, v0, v34
	v_pack_b32_f16 v172, v35, v36
	s_cbranch_scc0 .LBB30_89
; %bb.88:                               ;   in Loop: Header=BB30_55 Depth=2
	v_mov_b32_e32 v173, v39
	v_mov_b32_e32 v174, v38
	s_branch .LBB30_55
.LBB30_89:                              ;   in Loop: Header=BB30_14 Depth=1
	s_lshl_b32 s8, s78, 6
	s_ashr_i32 s9, s8, 31
	s_lshl_b64 s[76:77], s[8:9], 1
	v_add_co_u32_e32 v0, vcc, s76, v182
	v_mov_b32_e32 v34, s77
	v_addc_co_u32_e32 v34, vcc, v187, v34, vcc
	v_add_co_u32_e32 v0, vcc, v0, v70
	v_addc_co_u32_e32 v35, vcc, v34, v71, vcc
	v_lshlrev_b32_e32 v34, 1, v44
	v_add_co_u32_e32 v34, vcc, v0, v34
	v_addc_co_u32_e32 v35, vcc, 0, v35, vcc
	global_load_dword v0, v[34:35], off
	s_mul_hi_i32 s77, s42, s8
	s_mul_i32 s76, s42, s8
	s_lshl_b64 s[76:77], s[76:77], 2
	s_add_u32 s9, s83, s76
	s_addc_u32 s76, s64, s77
	v_mov_b32_e32 v34, s76
	s_waitcnt vmcnt(0)
	ds_write_b32 v151, v0 offset:33792
	v_add_co_u32_e32 v0, vcc, s9, v54
	v_addc_co_u32_e32 v35, vcc, v34, v55, vcc
	v_add_co_u32_e32 v34, vcc, v0, v150
	v_addc_co_u32_e32 v35, vcc, 0, v35, vcc
	global_load_dwordx4 v[34:37], v[34:35], off
	v_add_co_u32_e32 v0, vcc, s9, v56
	s_waitcnt vmcnt(0)
	ds_write_b128 v98, v[34:37]
	v_mov_b32_e32 v34, s76
	v_addc_co_u32_e32 v35, vcc, v34, v57, vcc
	v_add_co_u32_e32 v34, vcc, v0, v150
	v_addc_co_u32_e32 v35, vcc, 0, v35, vcc
	global_load_dwordx4 v[34:37], v[34:35], off
	v_add_co_u32_e32 v0, vcc, s9, v58
	s_waitcnt vmcnt(0)
	ds_write_b128 v226, v[34:37]
	v_mov_b32_e32 v34, s76
	;; [unrolled: 8-line block ×3, first 2 shown]
	v_addc_co_u32_e32 v35, vcc, v34, v61, vcc
	v_add_co_u32_e32 v34, vcc, v0, v150
	v_addc_co_u32_e32 v35, vcc, 0, v35, vcc
	global_load_dwordx4 v[34:37], v[34:35], off
	v_add_u32_e32 v0, 0x4000, v99
	s_waitcnt vmcnt(0)
	ds_write_b128 v228, v[34:37]
	s_waitcnt lgkmcnt(0)
	s_barrier
	ds_read2_b64 v[34:37], v99 offset1:4
	s_waitcnt lgkmcnt(0)
	v_mfma_f32_16x16x16f16 v[174:177], v[34:35], v[30:31], 0
	v_mfma_f32_16x16x16f16 v[34:37], v[36:37], v[32:33], v[174:177]
	s_nop 7
	s_nop 1
	ds_read2_b64 v[174:177], v99 offset0:8 offset1:12
	s_waitcnt lgkmcnt(0)
	v_mfma_f32_16x16x16f16 v[34:37], v[174:175], v[26:27], v[34:37]
	v_mfma_f32_16x16x16f16 v[34:37], v[176:177], v[28:29], v[34:37]
	ds_read2_b64 v[174:177], v99 offset0:16 offset1:20
	s_waitcnt lgkmcnt(0)
	v_mfma_f32_16x16x16f16 v[34:37], v[174:175], v[22:23], v[34:37]
	v_mfma_f32_16x16x16f16 v[34:37], v[176:177], v[24:25], v[34:37]
	;; [unrolled: 4-line block ×7, first 2 shown]
	ds_read2_b64 v[174:177], v0 offset0:64 offset1:68
	s_waitcnt lgkmcnt(0)
	v_mfma_f32_16x16x16f16 v[178:181], v[174:175], v[30:31], 0
	s_nop 7
	v_cmp_nlt_f32_e64 s[76:77], |v34|, s45
	v_mfma_f32_16x16x16f16 v[30:33], v[176:177], v[32:33], v[178:181]
	ds_read2_b64 v[174:177], v0 offset0:72 offset1:76
	s_waitcnt lgkmcnt(0)
	v_mfma_f32_16x16x16f16 v[30:33], v[174:175], v[26:27], v[30:33]
	v_mfma_f32_16x16x16f16 v[26:29], v[176:177], v[28:29], v[30:33]
	s_nop 7
	s_nop 1
	ds_read2_b64 v[30:33], v0 offset0:80 offset1:84
	s_waitcnt lgkmcnt(0)
	v_mfma_f32_16x16x16f16 v[26:29], v[30:31], v[22:23], v[26:29]
	v_mfma_f32_16x16x16f16 v[22:25], v[32:33], v[24:25], v[26:29]
	s_nop 7
	s_nop 1
	;; [unrolled: 6-line block ×6, first 2 shown]
	ds_read2_b64 v[10:13], v0 offset0:120 offset1:124
	s_waitcnt lgkmcnt(0)
	v_mfma_f32_16x16x16f16 v[6:9], v[10:11], v[2:3], v[6:9]
	s_barrier
	s_waitcnt lgkmcnt(0)
                                        ; implicit-def: $vgpr0
	v_mfma_f32_16x16x16f16 v[2:5], v[12:13], v[4:5], v[6:9]
	s_and_saveexec_b64 s[78:79], s[76:77]
	s_xor_b64 s[76:77], exec, s[78:79]
	s_cbranch_execz .LBB30_91
; %bb.90:                               ;   in Loop: Header=BB30_14 Depth=1
	v_add_f32_e64 v0, |v34|, |v34|
	s_nop 3
	v_mul_f32_e32 v6, 0x3fb8aa3b, v0
	v_rndne_f32_e32 v7, v6
	v_sub_f32_e32 v8, v6, v7
	v_fma_f32 v6, v0, s69, -v6
	v_fmac_f32_e32 v6, 0x32a5705f, v0
	v_add_f32_e32 v6, v8, v6
	v_cvt_i32_f32_e32 v7, v7
	v_exp_f32_e32 v6, v6
	v_cmp_ngt_f32_e32 vcc, s57, v0
	v_ldexp_f32 v6, v6, v7
	v_cndmask_b32_e32 v6, 0, v6, vcc
	v_cmp_nlt_f32_e32 vcc, s68, v0
	v_cndmask_b32_e32 v0, v186, v6, vcc
	v_add_f32_e32 v0, 1.0, v0
	v_rcp_f32_e32 v0, v0
	v_fma_f32 v0, v0, -2.0, 1.0
.LBB30_91:                              ;   in Loop: Header=BB30_14 Depth=1
	s_andn2_saveexec_b64 s[76:77], s[76:77]
; %bb.92:                               ;   in Loop: Header=BB30_14 Depth=1
	v_mul_f32_e32 v0, v34, v34
	s_nop 2
	v_mov_b32_e32 v6, 0x3ca908c9
	v_fmac_f32_e32 v6, 0xbbbac73d, v0
	v_fma_f32 v6, v0, v6, v189
	v_fma_f32 v6, v0, v6, v190
	;; [unrolled: 1-line block ×3, first 2 shown]
	v_mul_f32_e64 v6, |v34|, v6
	v_fma_f32 v0, v0, v6, |v34|
; %bb.93:                               ;   in Loop: Header=BB30_14 Depth=1
	s_or_b64 exec, exec, s[76:77]
	v_cmp_nlt_f32_e64 s[76:77], |v35|, s45
                                        ; implicit-def: $vgpr6
	s_and_saveexec_b64 s[78:79], s[76:77]
	s_xor_b64 s[76:77], exec, s[78:79]
	s_cbranch_execz .LBB30_95
; %bb.94:                               ;   in Loop: Header=BB30_14 Depth=1
	v_add_f32_e64 v6, |v35|, |v35|
	v_mul_f32_e32 v7, 0x3fb8aa3b, v6
	v_rndne_f32_e32 v8, v7
	v_sub_f32_e32 v9, v7, v8
	v_fma_f32 v7, v6, s69, -v7
	v_fmac_f32_e32 v7, 0x32a5705f, v6
	v_add_f32_e32 v7, v9, v7
	v_cvt_i32_f32_e32 v8, v8
	v_exp_f32_e32 v7, v7
	v_cmp_ngt_f32_e32 vcc, s57, v6
	v_ldexp_f32 v7, v7, v8
	v_cndmask_b32_e32 v7, 0, v7, vcc
	v_cmp_nlt_f32_e32 vcc, s68, v6
	v_cndmask_b32_e32 v6, v186, v7, vcc
	v_add_f32_e32 v6, 1.0, v6
	v_rcp_f32_e32 v6, v6
	v_fma_f32 v6, v6, -2.0, 1.0
.LBB30_95:                              ;   in Loop: Header=BB30_14 Depth=1
	s_andn2_saveexec_b64 s[76:77], s[76:77]
; %bb.96:                               ;   in Loop: Header=BB30_14 Depth=1
	v_mul_f32_e32 v6, v35, v35
	v_mov_b32_e32 v7, 0x3ca908c9
	v_fmac_f32_e32 v7, 0xbbbac73d, v6
	v_fma_f32 v7, v6, v7, v189
	v_fma_f32 v7, v6, v7, v190
	;; [unrolled: 1-line block ×3, first 2 shown]
	v_mul_f32_e64 v7, |v35|, v7
	v_fma_f32 v6, v6, v7, |v35|
; %bb.97:                               ;   in Loop: Header=BB30_14 Depth=1
	s_or_b64 exec, exec, s[76:77]
	v_cmp_nlt_f32_e64 s[76:77], |v36|, s45
                                        ; implicit-def: $vgpr7
	s_and_saveexec_b64 s[78:79], s[76:77]
	s_xor_b64 s[76:77], exec, s[78:79]
	s_cbranch_execz .LBB30_99
; %bb.98:                               ;   in Loop: Header=BB30_14 Depth=1
	v_add_f32_e64 v7, |v36|, |v36|
	v_mul_f32_e32 v8, 0x3fb8aa3b, v7
	v_rndne_f32_e32 v9, v8
	v_sub_f32_e32 v10, v8, v9
	v_fma_f32 v8, v7, s69, -v8
	v_fmac_f32_e32 v8, 0x32a5705f, v7
	v_add_f32_e32 v8, v10, v8
	v_cvt_i32_f32_e32 v9, v9
	v_exp_f32_e32 v8, v8
	v_cmp_ngt_f32_e32 vcc, s57, v7
	v_ldexp_f32 v8, v8, v9
	v_cndmask_b32_e32 v8, 0, v8, vcc
	v_cmp_nlt_f32_e32 vcc, s68, v7
	v_cndmask_b32_e32 v7, v186, v8, vcc
	v_add_f32_e32 v7, 1.0, v7
	v_rcp_f32_e32 v7, v7
	v_fma_f32 v7, v7, -2.0, 1.0
.LBB30_99:                              ;   in Loop: Header=BB30_14 Depth=1
	s_andn2_saveexec_b64 s[76:77], s[76:77]
; %bb.100:                              ;   in Loop: Header=BB30_14 Depth=1
	v_mul_f32_e32 v7, v36, v36
	v_mov_b32_e32 v8, 0x3ca908c9
	v_fmac_f32_e32 v8, 0xbbbac73d, v7
	v_fma_f32 v8, v7, v8, v189
	v_fma_f32 v8, v7, v8, v190
	;; [unrolled: 1-line block ×3, first 2 shown]
	v_mul_f32_e64 v8, |v36|, v8
	v_fma_f32 v7, v7, v8, |v36|
; %bb.101:                              ;   in Loop: Header=BB30_14 Depth=1
	s_or_b64 exec, exec, s[76:77]
	v_cmp_nlt_f32_e64 s[76:77], |v37|, s45
                                        ; implicit-def: $vgpr8
	s_and_saveexec_b64 s[78:79], s[76:77]
	s_xor_b64 s[76:77], exec, s[78:79]
	s_cbranch_execz .LBB30_103
; %bb.102:                              ;   in Loop: Header=BB30_14 Depth=1
	v_add_f32_e64 v8, |v37|, |v37|
	v_mul_f32_e32 v9, 0x3fb8aa3b, v8
	v_rndne_f32_e32 v10, v9
	v_sub_f32_e32 v11, v9, v10
	v_fma_f32 v9, v8, s69, -v9
	v_fmac_f32_e32 v9, 0x32a5705f, v8
	v_add_f32_e32 v9, v11, v9
	v_cvt_i32_f32_e32 v10, v10
	v_exp_f32_e32 v9, v9
	v_cmp_ngt_f32_e32 vcc, s57, v8
	v_ldexp_f32 v9, v9, v10
	v_cndmask_b32_e32 v9, 0, v9, vcc
	v_cmp_nlt_f32_e32 vcc, s68, v8
	v_cndmask_b32_e32 v8, v186, v9, vcc
	v_add_f32_e32 v8, 1.0, v8
	v_rcp_f32_e32 v8, v8
	v_fma_f32 v8, v8, -2.0, 1.0
.LBB30_103:                             ;   in Loop: Header=BB30_14 Depth=1
	s_andn2_saveexec_b64 s[76:77], s[76:77]
; %bb.104:                              ;   in Loop: Header=BB30_14 Depth=1
	v_mul_f32_e32 v8, v37, v37
	v_mov_b32_e32 v9, 0x3ca908c9
	v_fmac_f32_e32 v9, 0xbbbac73d, v8
	v_fma_f32 v9, v8, v9, v189
	v_fma_f32 v9, v8, v9, v190
	;; [unrolled: 1-line block ×3, first 2 shown]
	v_mul_f32_e64 v9, |v37|, v9
	v_fma_f32 v8, v8, v9, |v37|
; %bb.105:                              ;   in Loop: Header=BB30_14 Depth=1
	s_or_b64 exec, exec, s[76:77]
	v_cmp_nlt_f32_e64 s[76:77], |v2|, s45
                                        ; implicit-def: $vgpr9
	s_and_saveexec_b64 s[78:79], s[76:77]
	s_xor_b64 s[76:77], exec, s[78:79]
	s_cbranch_execz .LBB30_107
; %bb.106:                              ;   in Loop: Header=BB30_14 Depth=1
	v_add_f32_e64 v9, |v2|, |v2|
	v_mul_f32_e32 v10, 0x3fb8aa3b, v9
	v_rndne_f32_e32 v11, v10
	v_sub_f32_e32 v12, v10, v11
	v_fma_f32 v10, v9, s69, -v10
	v_fmac_f32_e32 v10, 0x32a5705f, v9
	v_add_f32_e32 v10, v12, v10
	v_cvt_i32_f32_e32 v11, v11
	v_exp_f32_e32 v10, v10
	v_cmp_ngt_f32_e32 vcc, s57, v9
	v_ldexp_f32 v10, v10, v11
	v_cndmask_b32_e32 v10, 0, v10, vcc
	v_cmp_nlt_f32_e32 vcc, s68, v9
	v_cndmask_b32_e32 v9, v186, v10, vcc
	v_add_f32_e32 v9, 1.0, v9
	v_rcp_f32_e32 v9, v9
	v_fma_f32 v9, v9, -2.0, 1.0
.LBB30_107:                             ;   in Loop: Header=BB30_14 Depth=1
	s_andn2_saveexec_b64 s[76:77], s[76:77]
; %bb.108:                              ;   in Loop: Header=BB30_14 Depth=1
	v_mul_f32_e32 v9, v2, v2
	v_mov_b32_e32 v10, 0x3ca908c9
	v_fmac_f32_e32 v10, 0xbbbac73d, v9
	v_fma_f32 v10, v9, v10, v189
	v_fma_f32 v10, v9, v10, v190
	;; [unrolled: 1-line block ×3, first 2 shown]
	v_mul_f32_e64 v10, |v2|, v10
	v_fma_f32 v9, v9, v10, |v2|
; %bb.109:                              ;   in Loop: Header=BB30_14 Depth=1
	s_or_b64 exec, exec, s[76:77]
	v_cmp_nlt_f32_e64 s[76:77], |v3|, s45
                                        ; implicit-def: $vgpr10
	s_and_saveexec_b64 s[78:79], s[76:77]
	s_xor_b64 s[76:77], exec, s[78:79]
	s_cbranch_execz .LBB30_111
; %bb.110:                              ;   in Loop: Header=BB30_14 Depth=1
	v_add_f32_e64 v10, |v3|, |v3|
	v_mul_f32_e32 v11, 0x3fb8aa3b, v10
	v_rndne_f32_e32 v12, v11
	v_sub_f32_e32 v13, v11, v12
	v_fma_f32 v11, v10, s69, -v11
	v_fmac_f32_e32 v11, 0x32a5705f, v10
	v_add_f32_e32 v11, v13, v11
	v_cvt_i32_f32_e32 v12, v12
	v_exp_f32_e32 v11, v11
	v_cmp_ngt_f32_e32 vcc, s57, v10
	v_ldexp_f32 v11, v11, v12
	v_cndmask_b32_e32 v11, 0, v11, vcc
	v_cmp_nlt_f32_e32 vcc, s68, v10
	v_cndmask_b32_e32 v10, v186, v11, vcc
	v_add_f32_e32 v10, 1.0, v10
	v_rcp_f32_e32 v10, v10
	v_fma_f32 v10, v10, -2.0, 1.0
.LBB30_111:                             ;   in Loop: Header=BB30_14 Depth=1
	s_andn2_saveexec_b64 s[76:77], s[76:77]
; %bb.112:                              ;   in Loop: Header=BB30_14 Depth=1
	v_mul_f32_e32 v10, v3, v3
	v_mov_b32_e32 v11, 0x3ca908c9
	v_fmac_f32_e32 v11, 0xbbbac73d, v10
	v_fma_f32 v11, v10, v11, v189
	v_fma_f32 v11, v10, v11, v190
	;; [unrolled: 1-line block ×3, first 2 shown]
	v_mul_f32_e64 v11, |v3|, v11
	v_fma_f32 v10, v10, v11, |v3|
; %bb.113:                              ;   in Loop: Header=BB30_14 Depth=1
	s_or_b64 exec, exec, s[76:77]
	v_cmp_nlt_f32_e64 s[76:77], |v4|, s45
                                        ; implicit-def: $vgpr11
	s_and_saveexec_b64 s[78:79], s[76:77]
	s_xor_b64 s[76:77], exec, s[78:79]
	s_cbranch_execz .LBB30_115
; %bb.114:                              ;   in Loop: Header=BB30_14 Depth=1
	v_add_f32_e64 v11, |v4|, |v4|
	v_mul_f32_e32 v12, 0x3fb8aa3b, v11
	v_rndne_f32_e32 v13, v12
	v_sub_f32_e32 v14, v12, v13
	v_fma_f32 v12, v11, s69, -v12
	v_fmac_f32_e32 v12, 0x32a5705f, v11
	v_add_f32_e32 v12, v14, v12
	v_cvt_i32_f32_e32 v13, v13
	v_exp_f32_e32 v12, v12
	v_cmp_ngt_f32_e32 vcc, s57, v11
	v_ldexp_f32 v12, v12, v13
	v_cndmask_b32_e32 v12, 0, v12, vcc
	v_cmp_nlt_f32_e32 vcc, s68, v11
	v_cndmask_b32_e32 v11, v186, v12, vcc
	v_add_f32_e32 v11, 1.0, v11
	v_rcp_f32_e32 v11, v11
	v_fma_f32 v11, v11, -2.0, 1.0
.LBB30_115:                             ;   in Loop: Header=BB30_14 Depth=1
	s_andn2_saveexec_b64 s[76:77], s[76:77]
; %bb.116:                              ;   in Loop: Header=BB30_14 Depth=1
	v_mul_f32_e32 v11, v4, v4
	v_mov_b32_e32 v12, 0x3ca908c9
	v_fmac_f32_e32 v12, 0xbbbac73d, v11
	v_fma_f32 v12, v11, v12, v189
	v_fma_f32 v12, v11, v12, v190
	;; [unrolled: 1-line block ×3, first 2 shown]
	v_mul_f32_e64 v12, |v4|, v12
	v_fma_f32 v11, v11, v12, |v4|
; %bb.117:                              ;   in Loop: Header=BB30_14 Depth=1
	s_or_b64 exec, exec, s[76:77]
	v_cmp_nlt_f32_e64 s[76:77], |v5|, s45
                                        ; implicit-def: $vgpr12
	s_and_saveexec_b64 s[78:79], s[76:77]
	s_xor_b64 s[76:77], exec, s[78:79]
	s_cbranch_execz .LBB30_119
; %bb.118:                              ;   in Loop: Header=BB30_14 Depth=1
	v_add_f32_e64 v12, |v5|, |v5|
	v_mul_f32_e32 v13, 0x3fb8aa3b, v12
	v_rndne_f32_e32 v14, v13
	v_sub_f32_e32 v15, v13, v14
	v_fma_f32 v13, v12, s69, -v13
	v_fmac_f32_e32 v13, 0x32a5705f, v12
	v_add_f32_e32 v13, v15, v13
	v_cvt_i32_f32_e32 v14, v14
	v_exp_f32_e32 v13, v13
	v_cmp_ngt_f32_e32 vcc, s57, v12
	v_ldexp_f32 v13, v13, v14
	v_cndmask_b32_e32 v13, 0, v13, vcc
	v_cmp_nlt_f32_e32 vcc, s68, v12
	v_cndmask_b32_e32 v12, v186, v13, vcc
	v_add_f32_e32 v12, 1.0, v12
	v_rcp_f32_e32 v12, v12
	v_fma_f32 v12, v12, -2.0, 1.0
.LBB30_119:                             ;   in Loop: Header=BB30_14 Depth=1
	s_andn2_saveexec_b64 s[76:77], s[76:77]
; %bb.120:                              ;   in Loop: Header=BB30_14 Depth=1
	v_mul_f32_e32 v12, v5, v5
	v_mov_b32_e32 v13, 0x3ca908c9
	v_fmac_f32_e32 v13, 0xbbbac73d, v12
	v_fma_f32 v13, v12, v13, v189
	v_fma_f32 v13, v12, v13, v190
	;; [unrolled: 1-line block ×3, first 2 shown]
	v_mul_f32_e64 v13, |v5|, v13
	v_fma_f32 v12, v12, v13, |v5|
; %bb.121:                              ;   in Loop: Header=BB30_14 Depth=1
	s_or_b64 exec, exec, s[76:77]
	v_bfi_b32 v15, s7, v10, v3
	v_and_b32_e32 v3, 64, v223
	v_bfi_b32 v14, s7, v9, v2
	v_bfi_b32 v5, s7, v12, v5
	;; [unrolled: 1-line block ×6, first 2 shown]
	v_add_u32_e32 v0, 0x8400, v100
	v_add_u32_e32 v12, 64, v3
	v_xor_b32_e32 v3, 32, v223
	v_bfi_b32 v4, s7, v11, v4
	ds_read2_b32 v[10:11], v0 offset1:1
	ds_read_b32 v0, v152 offset:33792
	ds_read_b32 v2, v153 offset:33792
	v_cmp_lt_i32_e32 vcc, v3, v12
	v_xor_b32_e32 v13, 16, v223
	v_cndmask_b32_e32 v3, v223, v3, vcc
	v_cmp_lt_i32_e32 vcc, v13, v12
	v_cndmask_b32_e32 v12, v223, v13, vcc
	v_lshlrev_b32_e32 v35, 2, v12
	s_waitcnt lgkmcnt(2)
	v_cvt_f32_f16_e32 v12, v10
	v_cvt_f32_f16_sdwa v13, v10 dst_sel:DWORD dst_unused:UNUSED_PAD src0_sel:WORD_1
	v_lshlrev_b32_e32 v3, 2, v3
	s_mul_hi_i32 s9, s8, s30
	s_mul_i32 s8, s8, s30
	v_pk_fma_f32 v[6:7], v[6:7], s[40:41], v[12:13]
	v_add_f32_e32 v10, 0x40051340, v6
	v_add_f32_e32 v12, 0x40051340, v7
	v_max3_f32 v16, v38, v10, v12
	s_waitcnt lgkmcnt(0)
	v_cvt_f32_f16_sdwa v13, v2 dst_sel:DWORD dst_unused:UNUSED_PAD src0_sel:WORD_1
	v_cvt_f32_f16_e32 v12, v2
	v_cvt_f32_f16_e32 v10, v11
	v_cvt_f32_f16_sdwa v11, v11 dst_sel:DWORD dst_unused:UNUSED_PAD src0_sel:WORD_1
	s_lshl_b64 s[8:9], s[8:9], 2
	v_pk_fma_f32 v[4:5], v[4:5], s[40:41], v[12:13]
	v_cvt_f32_f16_sdwa v13, v0 dst_sel:DWORD dst_unused:UNUSED_PAD src0_sel:WORD_1
	v_cvt_f32_f16_e32 v12, v0
	v_pk_fma_f32 v[8:9], v[8:9], s[40:41], v[10:11]
	v_add_f32_e32 v10, 0x40051340, v8
	v_add_f32_e32 v11, 0x40051340, v9
	v_pk_fma_f32 v[12:13], v[14:15], s[40:41], v[12:13]
	v_add_f32_e32 v0, 0x40051340, v12
	v_add_f32_e32 v14, 0x40051340, v13
	v_max3_f32 v10, v16, v10, v11
	v_add_f32_e32 v2, 0x40051340, v4
	v_add_f32_e32 v17, 0x40051340, v5
	v_max3_f32 v0, v10, v0, v14
	v_max3_f32 v0, v0, v2, v17
	ds_bpermute_b32 v2, v3, v0
	s_add_u32 s8, s85, s8
	s_addc_u32 s9, s86, s9
	s_cmp_eq_u64 s[74:75], 0
	s_waitcnt lgkmcnt(0)
	v_max_f32_e32 v2, v2, v2
	v_max_f32_e32 v0, v0, v2
	ds_bpermute_b32 v2, v35, v0
	s_waitcnt lgkmcnt(0)
	v_max_f32_e32 v2, v2, v2
	v_max_f32_e32 v2, v0, v2
	v_pk_add_f32 v[6:7], v[6:7], v[2:3] op_sel_hi:[1,0] neg_lo:[0,1] neg_hi:[0,1]
	v_mul_f32_e32 v0, 0x3fb8aa3b, v7
	v_fma_f32 v10, v7, s69, -v0
	v_rndne_f32_e32 v11, v0
	v_fmac_f32_e32 v10, 0x32a5705f, v7
	v_sub_f32_e32 v0, v0, v11
	v_add_f32_e32 v0, v0, v10
	v_exp_f32_e32 v0, v0
	v_cvt_i32_f32_e32 v10, v11
	v_cmp_ngt_f32_e32 vcc, s57, v7
	v_pk_add_f32 v[4:5], v[4:5], v[2:3] op_sel_hi:[1,0] neg_lo:[0,1] neg_hi:[0,1]
	v_ldexp_f32 v0, v0, v10
	v_cndmask_b32_e32 v0, 0, v0, vcc
	v_cmp_nlt_f32_e32 vcc, s68, v7
	v_cndmask_b32_e32 v20, v186, v0, vcc
	v_mul_f32_e32 v0, 0x3fb8aa3b, v6
	v_fma_f32 v7, v6, s69, -v0
	v_rndne_f32_e32 v10, v0
	v_fmac_f32_e32 v7, 0x32a5705f, v6
	v_sub_f32_e32 v0, v0, v10
	v_add_f32_e32 v0, v0, v7
	v_exp_f32_e32 v0, v0
	v_cvt_i32_f32_e32 v7, v10
	v_cmp_ngt_f32_e32 vcc, s57, v6
	v_ldexp_f32 v0, v0, v7
	v_cndmask_b32_e32 v0, 0, v0, vcc
	v_cmp_nlt_f32_e32 vcc, s68, v6
	v_pk_add_f32 v[6:7], v[8:9], v[2:3] op_sel_hi:[1,0] neg_lo:[0,1] neg_hi:[0,1]
	v_cndmask_b32_e32 v21, v186, v0, vcc
	v_mul_f32_e32 v0, 0x3fb8aa3b, v7
	v_fma_f32 v8, v7, s69, -v0
	v_rndne_f32_e32 v9, v0
	v_fmac_f32_e32 v8, 0x32a5705f, v7
	v_sub_f32_e32 v0, v0, v9
	v_add_f32_e32 v0, v0, v8
	v_exp_f32_e32 v0, v0
	v_cvt_i32_f32_e32 v8, v9
	v_cmp_ngt_f32_e32 vcc, s57, v7
	v_ldexp_f32 v0, v0, v8
	v_cndmask_b32_e32 v0, 0, v0, vcc
	v_cmp_nlt_f32_e32 vcc, s68, v7
	v_cndmask_b32_e32 v28, v186, v0, vcc
	v_mul_f32_e32 v0, 0x3fb8aa3b, v6
	v_fma_f32 v7, v6, s69, -v0
	v_rndne_f32_e32 v8, v0
	v_fmac_f32_e32 v7, 0x32a5705f, v6
	v_sub_f32_e32 v0, v0, v8
	v_add_f32_e32 v0, v0, v7
	v_exp_f32_e32 v0, v0
	v_cvt_i32_f32_e32 v7, v8
	v_cmp_ngt_f32_e32 vcc, s57, v6
	v_ldexp_f32 v0, v0, v7
	v_cndmask_b32_e32 v0, 0, v0, vcc
	v_cmp_nlt_f32_e32 vcc, s68, v6
	v_pk_add_f32 v[6:7], v[12:13], v[2:3] op_sel_hi:[1,0] neg_lo:[0,1] neg_hi:[0,1]
	v_cndmask_b32_e32 v37, v186, v0, vcc
	v_mul_f32_e32 v0, 0x3fb8aa3b, v7
	v_fma_f32 v8, v7, s69, -v0
	v_rndne_f32_e32 v9, v0
	v_fmac_f32_e32 v8, 0x32a5705f, v7
	v_sub_f32_e32 v0, v0, v9
	v_add_f32_e32 v0, v0, v8
	v_exp_f32_e32 v0, v0
	v_cvt_i32_f32_e32 v8, v9
	v_cmp_ngt_f32_e32 vcc, s57, v7
	v_ldexp_f32 v0, v0, v8
	v_cndmask_b32_e32 v0, 0, v0, vcc
	v_cmp_nlt_f32_e32 vcc, s68, v7
	v_cndmask_b32_e32 v41, v186, v0, vcc
	v_mul_f32_e32 v0, 0x3fb8aa3b, v6
	v_fma_f32 v7, v6, s69, -v0
	v_rndne_f32_e32 v8, v0
	v_fmac_f32_e32 v7, 0x32a5705f, v6
	v_sub_f32_e32 v0, v0, v8
	v_add_f32_e32 v0, v0, v7
	v_exp_f32_e32 v0, v0
	v_cvt_i32_f32_e32 v7, v8
	v_cmp_ngt_f32_e32 vcc, s57, v6
	v_ldexp_f32 v0, v0, v7
	v_cndmask_b32_e32 v0, 0, v0, vcc
	v_cmp_nlt_f32_e32 vcc, s68, v6
	v_cndmask_b32_e32 v70, v186, v0, vcc
	v_mul_f32_e32 v0, 0x3fb8aa3b, v5
	v_fma_f32 v6, v5, s69, -v0
	v_rndne_f32_e32 v7, v0
	v_fmac_f32_e32 v6, 0x32a5705f, v5
	v_sub_f32_e32 v0, v0, v7
	v_add_f32_e32 v0, v0, v6
	v_exp_f32_e32 v0, v0
	v_cvt_i32_f32_e32 v6, v7
	v_cmp_ngt_f32_e32 vcc, s57, v5
	v_ldexp_f32 v0, v0, v6
	v_cndmask_b32_e32 v0, 0, v0, vcc
	v_cmp_nlt_f32_e32 vcc, s68, v5
	v_cndmask_b32_e32 v71, v186, v0, vcc
	v_mul_f32_e32 v0, 0x3fb8aa3b, v4
	v_fma_f32 v5, v4, s69, -v0
	v_rndne_f32_e32 v6, v0
	v_fmac_f32_e32 v5, 0x32a5705f, v4
	v_sub_f32_e32 v0, v0, v6
	v_add_f32_e32 v0, v0, v5
	v_exp_f32_e32 v0, v0
	v_cvt_i32_f32_e32 v5, v6
	v_cmp_ngt_f32_e32 vcc, s57, v4
	v_ldexp_f32 v0, v0, v5
	v_cndmask_b32_e32 v0, 0, v0, vcc
	v_cmp_nlt_f32_e32 vcc, s68, v4
	v_cndmask_b32_e32 v80, v186, v0, vcc
	v_add_f32_e32 v0, v21, v20
	v_add_f32_e32 v0, v37, v0
	;; [unrolled: 1-line block ×7, first 2 shown]
	v_sub_f32_e32 v0, v38, v2
	v_mul_f32_e32 v4, 0x3fb8aa3b, v0
	v_fma_f32 v5, v0, s69, -v4
	v_rndne_f32_e32 v6, v4
	v_fmac_f32_e32 v5, 0x32a5705f, v0
	v_sub_f32_e32 v4, v4, v6
	v_add_f32_e32 v4, v4, v5
	v_exp_f32_e32 v4, v4
	v_cvt_i32_f32_e32 v5, v6
	v_cmp_ngt_f32_e32 vcc, s57, v0
	v_cvt_f16_f32_e32 v21, v21
	v_cvt_f16_f32_e32 v20, v20
	v_ldexp_f32 v4, v4, v5
	v_cndmask_b32_e32 v4, 0, v4, vcc
	v_cmp_nlt_f32_e32 vcc, s68, v0
	v_cndmask_b32_e32 v4, v186, v4, vcc
	v_cmp_le_f32_e32 vcc, s6, v0
	v_cndmask_b32_e32 v0, 0, v4, vcc
	v_cvt_f16_f32_e32 v36, v0
	v_fmac_f32_e32 v40, v39, v0
	v_pk_mul_f16 v14, v36, v63 op_sel_hi:[0,1]
	v_pk_mul_f16 v13, v36, v1 op_sel_hi:[0,1]
	;; [unrolled: 1-line block ×32, first 2 shown]
	v_pack_b32_f16 v36, v21, v20
	v_cvt_f16_f32_e32 v20, v28
	v_cvt_f16_f32_e32 v21, v37
	;; [unrolled: 1-line block ×3, first 2 shown]
	v_pack_b32_f16 v37, v21, v20
	v_cvt_f16_f32_e32 v20, v41
	v_cvt_f16_f32_e32 v21, v70
	v_mov_b32_e32 v41, s9
	v_pack_b32_f16 v20, v21, v20
	v_cvt_f16_f32_e32 v21, v71
	v_pack_b32_f16 v21, v28, v21
	v_add_co_u32_e32 v28, vcc, s8, v46
	v_addc_co_u32_e32 v41, vcc, v41, v47, vcc
	v_add_co_u32_e32 v42, vcc, v28, v150
	v_addc_co_u32_e32 v43, vcc, 0, v41, vcc
	global_load_dwordx4 v[70:73], v[42:43], off
	v_add_co_u32_e32 v28, vcc, s8, v48
	v_mov_b32_e32 v41, s9
	v_addc_co_u32_e32 v41, vcc, v41, v49, vcc
	v_add_co_u32_e32 v74, vcc, v28, v150
	v_addc_co_u32_e32 v75, vcc, 0, v41, vcc
	v_add_co_u32_e32 v28, vcc, s8, v50
	v_mov_b32_e32 v41, s9
	v_addc_co_u32_e32 v41, vcc, v41, v51, vcc
	v_add_co_u32_e32 v80, vcc, v28, v150
	v_addc_co_u32_e32 v81, vcc, 0, v41, vcc
	;; [unrolled: 5-line block ×3, first 2 shown]
	s_cselect_b64 s[8:9], -1, 0
	s_xor_b64 s[76:77], s[0:1], -1
	s_or_b64 s[8:9], s[76:77], s[8:9]
	s_waitcnt vmcnt(0)
	ds_write_b128 v98, v[70:73]
	global_load_dwordx4 v[70:73], v[74:75], off
	s_waitcnt vmcnt(0)
	ds_write_b128 v226, v[70:73]
	global_load_dwordx4 v[70:73], v[80:81], off
	;; [unrolled: 3-line block ×3, first 2 shown]
	s_waitcnt vmcnt(0)
	ds_write_b128 v228, v[70:73]
	s_waitcnt lgkmcnt(0)
	s_barrier
	ds_read_u16 v28, v102 offset:528
	ds_read_u16 v41, v102 offset:1056
	v_cvt_f32_f16_e32 v72, v13
	v_cvt_f32_f16_sdwa v73, v13 dst_sel:DWORD dst_unused:UNUSED_PAD src0_sel:WORD_1
	ds_read_u16 v13, v103
	ds_read_u16 v63, v103 offset:32
	v_cvt_f32_f16_e32 v70, v14
	v_cvt_f32_f16_sdwa v71, v14 dst_sel:DWORD dst_unused:UNUSED_PAD src0_sel:WORD_1
	s_waitcnt lgkmcnt(1)
	v_perm_b32 v43, v13, v41, s91
	ds_read_u16 v13, v101
	ds_read_u16 v41, v101 offset:32
	s_waitcnt lgkmcnt(1)
	v_perm_b32 v42, v28, v13, s91
	s_nop 1
	v_mfma_f32_16x16x16f16 v[70:73], v[42:43], v[36:37], v[70:73]
	ds_read_u16 v65, v101 offset:16896
	ds_read_u16 v67, v229 offset:528
	ds_read_u16 v43, v229 offset:1056
	ds_read_u16 v74, v103 offset:16896
	s_waitcnt lgkmcnt(0)
	v_perm_b32 v43, v74, v43, s91
	s_nop 4
	v_cvt_f16_f32_e32 v42, v73
	v_cvt_f16_f32_e32 v13, v70
	;; [unrolled: 1-line block ×4, first 2 shown]
	v_cvt_f32_f16_e32 v73, v42
	v_perm_b32 v42, v67, v65, s91
	v_cvt_f32_f16_e32 v70, v13
	v_cvt_f32_f16_e32 v71, v14
	;; [unrolled: 1-line block ×3, first 2 shown]
	s_nop 1
	v_mfma_f32_16x16x16f16 v[70:73], v[42:43], v[20:21], v[70:73]
	s_nop 7
	s_nop 2
	v_cvt_f16_f32_e32 v13, v70
	v_cvt_f16_f32_e32 v14, v71
	;; [unrolled: 1-line block ×4, first 2 shown]
	v_cvt_f32_f16_e32 v70, v16
	v_pack_b32_f16 v14, v13, v14
	v_cvt_f32_f16_sdwa v71, v16 dst_sel:DWORD dst_unused:UNUSED_PAD src0_sel:WORD_1
	v_pack_b32_f16 v13, v28, v42
	ds_read_u16 v28, v230 offset:528
	ds_read_u16 v42, v230 offset:1056
	v_cvt_f32_f16_e32 v72, v15
	v_cvt_f32_f16_sdwa v73, v15 dst_sel:DWORD dst_unused:UNUSED_PAD src0_sel:WORD_1
	s_waitcnt lgkmcnt(0)
	v_perm_b32 v43, v63, v42, s91
	v_perm_b32 v42, v28, v41, s91
	s_nop 1
	v_mfma_f32_16x16x16f16 v[70:73], v[42:43], v[36:37], v[70:73]
	ds_read_u16 v42, v104 offset:16896
	ds_read_u16 v63, v134 offset:528
	ds_read_u16 v43, v231 offset:1056
	ds_read_u16 v65, v105 offset:16896
	s_waitcnt lgkmcnt(2)
	v_perm_b32 v42, v63, v42, s91
	s_waitcnt lgkmcnt(0)
	v_perm_b32 v43, v65, v43, s91
	s_nop 2
	v_cvt_f16_f32_e32 v15, v70
	v_cvt_f16_f32_e32 v16, v71
	v_cvt_f16_f32_e32 v28, v72
	v_cvt_f16_f32_e32 v41, v73
	v_cvt_f32_f16_e32 v70, v15
	v_cvt_f32_f16_e32 v71, v16
	v_cvt_f32_f16_e32 v72, v28
	v_cvt_f32_f16_e32 v73, v41
	s_nop 1
	v_mfma_f32_16x16x16f16 v[70:73], v[42:43], v[20:21], v[70:73]
	s_nop 7
	s_nop 2
	v_cvt_f16_f32_e32 v15, v70
	v_cvt_f16_f32_e32 v16, v71
	v_cvt_f16_f32_e32 v28, v72
	v_cvt_f16_f32_e32 v41, v73
	v_cvt_f32_f16_e32 v70, v18
	v_pack_b32_f16 v16, v15, v16
	v_cvt_f32_f16_sdwa v71, v18 dst_sel:DWORD dst_unused:UNUSED_PAD src0_sel:WORD_1
	v_pack_b32_f16 v15, v28, v41
	ds_read_u16 v28, v101 offset:64
	ds_read_u16 v41, v232 offset:528
	ds_read_u16 v42, v232 offset:1056
	ds_read_u16 v43, v103 offset:64
	v_cvt_f32_f16_e32 v72, v17
	v_cvt_f32_f16_sdwa v73, v17 dst_sel:DWORD dst_unused:UNUSED_PAD src0_sel:WORD_1
	s_waitcnt lgkmcnt(0)
	v_perm_b32 v43, v43, v42, s91
	v_perm_b32 v42, v41, v28, s91
	s_nop 1
	v_mfma_f32_16x16x16f16 v[70:73], v[42:43], v[36:37], v[70:73]
	ds_read_u16 v42, v106 offset:16896
	ds_read_u16 v63, v135 offset:528
	ds_read_u16 v43, v233 offset:1056
	ds_read_u16 v65, v107 offset:16896
	s_waitcnt lgkmcnt(2)
	v_perm_b32 v42, v63, v42, s91
	s_waitcnt lgkmcnt(0)
	v_perm_b32 v43, v65, v43, s91
	s_nop 2
	v_cvt_f16_f32_e32 v17, v70
	v_cvt_f16_f32_e32 v18, v71
	v_cvt_f16_f32_e32 v28, v72
	v_cvt_f16_f32_e32 v41, v73
	v_cvt_f32_f16_e32 v70, v17
	v_cvt_f32_f16_e32 v71, v18
	v_cvt_f32_f16_e32 v72, v28
	v_cvt_f32_f16_e32 v73, v41
	s_nop 1
	v_mfma_f32_16x16x16f16 v[70:73], v[42:43], v[20:21], v[70:73]
	s_nop 7
	s_nop 2
	v_cvt_f16_f32_e32 v17, v70
	v_cvt_f16_f32_e32 v18, v71
	v_cvt_f16_f32_e32 v28, v72
	v_cvt_f16_f32_e32 v41, v73
	v_cvt_f32_f16_e32 v70, v24
	v_pack_b32_f16 v18, v17, v18
	v_cvt_f32_f16_sdwa v71, v24 dst_sel:DWORD dst_unused:UNUSED_PAD src0_sel:WORD_1
	v_pack_b32_f16 v17, v28, v41
	ds_read_u16 v28, v101 offset:96
	ds_read_u16 v41, v234 offset:528
	;; [unrolled: 40-line block ×7, first 2 shown]
	ds_read_u16 v42, v244 offset:1056
	ds_read_u16 v43, v103 offset:256
	v_cvt_f32_f16_e32 v70, v4
	v_cvt_f32_f16_sdwa v71, v4 dst_sel:DWORD dst_unused:UNUSED_PAD src0_sel:WORD_1
	s_waitcnt lgkmcnt(2)
	v_perm_b32 v0, v41, v0, s91
	s_waitcnt lgkmcnt(0)
	v_perm_b32 v1, v43, v42, s91
	ds_read_u16 v42, v118 offset:16896
	ds_read_u16 v43, v141 offset:528
	;; [unrolled: 1-line block ×4, first 2 shown]
	v_mfma_f32_16x16x16f16 v[70:73], v[0:1], v[36:37], v[70:73]
	s_nop 7
	s_nop 2
	v_cvt_f16_f32_e32 v0, v70
	v_cvt_f16_f32_e32 v1, v71
	;; [unrolled: 1-line block ×4, first 2 shown]
	v_cvt_f32_f16_e32 v70, v0
	v_cvt_f32_f16_e32 v71, v1
	s_waitcnt lgkmcnt(0)
	v_perm_b32 v1, v65, v63, s91
	v_perm_b32 v0, v43, v42, s91
	v_cvt_f32_f16_e32 v72, v4
	v_cvt_f32_f16_e32 v73, v41
	s_nop 1
	v_mfma_f32_16x16x16f16 v[70:73], v[0:1], v[20:21], v[70:73]
	s_nop 7
	s_nop 2
	v_cvt_f16_f32_e32 v0, v70
	v_cvt_f16_f32_e32 v1, v71
	v_cvt_f16_f32_e32 v41, v72
	v_cvt_f16_f32_e32 v42, v73
	v_cvt_f32_f16_e32 v70, v6
	v_pack_b32_f16 v4, v0, v1
	v_cvt_f32_f16_sdwa v71, v6 dst_sel:DWORD dst_unused:UNUSED_PAD src0_sel:WORD_1
	v_pack_b32_f16 v1, v41, v42
	ds_read_u16 v0, v101 offset:288
	ds_read_u16 v41, v246 offset:528
	ds_read_u16 v42, v246 offset:1056
	ds_read_u16 v43, v103 offset:288
	v_cvt_f32_f16_e32 v72, v5
	v_cvt_f32_f16_sdwa v73, v5 dst_sel:DWORD dst_unused:UNUSED_PAD src0_sel:WORD_1
	s_waitcnt lgkmcnt(0)
	v_perm_b32 v43, v43, v42, s91
	v_perm_b32 v42, v41, v0, s91
	s_nop 1
	v_mfma_f32_16x16x16f16 v[70:73], v[42:43], v[36:37], v[70:73]
	ds_read_u16 v42, v120 offset:16896
	ds_read_u16 v63, v142 offset:528
	ds_read_u16 v43, v247 offset:1056
	ds_read_u16 v65, v121 offset:16896
	s_waitcnt lgkmcnt(2)
	v_perm_b32 v42, v63, v42, s91
	s_waitcnt lgkmcnt(0)
	v_perm_b32 v43, v65, v43, s91
	s_nop 2
	v_cvt_f16_f32_e32 v0, v70
	v_cvt_f16_f32_e32 v5, v71
	v_cvt_f16_f32_e32 v6, v72
	v_cvt_f16_f32_e32 v41, v73
	v_cvt_f32_f16_e32 v70, v0
	v_cvt_f32_f16_e32 v71, v5
	v_cvt_f32_f16_e32 v72, v6
	v_cvt_f32_f16_e32 v73, v41
	s_nop 1
	v_mfma_f32_16x16x16f16 v[70:73], v[42:43], v[20:21], v[70:73]
	s_nop 7
	s_nop 2
	v_cvt_f16_f32_e32 v0, v70
	v_cvt_f16_f32_e32 v5, v71
	v_cvt_f16_f32_e32 v41, v72
	v_cvt_f16_f32_e32 v42, v73
	v_cvt_f32_f16_e32 v70, v8
	v_pack_b32_f16 v6, v0, v5
	v_cvt_f32_f16_sdwa v71, v8 dst_sel:DWORD dst_unused:UNUSED_PAD src0_sel:WORD_1
	v_pack_b32_f16 v5, v41, v42
	ds_read_u16 v0, v101 offset:320
	ds_read_u16 v41, v248 offset:528
	ds_read_u16 v42, v248 offset:1056
	ds_read_u16 v43, v103 offset:320
	v_cvt_f32_f16_e32 v72, v7
	v_cvt_f32_f16_sdwa v73, v7 dst_sel:DWORD dst_unused:UNUSED_PAD src0_sel:WORD_1
	s_waitcnt lgkmcnt(0)
	v_perm_b32 v43, v43, v42, s91
	v_perm_b32 v42, v41, v0, s91
	s_nop 1
	v_mfma_f32_16x16x16f16 v[70:73], v[42:43], v[36:37], v[70:73]
	ds_read_u16 v42, v122 offset:16896
	ds_read_u16 v63, v143 offset:528
	ds_read_u16 v43, v249 offset:1056
	ds_read_u16 v65, v123 offset:16896
	s_waitcnt lgkmcnt(2)
	v_perm_b32 v42, v63, v42, s91
	s_waitcnt lgkmcnt(0)
	v_perm_b32 v43, v65, v43, s91
	s_nop 2
	v_cvt_f16_f32_e32 v0, v70
	v_cvt_f16_f32_e32 v7, v71
	v_cvt_f16_f32_e32 v8, v72
	v_cvt_f16_f32_e32 v41, v73
	v_cvt_f32_f16_e32 v70, v0
	v_cvt_f32_f16_e32 v71, v7
	;; [unrolled: 40-line block ×6, first 2 shown]
	v_cvt_f32_f16_e32 v72, v26
	v_cvt_f32_f16_e32 v73, v41
	s_nop 1
	v_mfma_f32_16x16x16f16 v[70:73], v[42:43], v[20:21], v[70:73]
	s_nop 7
	s_nop 2
	v_cvt_f16_f32_e32 v0, v70
	v_cvt_f16_f32_e32 v25, v71
	;; [unrolled: 1-line block ×4, first 2 shown]
	v_cvt_f32_f16_e32 v70, v39
	v_pack_b32_f16 v26, v0, v25
	v_cvt_f32_f16_sdwa v71, v39 dst_sel:DWORD dst_unused:UNUSED_PAD src0_sel:WORD_1
	v_pack_b32_f16 v25, v41, v42
	ds_read_u16 v0, v101 offset:480
	ds_read_u16 v41, v201 offset:528
	;; [unrolled: 1-line block ×4, first 2 shown]
	v_cvt_f32_f16_e32 v72, v38
	v_cvt_f32_f16_sdwa v73, v38 dst_sel:DWORD dst_unused:UNUSED_PAD src0_sel:WORD_1
	s_waitcnt lgkmcnt(2)
	v_perm_b32 v38, v41, v0, s91
	s_waitcnt lgkmcnt(0)
	v_perm_b32 v39, v43, v42, s91
	s_nop 1
	v_mfma_f32_16x16x16f16 v[36:39], v[38:39], v[36:37], v[70:73]
	s_nop 7
	s_nop 2
	v_cvt_f16_f32_e32 v0, v36
	v_cvt_f16_f32_e32 v36, v37
	;; [unrolled: 1-line block ×4, first 2 shown]
	ds_read_u16 v39, v132 offset:16896
	ds_read_u16 v41, v148 offset:528
	;; [unrolled: 1-line block ×4, first 2 shown]
	v_cvt_f32_f16_e32 v71, v36
	v_cvt_f32_f16_e32 v72, v37
	s_waitcnt lgkmcnt(2)
	v_perm_b32 v36, v41, v39, s91
	v_cvt_f32_f16_e32 v70, v0
	s_waitcnt lgkmcnt(0)
	v_perm_b32 v37, v43, v42, s91
	v_cvt_f32_f16_e32 v73, v38
	s_barrier
	s_nop 0
	v_mfma_f32_16x16x16f16 v[36:39], v[36:37], v[20:21], v[70:73]
	s_nop 7
	s_nop 2
	v_cvt_f16_f32_e32 v0, v36
	v_cvt_f16_f32_e32 v20, v37
	v_cvt_f16_f32_e32 v21, v38
	v_cvt_f16_f32_e32 v36, v39
	v_pack_b32_f16 v20, v0, v20
	ds_bpermute_b32 v0, v3, v40
	v_pack_b32_f16 v21, v21, v36
	s_waitcnt lgkmcnt(0)
	v_add_f32_e32 v0, v40, v0
	ds_bpermute_b32 v3, v35, v0
	s_waitcnt lgkmcnt(0)
	v_add_f32_e32 v3, v0, v3
	s_and_saveexec_b64 s[76:77], s[8:9]
	s_xor_b64 s[8:9], exec, s[76:77]
	s_andn2_saveexec_b64 s[8:9], s[8:9]
	s_cbranch_execz .LBB30_123
; %bb.122:                              ;   in Loop: Header=BB30_14 Depth=1
	v_lshlrev_b32_e32 v0, 2, v64
	global_load_dword v0, v0, s[74:75]
	v_max_f32_e32 v37, v2, v2
	s_waitcnt vmcnt(0)
	v_max_f32_e32 v36, v0, v0
	v_max_f32_e32 v36, v37, v36
	v_sub_f32_e32 v2, v2, v36
	v_mul_f32_e32 v37, 0x3fb8aa3b, v2
	v_fma_f32 v38, v2, s69, -v37
	v_rndne_f32_e32 v39, v37
	v_fmac_f32_e32 v38, 0x32a5705f, v2
	v_sub_f32_e32 v37, v37, v39
	v_add_f32_e32 v37, v37, v38
	v_exp_f32_e32 v37, v37
	v_cvt_i32_f32_e32 v38, v39
	v_cmp_ngt_f32_e32 vcc, s57, v2
	v_sub_f32_e32 v0, v0, v36
	v_ldexp_f32 v37, v37, v38
	v_cndmask_b32_e32 v37, 0, v37, vcc
	v_cmp_nlt_f32_e32 vcc, s68, v2
	v_cndmask_b32_e32 v37, v186, v37, vcc
	v_cmp_le_f32_e32 vcc, s6, v2
	v_cndmask_b32_e32 v2, 0, v37, vcc
	v_cvt_f16_f32_e32 v37, v2
	v_cmp_ngt_f32_e32 vcc, s57, v0
	v_pk_mul_f16 v14, v37, v14 op_sel_hi:[0,1]
	v_pk_mul_f16 v13, v37, v13 op_sel_hi:[0,1]
	;; [unrolled: 1-line block ×32, first 2 shown]
	v_mul_f32_e32 v37, 0x3fb8aa3b, v0
	v_fma_f32 v38, v0, s69, -v37
	v_rndne_f32_e32 v39, v37
	v_fmac_f32_e32 v38, 0x32a5705f, v0
	v_sub_f32_e32 v37, v37, v39
	v_add_f32_e32 v37, v37, v38
	v_exp_f32_e32 v37, v37
	v_cvt_i32_f32_e32 v38, v39
	v_ldexp_f32 v37, v37, v38
	v_cndmask_b32_e32 v37, 0, v37, vcc
	v_cmp_nlt_f32_e32 vcc, s68, v0
	v_cndmask_b32_e32 v37, v186, v37, vcc
	v_fmac_f32_e32 v37, v3, v2
	v_pk_mov_b32 v[2:3], v[36:37], v[36:37] op_sel:[0,1]
.LBB30_123:                             ;   in Loop: Header=BB30_14 Depth=1
	s_or_b64 exec, exec, s[8:9]
	s_and_saveexec_b64 s[8:9], s[4:5]
	s_cbranch_execz .LBB30_125
; %bb.124:                              ;   in Loop: Header=BB30_14 Depth=1
	v_add_u32_e32 v0, 0, v155
	ds_write2_b32 v0, v2, v3 offset0:64 offset1:65
.LBB30_125:                             ;   in Loop: Header=BB30_14 Depth=1
	s_or_b64 exec, exec, s[8:9]
	s_waitcnt lgkmcnt(0)
	s_barrier
	s_and_saveexec_b64 s[8:9], s[2:3]
	s_xor_b64 s[8:9], exec, s[8:9]
	s_cbranch_execz .LBB30_127
; %bb.126:                              ;   in Loop: Header=BB30_14 Depth=1
	s_barrier
	s_waitcnt lgkmcnt(0)
                                        ; implicit-def: $vgpr35
.LBB30_127:                             ;   in Loop: Header=BB30_14 Depth=1
	s_andn2_saveexec_b64 s[8:9], s[8:9]
	s_cbranch_execz .LBB30_133
; %bb.128:                              ;   in Loop: Header=BB30_14 Depth=1
	v_add_u32_e32 v0, 0, v156
	ds_read_b64 v[38:39], v0 offset:256
	s_waitcnt lgkmcnt(0)
	s_barrier
	ds_bpermute_b32 v2, v35, v38
	v_max_f32_e32 v3, v38, v38
	s_waitcnt lgkmcnt(0)
	v_max_f32_e32 v2, v2, v2
	v_max_f32_e32 v2, v3, v2
	v_sub_f32_e32 v3, v38, v2
	v_mul_f32_e32 v36, 0x3fb8aa3b, v3
	v_fma_f32 v37, v3, s69, -v36
	v_rndne_f32_e32 v38, v36
	v_fmac_f32_e32 v37, 0x32a5705f, v3
	v_sub_f32_e32 v36, v36, v38
	v_add_f32_e32 v36, v36, v37
	v_cvt_i32_f32_e32 v38, v38
	v_exp_f32_e32 v36, v36
	v_cmp_ngt_f32_e32 vcc, s57, v3
	v_ldexp_f32 v36, v36, v38
	v_cndmask_b32_e32 v36, 0, v36, vcc
	v_cmp_nlt_f32_e32 vcc, s68, v3
	v_cndmask_b32_e32 v36, v186, v36, vcc
	v_mul_f32_e32 v3, v39, v36
	ds_bpermute_b32 v37, v35, v3
	s_waitcnt lgkmcnt(0)
	v_fmac_f32_e32 v37, v39, v36
	s_mov_b64 s[76:77], exec
	v_readlane_b32 s78, v255, 19
	v_readlane_b32 s79, v255, 20
	s_and_b64 s[78:79], s[76:77], s[78:79]
	s_mov_b64 exec, s[78:79]
	s_cbranch_execz .LBB30_130
; %bb.129:                              ;   in Loop: Header=BB30_14 Depth=1
	ds_write_b64 v0, v[36:37] offset:256
.LBB30_130:                             ;   in Loop: Header=BB30_14 Depth=1
	s_or_b64 exec, exec, s[76:77]
	s_and_saveexec_b64 s[76:77], s[4:5]
	s_cbranch_execz .LBB30_132
; %bb.131:                              ;   in Loop: Header=BB30_14 Depth=1
	v_mov_b32_e32 v3, v37
	buffer_load_dword v36, off, s[96:99], 0 offset:64 ; 4-byte Folded Reload
	buffer_load_dword v37, off, s[96:99], 0 offset:68 ; 4-byte Folded Reload
	s_waitcnt vmcnt(0)
	global_store_dwordx2 v[36:37], v[2:3], off
.LBB30_132:                             ;   in Loop: Header=BB30_14 Depth=1
	s_or_b64 exec, exec, s[76:77]
.LBB30_133:                             ;   in Loop: Header=BB30_14 Depth=1
	s_or_b64 exec, exec, s[8:9]
	v_add_u32_e32 v2, s38, v188
	ds_write2_b32 v157, v14, v13 offset1:1
	ds_write2_b32 v157, v16, v15 offset0:8 offset1:9
	ds_write2_b32 v157, v18, v17 offset0:16 offset1:17
	;; [unrolled: 1-line block ×7, first 2 shown]
	s_waitcnt lgkmcnt(0)
	s_barrier
	s_and_saveexec_b64 s[76:77], s[0:1]
	s_cbranch_execz .LBB30_211
; %bb.134:                              ;   in Loop: Header=BB30_14 Depth=1
	v_or_b32_e32 v0, s84, v66
	v_cmp_gt_i32_e64 s[8:9], s28, v2
	v_cmp_gt_i32_e32 vcc, s82, v0
	s_and_b64 s[8:9], s[8:9], vcc
	v_mov_b32_e32 v0, 0x47
	s_and_saveexec_b64 s[78:79], s[8:9]
	s_cbranch_execz .LBB30_136
; %bb.135:                              ;   in Loop: Header=BB30_14 Depth=1
	v_add_u32_e32 v0, 0, v158
	ds_read2st64_b32 v[16:17], v0 offset0:1 offset1:18
	ds_read2st64_b32 v[28:29], v159 offset1:17
	v_mad_u64_u32 v[14:15], s[8:9], v2, s29, v[66:67]
	v_lshl_add_u32 v14, v14, 7, v95
	v_ashrrev_i32_e32 v15, 31, v14
	s_waitcnt lgkmcnt(0)
	v_cvt_f32_f16_sdwa v31, v28 dst_sel:DWORD dst_unused:UNUSED_PAD src0_sel:WORD_1
	v_cvt_f32_f16_e32 v30, v28
	v_cvt_f32_f16_sdwa v33, v29 dst_sel:DWORD dst_unused:UNUSED_PAD src0_sel:WORD_1
	v_cvt_f32_f16_e32 v32, v29
	v_lshlrev_b64 v[14:15], 3, v[14:15]
	v_add_co_u32_e64 v14, s[8:9], s10, v14
	v_mov_b32_e32 v0, s11
	v_addc_co_u32_e64 v15, s[8:9], v0, v15, s[8:9]
	v_pk_fma_f32 v[30:31], v[16:17], v[30:31], 0 op_sel_hi:[0,1,0]
	v_mov_b32_e32 v0, v17
	v_pk_fma_f32 v[16:17], v[0:1], v[32:33], v[30:31] op_sel_hi:[0,1,1]
	v_mov_b32_e32 v0, 0
	global_store_dwordx2 v[14:15], v[16:17], off
.LBB30_136:                             ;   in Loop: Header=BB30_14 Depth=1
	s_or_b64 exec, exec, s[78:79]
	v_cmp_gt_i32_e64 s[8:9], s53, v0
	s_mov_b64 s[78:79], -1
	s_and_saveexec_b64 s[80:81], s[8:9]
; %bb.137:                              ;   in Loop: Header=BB30_14 Depth=1
	v_cmp_eq_u32_e64 s[8:9], 0, v0
	s_orn2_b64 s[78:79], s[8:9], exec
; %bb.138:                              ;   in Loop: Header=BB30_14 Depth=1
	s_or_b64 exec, exec, s[80:81]
	s_and_b64 exec, exec, s[78:79]
	s_cbranch_execz .LBB30_211
; %bb.139:                              ;   in Loop: Header=BB30_14 Depth=1
	v_add_u32_e32 v3, s38, v160
	v_cmp_gt_i32_e64 s[8:9], s28, v3
	s_and_b64 s[8:9], s[8:9], vcc
	v_mov_b32_e32 v0, 0x47
	s_and_saveexec_b64 s[78:79], s[8:9]
	s_cbranch_execz .LBB30_141
; %bb.140:                              ;   in Loop: Header=BB30_14 Depth=1
	buffer_load_dword v0, off, s[96:99], 0  ; 4-byte Folded Reload
	v_mad_u64_u32 v[14:15], s[8:9], v3, s29, v[66:67]
	v_lshl_add_u32 v14, v14, 7, v95
	v_ashrrev_i32_e32 v15, 31, v14
	v_lshlrev_b64 v[14:15], 3, v[14:15]
	v_add_co_u32_e64 v14, s[8:9], s10, v14
	s_waitcnt vmcnt(0)
	v_add_u32_e32 v0, 0, v0
	ds_read2st64_b32 v[16:17], v0 offset0:1 offset1:18
	buffer_load_dword v0, off, s[96:99], 0 offset:4 ; 4-byte Folded Reload
	s_waitcnt vmcnt(0)
	ds_read2st64_b32 v[28:29], v0 offset1:17
	v_mov_b32_e32 v0, s11
	v_addc_co_u32_e64 v15, s[8:9], v0, v15, s[8:9]
	s_waitcnt lgkmcnt(1)
	v_mov_b32_e32 v0, v17
	s_waitcnt lgkmcnt(0)
	v_cvt_f32_f16_sdwa v31, v28 dst_sel:DWORD dst_unused:UNUSED_PAD src0_sel:WORD_1
	v_cvt_f32_f16_e32 v30, v28
	v_cvt_f32_f16_sdwa v33, v29 dst_sel:DWORD dst_unused:UNUSED_PAD src0_sel:WORD_1
	v_cvt_f32_f16_e32 v32, v29
	v_pk_fma_f32 v[30:31], v[16:17], v[30:31], 0 op_sel_hi:[0,1,0]
	v_pk_fma_f32 v[16:17], v[0:1], v[32:33], v[30:31] op_sel_hi:[0,1,1]
	v_mov_b32_e32 v0, 0
	global_store_dwordx2 v[14:15], v[16:17], off
.LBB30_141:                             ;   in Loop: Header=BB30_14 Depth=1
	s_or_b64 exec, exec, s[78:79]
	v_cmp_gt_i32_e64 s[8:9], s53, v0
	s_mov_b64 s[78:79], -1
	s_and_saveexec_b64 s[80:81], s[8:9]
; %bb.142:                              ;   in Loop: Header=BB30_14 Depth=1
	v_cmp_eq_u32_e64 s[8:9], 0, v0
	s_orn2_b64 s[78:79], s[8:9], exec
; %bb.143:                              ;   in Loop: Header=BB30_14 Depth=1
	s_or_b64 exec, exec, s[80:81]
	s_and_b64 exec, exec, s[78:79]
	s_cbranch_execz .LBB30_211
; %bb.144:                              ;   in Loop: Header=BB30_14 Depth=1
	buffer_load_dword v0, off, s[96:99], 0 offset:8 ; 4-byte Folded Reload
	s_waitcnt vmcnt(0)
	v_add_u32_e32 v3, s38, v0
	v_cmp_gt_i32_e64 s[8:9], s28, v3
	s_and_b64 s[8:9], s[8:9], vcc
	v_mov_b32_e32 v0, 0x47
	s_and_saveexec_b64 s[78:79], s[8:9]
	s_cbranch_execz .LBB30_146
; %bb.145:                              ;   in Loop: Header=BB30_14 Depth=1
	buffer_load_dword v0, off, s[96:99], 0 offset:72 ; 4-byte Folded Reload
	v_mad_u64_u32 v[14:15], s[8:9], v3, s29, v[66:67]
	v_lshl_add_u32 v14, v14, 7, v95
	v_ashrrev_i32_e32 v15, 31, v14
	v_lshlrev_b64 v[14:15], 3, v[14:15]
	v_add_co_u32_e64 v14, s[8:9], s10, v14
	s_waitcnt vmcnt(0)
	v_add_u32_e32 v0, 0, v0
	ds_read2st64_b32 v[16:17], v0 offset0:1 offset1:18
	buffer_load_dword v0, off, s[96:99], 0 offset:76 ; 4-byte Folded Reload
	s_waitcnt vmcnt(0)
	ds_read2st64_b32 v[28:29], v0 offset1:17
	v_mov_b32_e32 v0, s11
	v_addc_co_u32_e64 v15, s[8:9], v0, v15, s[8:9]
	s_waitcnt lgkmcnt(1)
	v_mov_b32_e32 v0, v17
	s_waitcnt lgkmcnt(0)
	v_cvt_f32_f16_sdwa v31, v28 dst_sel:DWORD dst_unused:UNUSED_PAD src0_sel:WORD_1
	v_cvt_f32_f16_e32 v30, v28
	v_cvt_f32_f16_sdwa v33, v29 dst_sel:DWORD dst_unused:UNUSED_PAD src0_sel:WORD_1
	v_cvt_f32_f16_e32 v32, v29
	v_pk_fma_f32 v[30:31], v[16:17], v[30:31], 0 op_sel_hi:[0,1,0]
	v_pk_fma_f32 v[16:17], v[0:1], v[32:33], v[30:31] op_sel_hi:[0,1,1]
	v_mov_b32_e32 v0, 0
	global_store_dwordx2 v[14:15], v[16:17], off
.LBB30_146:                             ;   in Loop: Header=BB30_14 Depth=1
	s_or_b64 exec, exec, s[78:79]
	v_cmp_gt_i32_e64 s[8:9], s53, v0
	s_mov_b64 s[78:79], -1
	s_and_saveexec_b64 s[80:81], s[8:9]
; %bb.147:                              ;   in Loop: Header=BB30_14 Depth=1
	v_cmp_eq_u32_e64 s[8:9], 0, v0
	s_orn2_b64 s[78:79], s[8:9], exec
; %bb.148:                              ;   in Loop: Header=BB30_14 Depth=1
	s_or_b64 exec, exec, s[80:81]
	s_and_b64 exec, exec, s[78:79]
	s_cbranch_execz .LBB30_211
; %bb.149:                              ;   in Loop: Header=BB30_14 Depth=1
	buffer_load_dword v0, off, s[96:99], 0 offset:80 ; 4-byte Folded Reload
	s_waitcnt vmcnt(0)
	v_add_u32_e32 v3, s38, v0
	v_cmp_gt_i32_e64 s[8:9], s28, v3
	s_and_b64 s[8:9], s[8:9], vcc
	v_mov_b32_e32 v0, 0x47
	s_and_saveexec_b64 s[78:79], s[8:9]
	s_cbranch_execz .LBB30_151
; %bb.150:                              ;   in Loop: Header=BB30_14 Depth=1
	buffer_load_dword v0, off, s[96:99], 0 offset:84 ; 4-byte Folded Reload
	v_mad_u64_u32 v[14:15], s[8:9], v3, s29, v[66:67]
	v_lshl_add_u32 v14, v14, 7, v95
	v_ashrrev_i32_e32 v15, 31, v14
	v_lshlrev_b64 v[14:15], 3, v[14:15]
	v_add_co_u32_e64 v14, s[8:9], s10, v14
	s_waitcnt vmcnt(0)
	v_add_u32_e32 v0, 0, v0
	ds_read2st64_b32 v[16:17], v0 offset0:1 offset1:18
	buffer_load_dword v0, off, s[96:99], 0 offset:88 ; 4-byte Folded Reload
	s_waitcnt vmcnt(0)
	ds_read2st64_b32 v[28:29], v0 offset1:17
	v_mov_b32_e32 v0, s11
	v_addc_co_u32_e64 v15, s[8:9], v0, v15, s[8:9]
	s_waitcnt lgkmcnt(1)
	v_mov_b32_e32 v0, v17
	s_waitcnt lgkmcnt(0)
	v_cvt_f32_f16_sdwa v31, v28 dst_sel:DWORD dst_unused:UNUSED_PAD src0_sel:WORD_1
	v_cvt_f32_f16_e32 v30, v28
	v_cvt_f32_f16_sdwa v33, v29 dst_sel:DWORD dst_unused:UNUSED_PAD src0_sel:WORD_1
	v_cvt_f32_f16_e32 v32, v29
	v_pk_fma_f32 v[30:31], v[16:17], v[30:31], 0 op_sel_hi:[0,1,0]
	v_pk_fma_f32 v[16:17], v[0:1], v[32:33], v[30:31] op_sel_hi:[0,1,1]
	v_mov_b32_e32 v0, 0
	global_store_dwordx2 v[14:15], v[16:17], off
.LBB30_151:                             ;   in Loop: Header=BB30_14 Depth=1
	;; [unrolled: 47-line block ×13, first 2 shown]
	s_or_b64 exec, exec, s[78:79]
	v_cmp_gt_i32_e64 s[8:9], s53, v0
	s_mov_b64 s[78:79], -1
	s_and_saveexec_b64 s[80:81], s[8:9]
; %bb.207:                              ;   in Loop: Header=BB30_14 Depth=1
	v_cmp_eq_u32_e64 s[8:9], 0, v0
	s_orn2_b64 s[78:79], s[8:9], exec
; %bb.208:                              ;   in Loop: Header=BB30_14 Depth=1
	s_or_b64 exec, exec, s[80:81]
	s_and_b64 exec, exec, s[78:79]
	s_cbranch_execz .LBB30_211
; %bb.209:                              ;   in Loop: Header=BB30_14 Depth=1
	buffer_load_dword v0, off, s[96:99], 0 offset:228 ; 4-byte Folded Reload
	s_waitcnt vmcnt(0)
	v_add_u32_e32 v0, s38, v0
	v_cmp_gt_i32_e64 s[8:9], s28, v0
	s_and_b64 s[8:9], s[8:9], vcc
	s_and_b64 exec, exec, s[8:9]
	s_cbranch_execz .LBB30_211
; %bb.210:                              ;   in Loop: Header=BB30_14 Depth=1
	v_mad_u64_u32 v[14:15], s[8:9], v0, s29, v[66:67]
	buffer_load_dword v0, off, s[96:99], 0 offset:232 ; 4-byte Folded Reload
	v_lshl_add_u32 v14, v14, 7, v95
	v_ashrrev_i32_e32 v15, 31, v14
	v_lshlrev_b64 v[14:15], 3, v[14:15]
	v_add_co_u32_e32 v14, vcc, s10, v14
	s_waitcnt vmcnt(0)
	v_add_u32_e32 v0, 0, v0
	ds_read2st64_b32 v[16:17], v0 offset0:1 offset1:18
	buffer_load_dword v0, off, s[96:99], 0 offset:236 ; 4-byte Folded Reload
	s_waitcnt vmcnt(0)
	ds_read2st64_b32 v[28:29], v0 offset1:17
	v_mov_b32_e32 v0, s11
	v_addc_co_u32_e32 v15, vcc, v0, v15, vcc
	s_waitcnt lgkmcnt(1)
	v_mov_b32_e32 v0, v17
	s_waitcnt lgkmcnt(0)
	v_cvt_f32_f16_sdwa v31, v28 dst_sel:DWORD dst_unused:UNUSED_PAD src0_sel:WORD_1
	v_cvt_f32_f16_e32 v30, v28
	v_cvt_f32_f16_sdwa v33, v29 dst_sel:DWORD dst_unused:UNUSED_PAD src0_sel:WORD_1
	v_cvt_f32_f16_e32 v32, v29
	v_pk_fma_f32 v[30:31], v[16:17], v[30:31], 0 op_sel_hi:[0,1,0]
	v_pk_fma_f32 v[16:17], v[0:1], v[32:33], v[30:31] op_sel_hi:[0,1,1]
	global_store_dwordx2 v[14:15], v[16:17], off
.LBB30_211:                             ;   in Loop: Header=BB30_14 Depth=1
	s_or_b64 exec, exec, s[76:77]
	s_barrier
	ds_write2_b32 v157, v4, v1 offset1:1
	ds_write2_b32 v157, v6, v5 offset0:8 offset1:9
	ds_write2_b32 v157, v8, v7 offset0:16 offset1:17
	;; [unrolled: 1-line block ×7, first 2 shown]
	s_waitcnt lgkmcnt(0)
	s_barrier
	s_and_saveexec_b64 s[76:77], s[0:1]
	s_cbranch_execz .LBB30_289
; %bb.212:                              ;   in Loop: Header=BB30_14 Depth=1
	v_or_b32_e32 v0, s84, v66
	v_cmp_gt_i32_e64 s[8:9], s28, v2
	v_cmp_gt_i32_e32 vcc, s82, v0
	s_and_b64 s[8:9], s[8:9], vcc
	v_mov_b32_e32 v0, 0x47
	s_and_saveexec_b64 s[78:79], s[8:9]
	s_cbranch_execz .LBB30_214
; %bb.213:                              ;   in Loop: Header=BB30_14 Depth=1
	v_mad_u64_u32 v[0:1], s[8:9], v2, s29, v[66:67]
	v_add_u32_e32 v1, 0, v158
	ds_read2st64_b32 v[2:3], v1 offset0:1 offset1:18
	ds_read2st64_b32 v[4:5], v159 offset1:17
	v_lshl_add_u32 v0, v0, 7, v224
	v_ashrrev_i32_e32 v1, 31, v0
	v_lshlrev_b64 v[0:1], 3, v[0:1]
	v_add_co_u32_e64 v0, s[8:9], s10, v0
	v_mov_b32_e32 v6, s11
	v_addc_co_u32_e64 v1, s[8:9], v6, v1, s[8:9]
	s_waitcnt lgkmcnt(0)
	v_cvt_f32_f16_sdwa v7, v4 dst_sel:DWORD dst_unused:UNUSED_PAD src0_sel:WORD_1
	v_cvt_f32_f16_e32 v6, v4
	v_cvt_f32_f16_sdwa v9, v5 dst_sel:DWORD dst_unused:UNUSED_PAD src0_sel:WORD_1
	v_cvt_f32_f16_e32 v8, v5
	v_pk_fma_f32 v[6:7], v[2:3], v[6:7], 0 op_sel_hi:[0,1,0]
	v_mov_b32_e32 v2, v3
	v_pk_fma_f32 v[2:3], v[2:3], v[8:9], v[6:7] op_sel_hi:[0,1,1]
	global_store_dwordx2 v[0:1], v[2:3], off
	v_mov_b32_e32 v0, 0
.LBB30_214:                             ;   in Loop: Header=BB30_14 Depth=1
	s_or_b64 exec, exec, s[78:79]
	v_cmp_gt_i32_e64 s[8:9], s53, v0
	s_mov_b64 s[78:79], -1
	s_and_saveexec_b64 s[80:81], s[8:9]
; %bb.215:                              ;   in Loop: Header=BB30_14 Depth=1
	v_cmp_eq_u32_e64 s[8:9], 0, v0
	s_orn2_b64 s[78:79], s[8:9], exec
; %bb.216:                              ;   in Loop: Header=BB30_14 Depth=1
	s_or_b64 exec, exec, s[80:81]
	s_and_b64 exec, exec, s[78:79]
	s_cbranch_execz .LBB30_289
; %bb.217:                              ;   in Loop: Header=BB30_14 Depth=1
	v_add_u32_e32 v1, s38, v160
	v_cmp_gt_i32_e64 s[8:9], s28, v1
	s_and_b64 s[8:9], s[8:9], vcc
	v_mov_b32_e32 v0, 0x47
	s_and_saveexec_b64 s[78:79], s[8:9]
	s_cbranch_execz .LBB30_219
; %bb.218:                              ;   in Loop: Header=BB30_14 Depth=1
	v_mad_u64_u32 v[0:1], s[8:9], v1, s29, v[66:67]
	buffer_load_dword v1, off, s[96:99], 0  ; 4-byte Folded Reload
	v_lshl_add_u32 v0, v0, 7, v224
	v_mov_b32_e32 v6, s11
	s_waitcnt vmcnt(0)
	v_add_u32_e32 v1, 0, v1
	ds_read2st64_b32 v[2:3], v1 offset0:1 offset1:18
	buffer_load_dword v1, off, s[96:99], 0 offset:4 ; 4-byte Folded Reload
	s_waitcnt vmcnt(0)
	ds_read2st64_b32 v[4:5], v1 offset1:17
	v_ashrrev_i32_e32 v1, 31, v0
	v_lshlrev_b64 v[0:1], 3, v[0:1]
	v_add_co_u32_e64 v0, s[8:9], s10, v0
	v_addc_co_u32_e64 v1, s[8:9], v6, v1, s[8:9]
	s_waitcnt lgkmcnt(0)
	v_cvt_f32_f16_sdwa v7, v4 dst_sel:DWORD dst_unused:UNUSED_PAD src0_sel:WORD_1
	v_cvt_f32_f16_e32 v6, v4
	v_cvt_f32_f16_sdwa v9, v5 dst_sel:DWORD dst_unused:UNUSED_PAD src0_sel:WORD_1
	v_cvt_f32_f16_e32 v8, v5
	v_pk_fma_f32 v[6:7], v[2:3], v[6:7], 0 op_sel_hi:[0,1,0]
	v_mov_b32_e32 v2, v3
	v_pk_fma_f32 v[2:3], v[2:3], v[8:9], v[6:7] op_sel_hi:[0,1,1]
	global_store_dwordx2 v[0:1], v[2:3], off
	v_mov_b32_e32 v0, 0
.LBB30_219:                             ;   in Loop: Header=BB30_14 Depth=1
	s_or_b64 exec, exec, s[78:79]
	v_cmp_gt_i32_e64 s[8:9], s53, v0
	s_mov_b64 s[78:79], -1
	s_and_saveexec_b64 s[80:81], s[8:9]
; %bb.220:                              ;   in Loop: Header=BB30_14 Depth=1
	v_cmp_eq_u32_e64 s[8:9], 0, v0
	s_orn2_b64 s[78:79], s[8:9], exec
; %bb.221:                              ;   in Loop: Header=BB30_14 Depth=1
	s_or_b64 exec, exec, s[80:81]
	s_and_b64 exec, exec, s[78:79]
	s_cbranch_execz .LBB30_289
; %bb.222:                              ;   in Loop: Header=BB30_14 Depth=1
	buffer_load_dword v0, off, s[96:99], 0 offset:8 ; 4-byte Folded Reload
	s_waitcnt vmcnt(0)
	v_add_u32_e32 v1, s38, v0
	v_cmp_gt_i32_e64 s[8:9], s28, v1
	s_and_b64 s[8:9], s[8:9], vcc
	v_mov_b32_e32 v0, 0x47
	s_and_saveexec_b64 s[78:79], s[8:9]
	s_cbranch_execz .LBB30_224
; %bb.223:                              ;   in Loop: Header=BB30_14 Depth=1
	v_mad_u64_u32 v[0:1], s[8:9], v1, s29, v[66:67]
	buffer_load_dword v1, off, s[96:99], 0 offset:72 ; 4-byte Folded Reload
	v_lshl_add_u32 v0, v0, 7, v224
	v_mov_b32_e32 v6, s11
	s_waitcnt vmcnt(0)
	v_add_u32_e32 v1, 0, v1
	ds_read2st64_b32 v[2:3], v1 offset0:1 offset1:18
	buffer_load_dword v1, off, s[96:99], 0 offset:76 ; 4-byte Folded Reload
	s_waitcnt vmcnt(0)
	ds_read2st64_b32 v[4:5], v1 offset1:17
	v_ashrrev_i32_e32 v1, 31, v0
	v_lshlrev_b64 v[0:1], 3, v[0:1]
	v_add_co_u32_e64 v0, s[8:9], s10, v0
	v_addc_co_u32_e64 v1, s[8:9], v6, v1, s[8:9]
	s_waitcnt lgkmcnt(0)
	v_cvt_f32_f16_sdwa v7, v4 dst_sel:DWORD dst_unused:UNUSED_PAD src0_sel:WORD_1
	v_cvt_f32_f16_e32 v6, v4
	v_cvt_f32_f16_sdwa v9, v5 dst_sel:DWORD dst_unused:UNUSED_PAD src0_sel:WORD_1
	v_cvt_f32_f16_e32 v8, v5
	v_pk_fma_f32 v[6:7], v[2:3], v[6:7], 0 op_sel_hi:[0,1,0]
	v_mov_b32_e32 v2, v3
	v_pk_fma_f32 v[2:3], v[2:3], v[8:9], v[6:7] op_sel_hi:[0,1,1]
	global_store_dwordx2 v[0:1], v[2:3], off
	v_mov_b32_e32 v0, 0
.LBB30_224:                             ;   in Loop: Header=BB30_14 Depth=1
	s_or_b64 exec, exec, s[78:79]
	v_cmp_gt_i32_e64 s[8:9], s53, v0
	s_mov_b64 s[78:79], -1
	s_and_saveexec_b64 s[80:81], s[8:9]
; %bb.225:                              ;   in Loop: Header=BB30_14 Depth=1
	v_cmp_eq_u32_e64 s[8:9], 0, v0
	s_orn2_b64 s[78:79], s[8:9], exec
; %bb.226:                              ;   in Loop: Header=BB30_14 Depth=1
	s_or_b64 exec, exec, s[80:81]
	s_and_b64 exec, exec, s[78:79]
	s_cbranch_execz .LBB30_289
; %bb.227:                              ;   in Loop: Header=BB30_14 Depth=1
	buffer_load_dword v0, off, s[96:99], 0 offset:80 ; 4-byte Folded Reload
	s_waitcnt vmcnt(0)
	v_add_u32_e32 v1, s38, v0
	v_cmp_gt_i32_e64 s[8:9], s28, v1
	s_and_b64 s[8:9], s[8:9], vcc
	v_mov_b32_e32 v0, 0x47
	s_and_saveexec_b64 s[78:79], s[8:9]
	s_cbranch_execz .LBB30_229
; %bb.228:                              ;   in Loop: Header=BB30_14 Depth=1
	v_mad_u64_u32 v[0:1], s[8:9], v1, s29, v[66:67]
	buffer_load_dword v1, off, s[96:99], 0 offset:84 ; 4-byte Folded Reload
	v_lshl_add_u32 v0, v0, 7, v224
	v_mov_b32_e32 v6, s11
	s_waitcnt vmcnt(0)
	v_add_u32_e32 v1, 0, v1
	ds_read2st64_b32 v[2:3], v1 offset0:1 offset1:18
	buffer_load_dword v1, off, s[96:99], 0 offset:88 ; 4-byte Folded Reload
	s_waitcnt vmcnt(0)
	ds_read2st64_b32 v[4:5], v1 offset1:17
	v_ashrrev_i32_e32 v1, 31, v0
	v_lshlrev_b64 v[0:1], 3, v[0:1]
	v_add_co_u32_e64 v0, s[8:9], s10, v0
	v_addc_co_u32_e64 v1, s[8:9], v6, v1, s[8:9]
	s_waitcnt lgkmcnt(0)
	v_cvt_f32_f16_sdwa v7, v4 dst_sel:DWORD dst_unused:UNUSED_PAD src0_sel:WORD_1
	v_cvt_f32_f16_e32 v6, v4
	v_cvt_f32_f16_sdwa v9, v5 dst_sel:DWORD dst_unused:UNUSED_PAD src0_sel:WORD_1
	v_cvt_f32_f16_e32 v8, v5
	v_pk_fma_f32 v[6:7], v[2:3], v[6:7], 0 op_sel_hi:[0,1,0]
	v_mov_b32_e32 v2, v3
	v_pk_fma_f32 v[2:3], v[2:3], v[8:9], v[6:7] op_sel_hi:[0,1,1]
	global_store_dwordx2 v[0:1], v[2:3], off
	v_mov_b32_e32 v0, 0
.LBB30_229:                             ;   in Loop: Header=BB30_14 Depth=1
	;; [unrolled: 46-line block ×13, first 2 shown]
	s_or_b64 exec, exec, s[78:79]
	v_cmp_gt_i32_e64 s[8:9], s53, v0
	s_mov_b64 s[78:79], -1
	s_and_saveexec_b64 s[80:81], s[8:9]
; %bb.285:                              ;   in Loop: Header=BB30_14 Depth=1
	v_cmp_eq_u32_e64 s[8:9], 0, v0
	s_orn2_b64 s[78:79], s[8:9], exec
; %bb.286:                              ;   in Loop: Header=BB30_14 Depth=1
	s_or_b64 exec, exec, s[80:81]
	s_and_b64 exec, exec, s[78:79]
	s_cbranch_execz .LBB30_289
; %bb.287:                              ;   in Loop: Header=BB30_14 Depth=1
	buffer_load_dword v0, off, s[96:99], 0 offset:228 ; 4-byte Folded Reload
	s_waitcnt vmcnt(0)
	v_add_u32_e32 v0, s38, v0
	v_cmp_gt_i32_e64 s[8:9], s28, v0
	s_and_b64 s[8:9], s[8:9], vcc
	s_and_b64 exec, exec, s[8:9]
	s_cbranch_execz .LBB30_289
; %bb.288:                              ;   in Loop: Header=BB30_14 Depth=1
	v_mad_u64_u32 v[0:1], s[8:9], v0, s29, v[66:67]
	buffer_load_dword v1, off, s[96:99], 0 offset:232 ; 4-byte Folded Reload
	v_lshl_add_u32 v0, v0, 7, v224
	v_mov_b32_e32 v6, s11
	s_waitcnt vmcnt(0)
	v_add_u32_e32 v1, 0, v1
	ds_read2st64_b32 v[2:3], v1 offset0:1 offset1:18
	buffer_load_dword v1, off, s[96:99], 0 offset:236 ; 4-byte Folded Reload
	s_waitcnt vmcnt(0)
	ds_read2st64_b32 v[4:5], v1 offset1:17
	v_ashrrev_i32_e32 v1, 31, v0
	v_lshlrev_b64 v[0:1], 3, v[0:1]
	v_add_co_u32_e32 v0, vcc, s10, v0
	v_addc_co_u32_e32 v1, vcc, v6, v1, vcc
	s_waitcnt lgkmcnt(0)
	v_cvt_f32_f16_sdwa v7, v4 dst_sel:DWORD dst_unused:UNUSED_PAD src0_sel:WORD_1
	v_cvt_f32_f16_e32 v6, v4
	v_cvt_f32_f16_sdwa v9, v5 dst_sel:DWORD dst_unused:UNUSED_PAD src0_sel:WORD_1
	v_cvt_f32_f16_e32 v8, v5
	v_pk_fma_f32 v[6:7], v[2:3], v[6:7], 0 op_sel_hi:[0,1,0]
	v_mov_b32_e32 v2, v3
	v_pk_fma_f32 v[2:3], v[2:3], v[8:9], v[6:7] op_sel_hi:[0,1,1]
	global_store_dwordx2 v[0:1], v[2:3], off
.LBB30_289:                             ;   in Loop: Header=BB30_14 Depth=1
	s_or_b64 exec, exec, s[76:77]
	s_barrier
	s_branch .LBB30_13
.LBB30_290:                             ;   in Loop: Header=BB30_14 Depth=1
	s_lshl_b32 s80, s55, 4
	v_add_u32_e32 v0, s80, v94
	v_cmp_gt_i32_e64 s[8:9], s82, v45
	v_cmp_le_i32_e32 vcc, s28, v0
	s_xor_b64 s[8:9], s[8:9], -1
	s_or_b64 s[76:77], vcc, s[8:9]
	s_and_saveexec_b64 s[78:79], s[76:77]
	s_xor_b64 s[76:77], exec, s[78:79]
	s_cbranch_execz .LBB30_292
; %bb.291:                              ;   in Loop: Header=BB30_14 Depth=1
	ds_write2st64_b32 v154, v225, v225 offset1:1
                                        ; implicit-def: $vgpr0
.LBB30_292:                             ;   in Loop: Header=BB30_14 Depth=1
	s_andn2_saveexec_b64 s[76:77], s[76:77]
	s_cbranch_execz .LBB30_294
; %bb.293:                              ;   in Loop: Header=BB30_14 Depth=1
	v_mul_lo_u32 v0, v0, s33
	v_add3_u32 v0, v0, v197, v95
	v_ashrrev_i32_e32 v1, 31, v0
	v_lshlrev_b64 v[0:1], 3, v[0:1]
	v_add_co_u32_e32 v0, vcc, s54, v0
	v_mov_b32_e32 v2, s35
	v_addc_co_u32_e32 v1, vcc, v2, v1, vcc
	global_load_dwordx2 v[2:3], v[0:1], off
	s_waitcnt vmcnt(0)
	v_cvt_f16_f32_e32 v2, v2
	global_load_dwordx2 v[0:1], v[0:1], off offset:512
	v_cvt_f16_f32_e32 v3, v3
	v_pack_b32_f16 v2, v2, v3
	v_pk_mul_f16 v2, v85, v2
	s_waitcnt vmcnt(0)
	v_cvt_f16_f32_e32 v0, v0
	v_cvt_f16_f32_e32 v1, v1
	v_pack_b32_f16 v0, v0, v1
	v_pk_mul_f16 v0, v85, v0
	ds_write2st64_b32 v154, v2, v0 offset1:1
.LBB30_294:                             ;   in Loop: Header=BB30_14 Depth=1
	s_or_b64 exec, exec, s[76:77]
	v_add_u32_e32 v0, s80, v198
	v_cmp_le_i32_e32 vcc, s28, v0
	s_or_b64 s[76:77], vcc, s[8:9]
	s_and_saveexec_b64 s[78:79], s[76:77]
	s_xor_b64 s[76:77], exec, s[78:79]
	s_cbranch_execz .LBB30_296
; %bb.295:                              ;   in Loop: Header=BB30_14 Depth=1
	ds_write2st64_b32 v199, v225, v225 offset1:1
                                        ; implicit-def: $vgpr0
.LBB30_296:                             ;   in Loop: Header=BB30_14 Depth=1
	s_andn2_saveexec_b64 s[76:77], s[76:77]
	s_cbranch_execz .LBB30_298
; %bb.297:                              ;   in Loop: Header=BB30_14 Depth=1
	v_mul_lo_u32 v0, v0, s33
	v_add3_u32 v0, v0, v197, v95
	v_ashrrev_i32_e32 v1, 31, v0
	v_lshlrev_b64 v[0:1], 3, v[0:1]
	v_add_co_u32_e32 v0, vcc, s54, v0
	v_mov_b32_e32 v2, s35
	v_addc_co_u32_e32 v1, vcc, v2, v1, vcc
	global_load_dwordx2 v[2:3], v[0:1], off
	s_waitcnt vmcnt(0)
	v_cvt_f16_f32_e32 v2, v2
	global_load_dwordx2 v[0:1], v[0:1], off offset:512
	v_cvt_f16_f32_e32 v3, v3
	v_pack_b32_f16 v2, v2, v3
	v_pk_mul_f16 v2, v85, v2
	s_waitcnt vmcnt(0)
	v_cvt_f16_f32_e32 v0, v0
	v_cvt_f16_f32_e32 v1, v1
	v_pack_b32_f16 v0, v0, v1
	v_pk_mul_f16 v0, v85, v0
	ds_write2st64_b32 v199, v2, v0 offset1:1
.LBB30_298:                             ;   in Loop: Header=BB30_14 Depth=1
	s_or_b64 exec, exec, s[76:77]
	v_add_u32_e32 v0, s80, v194
	v_cmp_le_i32_e32 vcc, s28, v0
	s_or_b64 s[76:77], vcc, s[8:9]
	s_and_saveexec_b64 s[78:79], s[76:77]
	s_xor_b64 s[76:77], exec, s[78:79]
	s_cbranch_execz .LBB30_300
; %bb.299:                              ;   in Loop: Header=BB30_14 Depth=1
	v_add_u32_e32 v0, 0x80, v199
	ds_write2st64_b32 v0, v225, v225 offset0:16 offset1:17
                                        ; implicit-def: $vgpr0
.LBB30_300:                             ;   in Loop: Header=BB30_14 Depth=1
	s_andn2_saveexec_b64 s[76:77], s[76:77]
	s_cbranch_execz .LBB30_302
; %bb.301:                              ;   in Loop: Header=BB30_14 Depth=1
	v_mul_lo_u32 v0, v0, s33
	v_add3_u32 v0, v0, v197, v95
	v_ashrrev_i32_e32 v1, 31, v0
	v_lshlrev_b64 v[0:1], 3, v[0:1]
	v_add_co_u32_e32 v0, vcc, s54, v0
	v_mov_b32_e32 v2, s35
	v_addc_co_u32_e32 v1, vcc, v2, v1, vcc
	global_load_dwordx2 v[2:3], v[0:1], off
	s_waitcnt vmcnt(0)
	v_cvt_f16_f32_e32 v2, v2
	global_load_dwordx2 v[0:1], v[0:1], off offset:512
	v_cvt_f16_f32_e32 v3, v3
	v_pack_b32_f16 v2, v2, v3
	v_pk_mul_f16 v2, v85, v2
	s_waitcnt vmcnt(0)
	v_cvt_f16_f32_e32 v0, v0
	v_cvt_f16_f32_e32 v1, v1
	v_pack_b32_f16 v0, v0, v1
	v_pk_mul_f16 v0, v85, v0
	v_add_u32_e32 v1, 0x80, v199
	ds_write2st64_b32 v1, v2, v0 offset0:16 offset1:17
.LBB30_302:                             ;   in Loop: Header=BB30_14 Depth=1
	s_or_b64 exec, exec, s[76:77]
	v_add_u32_e32 v0, s80, v195
	v_cmp_le_i32_e32 vcc, s28, v0
	s_or_b64 s[76:77], vcc, s[8:9]
	s_and_saveexec_b64 s[78:79], s[76:77]
	s_xor_b64 s[76:77], exec, s[78:79]
	s_cbranch_execz .LBB30_304
; %bb.303:                              ;   in Loop: Header=BB30_14 Depth=1
	ds_write2st64_b32 v199, v225, v225 offset0:33 offset1:34
                                        ; implicit-def: $vgpr0
.LBB30_304:                             ;   in Loop: Header=BB30_14 Depth=1
	s_andn2_saveexec_b64 s[76:77], s[76:77]
	s_cbranch_execz .LBB30_306
; %bb.305:                              ;   in Loop: Header=BB30_14 Depth=1
	v_mul_lo_u32 v0, v0, s33
	v_add3_u32 v0, v0, v197, v95
	v_ashrrev_i32_e32 v1, 31, v0
	v_lshlrev_b64 v[0:1], 3, v[0:1]
	v_add_co_u32_e32 v0, vcc, s54, v0
	v_mov_b32_e32 v2, s35
	v_addc_co_u32_e32 v1, vcc, v2, v1, vcc
	global_load_dwordx2 v[2:3], v[0:1], off
	s_waitcnt vmcnt(0)
	v_cvt_f16_f32_e32 v2, v2
	global_load_dwordx2 v[0:1], v[0:1], off offset:512
	v_cvt_f16_f32_e32 v3, v3
	v_pack_b32_f16 v2, v2, v3
	v_pk_mul_f16 v2, v85, v2
	s_waitcnt vmcnt(0)
	v_cvt_f16_f32_e32 v0, v0
	v_cvt_f16_f32_e32 v1, v1
	v_pack_b32_f16 v0, v0, v1
	v_pk_mul_f16 v0, v85, v0
	ds_write2st64_b32 v199, v2, v0 offset0:33 offset1:34
.LBB30_306:                             ;   in Loop: Header=BB30_14 Depth=1
	s_or_b64 exec, exec, s[76:77]
	v_add_u32_e32 v0, s80, v196
	v_cmp_le_i32_e32 vcc, s28, v0
	s_or_b64 s[76:77], vcc, s[8:9]
	s_and_saveexec_b64 s[78:79], s[76:77]
	s_xor_b64 s[76:77], exec, s[78:79]
	s_cbranch_execz .LBB30_308
; %bb.307:                              ;   in Loop: Header=BB30_14 Depth=1
	v_add_u32_e32 v0, 0x80, v199
	ds_write2st64_b32 v0, v225, v225 offset0:49 offset1:50
                                        ; implicit-def: $vgpr0
.LBB30_308:                             ;   in Loop: Header=BB30_14 Depth=1
	s_andn2_saveexec_b64 s[76:77], s[76:77]
	s_cbranch_execz .LBB30_310
; %bb.309:                              ;   in Loop: Header=BB30_14 Depth=1
	v_mul_lo_u32 v0, v0, s33
	v_add3_u32 v0, v0, v197, v95
	v_ashrrev_i32_e32 v1, 31, v0
	v_lshlrev_b64 v[0:1], 3, v[0:1]
	v_add_co_u32_e32 v0, vcc, s54, v0
	v_mov_b32_e32 v2, s35
	v_addc_co_u32_e32 v1, vcc, v2, v1, vcc
	global_load_dwordx2 v[2:3], v[0:1], off
	s_waitcnt vmcnt(0)
	v_cvt_f16_f32_e32 v2, v2
	global_load_dwordx2 v[0:1], v[0:1], off offset:512
	v_cvt_f16_f32_e32 v3, v3
	v_pack_b32_f16 v2, v2, v3
	v_pk_mul_f16 v2, v85, v2
	s_waitcnt vmcnt(0)
	v_cvt_f16_f32_e32 v0, v0
	v_cvt_f16_f32_e32 v1, v1
	v_pack_b32_f16 v0, v0, v1
	v_pk_mul_f16 v0, v85, v0
	v_add_u32_e32 v1, 0x80, v199
	ds_write2st64_b32 v1, v2, v0 offset0:49 offset1:50
.LBB30_310:                             ;   in Loop: Header=BB30_14 Depth=1
	s_or_b64 exec, exec, s[76:77]
	v_add_u32_e32 v0, s80, v191
	v_cmp_le_i32_e32 vcc, s28, v0
	s_or_b64 s[76:77], vcc, s[8:9]
	s_and_saveexec_b64 s[78:79], s[76:77]
	s_xor_b64 s[76:77], exec, s[78:79]
	s_cbranch_execz .LBB30_312
; %bb.311:                              ;   in Loop: Header=BB30_14 Depth=1
	ds_write2st64_b32 v199, v225, v225 offset0:66 offset1:67
                                        ; implicit-def: $vgpr0
.LBB30_312:                             ;   in Loop: Header=BB30_14 Depth=1
	s_andn2_saveexec_b64 s[76:77], s[76:77]
	s_cbranch_execz .LBB30_314
; %bb.313:                              ;   in Loop: Header=BB30_14 Depth=1
	v_mul_lo_u32 v0, v0, s33
	v_add3_u32 v0, v0, v197, v95
	v_ashrrev_i32_e32 v1, 31, v0
	v_lshlrev_b64 v[0:1], 3, v[0:1]
	v_add_co_u32_e32 v0, vcc, s54, v0
	v_mov_b32_e32 v2, s35
	v_addc_co_u32_e32 v1, vcc, v2, v1, vcc
	global_load_dwordx2 v[2:3], v[0:1], off
	s_waitcnt vmcnt(0)
	v_cvt_f16_f32_e32 v2, v2
	global_load_dwordx2 v[0:1], v[0:1], off offset:512
	v_cvt_f16_f32_e32 v3, v3
	v_pack_b32_f16 v2, v2, v3
	v_pk_mul_f16 v2, v85, v2
	s_waitcnt vmcnt(0)
	v_cvt_f16_f32_e32 v0, v0
	v_cvt_f16_f32_e32 v1, v1
	v_pack_b32_f16 v0, v0, v1
	v_pk_mul_f16 v0, v85, v0
	ds_write2st64_b32 v199, v2, v0 offset0:66 offset1:67
.LBB30_314:                             ;   in Loop: Header=BB30_14 Depth=1
	s_or_b64 exec, exec, s[76:77]
	v_add_u32_e32 v0, s80, v192
	v_cmp_le_i32_e32 vcc, s28, v0
	s_or_b64 s[76:77], vcc, s[8:9]
	s_and_saveexec_b64 s[78:79], s[76:77]
	s_xor_b64 s[76:77], exec, s[78:79]
	s_cbranch_execz .LBB30_316
; %bb.315:                              ;   in Loop: Header=BB30_14 Depth=1
	v_add_u32_e32 v0, 0x80, v199
	ds_write2st64_b32 v0, v225, v225 offset0:82 offset1:83
                                        ; implicit-def: $vgpr0
.LBB30_316:                             ;   in Loop: Header=BB30_14 Depth=1
	s_andn2_saveexec_b64 s[76:77], s[76:77]
	s_cbranch_execz .LBB30_318
; %bb.317:                              ;   in Loop: Header=BB30_14 Depth=1
	v_mul_lo_u32 v0, v0, s33
	v_add3_u32 v0, v0, v197, v95
	v_ashrrev_i32_e32 v1, 31, v0
	v_lshlrev_b64 v[0:1], 3, v[0:1]
	v_add_co_u32_e32 v0, vcc, s54, v0
	v_mov_b32_e32 v2, s35
	v_addc_co_u32_e32 v1, vcc, v2, v1, vcc
	global_load_dwordx2 v[2:3], v[0:1], off
	s_waitcnt vmcnt(0)
	v_cvt_f16_f32_e32 v2, v2
	global_load_dwordx2 v[0:1], v[0:1], off offset:512
	v_cvt_f16_f32_e32 v3, v3
	v_pack_b32_f16 v2, v2, v3
	v_pk_mul_f16 v2, v85, v2
	s_waitcnt vmcnt(0)
	v_cvt_f16_f32_e32 v0, v0
	v_cvt_f16_f32_e32 v1, v1
	v_pack_b32_f16 v0, v0, v1
	v_pk_mul_f16 v0, v85, v0
	v_add_u32_e32 v1, 0x80, v199
	ds_write2st64_b32 v1, v2, v0 offset0:82 offset1:83
.LBB30_318:                             ;   in Loop: Header=BB30_14 Depth=1
	s_or_b64 exec, exec, s[76:77]
	v_add_u32_e32 v0, s80, v193
	v_cmp_le_i32_e32 vcc, s28, v0
	s_or_b64 s[8:9], vcc, s[8:9]
	s_and_saveexec_b64 s[76:77], s[8:9]
	s_xor_b64 s[8:9], exec, s[76:77]
	s_cbranch_execz .LBB30_320
; %bb.319:                              ;   in Loop: Header=BB30_14 Depth=1
	ds_write2st64_b32 v199, v225, v225 offset0:99 offset1:100
                                        ; implicit-def: $vgpr0
.LBB30_320:                             ;   in Loop: Header=BB30_14 Depth=1
	s_andn2_saveexec_b64 s[8:9], s[8:9]
	s_cbranch_execz .LBB30_322
; %bb.321:                              ;   in Loop: Header=BB30_14 Depth=1
	v_mul_lo_u32 v0, v0, s33
	v_add3_u32 v0, v0, v197, v95
	v_ashrrev_i32_e32 v1, 31, v0
	v_lshlrev_b64 v[0:1], 3, v[0:1]
	v_add_co_u32_e32 v0, vcc, s54, v0
	v_mov_b32_e32 v2, s35
	v_addc_co_u32_e32 v1, vcc, v2, v1, vcc
	global_load_dwordx2 v[2:3], v[0:1], off
	s_waitcnt vmcnt(0)
	v_cvt_f16_f32_e32 v2, v2
	global_load_dwordx2 v[0:1], v[0:1], off offset:512
	v_cvt_f16_f32_e32 v3, v3
	v_pack_b32_f16 v2, v2, v3
	v_pk_mul_f16 v2, v85, v2
	s_waitcnt vmcnt(0)
	v_cvt_f16_f32_e32 v0, v0
	v_cvt_f16_f32_e32 v1, v1
	v_pack_b32_f16 v0, v0, v1
	v_pk_mul_f16 v0, v85, v0
	ds_write2st64_b32 v199, v2, v0 offset0:99 offset1:100
.LBB30_322:                             ;   in Loop: Header=BB30_14 Depth=1
	s_or_b64 exec, exec, s[8:9]
	s_waitcnt lgkmcnt(0)
	s_barrier
	ds_read2_b64 v[30:33], v96 offset1:4
	ds_read2_b64 v[26:29], v96 offset0:8 offset1:12
	ds_read2_b64 v[22:25], v96 offset0:16 offset1:20
	;; [unrolled: 1-line block ×7, first 2 shown]
	v_add_u32_e32 v0, s80, v97
	v_mul_hi_u32 v1, s46, v0
	v_add_u32_e32 v1, v0, v1
	v_lshrrev_b32_e32 v1, s47, v1
	v_mul_lo_u32 v1, v1, s28
	s_cmp_gt_i32 s65, 1
	v_sub_u32_e32 v177, v0, v1
	s_waitcnt lgkmcnt(0)
	s_barrier
	s_cbranch_scc1 .LBB30_324
; %bb.323:                              ;   in Loop: Header=BB30_14 Depth=1
	s_mov_b64 s[8:9], 0
	s_mov_b32 s38, 0xfeffffff
	s_mov_b32 s54, 0
	;; [unrolled: 1-line block ×3, first 2 shown]
	s_branch .LBB30_325
.LBB30_324:                             ;   in Loop: Header=BB30_14 Depth=1
	s_mov_b64 s[8:9], -1
                                        ; implicit-def: $sgpr35
                                        ; implicit-def: $sgpr54
                                        ; implicit-def: $sgpr38
.LBB30_325:                             ;   in Loop: Header=BB30_14 Depth=1
	s_andn2_b64 vcc, exec, s[8:9]
	v_mov_b32_e32 v42, s35
	v_mov_b32_e32 v39, s54
	;; [unrolled: 1-line block ×34, first 2 shown]
	s_cbranch_vccnz .LBB30_361
; %bb.326:                              ;   in Loop: Header=BB30_14 Depth=1
	buffer_load_dword v34, off, s[96:99], 0 offset:12 ; 4-byte Folded Reload
	v_and_b32_e32 v0, 64, v223
	v_add_u32_e32 v0, 64, v0
	v_xor_b32_e32 v1, 32, v223
	v_cmp_lt_i32_e32 vcc, v1, v0
	v_cndmask_b32_e32 v1, v223, v1, vcc
	v_lshlrev_b32_e32 v170, 2, v1
	v_xor_b32_e32 v1, 16, v223
	v_cmp_lt_i32_e32 vcc, v1, v0
	v_readlane_b32 s8, v255, 27
	v_cndmask_b32_e32 v0, v223, v1, vcc
	v_readlane_b32 s9, v255, 28
	v_lshlrev_b32_e32 v171, 2, v0
	v_mad_i64_i32 v[0:1], s[8:9], s8, v177, v[68:69]
	s_add_i32 s35, s65, -1
	s_add_u32 s8, s95, s58
	s_addc_u32 s9, s62, s34
	v_mov_b32_e32 v43, 0
	v_mov_b32_e32 v206, 0xfeffffff
	s_mov_b32 s34, s35
	v_mov_b32_e32 v81, 0
	v_mov_b32_e32 v184, 0
	;; [unrolled: 1-line block ×31, first 2 shown]
	s_waitcnt vmcnt(0)
	v_add_co_u32_e32 v68, vcc, v34, v0
	buffer_load_dword v0, off, s[96:99], 0 offset:16 ; 4-byte Folded Reload
	buffer_load_dword v34, off, s[96:99], 0 offset:28 ; 4-byte Folded Reload
	s_waitcnt vmcnt(1)
	v_addc_co_u32_e32 v69, vcc, v0, v1, vcc
	buffer_load_dword v1, off, s[96:99], 0 offset:20 ; 4-byte Folded Reload
	v_mov_b32_e32 v0, s9
	s_waitcnt vmcnt(0)
	v_add_co_u32_e32 v70, vcc, s8, v1
	buffer_load_dword v1, off, s[96:99], 0 offset:24 ; 4-byte Folded Reload
	s_waitcnt vmcnt(0)
	v_addc_co_u32_e32 v1, vcc, v1, v0, vcc
	v_add_co_u32_e32 v72, vcc, s8, v34
	buffer_load_dword v34, off, s[96:99], 0 offset:32 ; 4-byte Folded Reload
	s_waitcnt vmcnt(0)
	v_addc_co_u32_e32 v45, vcc, v34, v0, vcc
	buffer_load_dword v34, off, s[96:99], 0 offset:36 ; 4-byte Folded Reload
	s_waitcnt vmcnt(0)
	v_add_co_u32_e32 v74, vcc, s8, v34
	buffer_load_dword v34, off, s[96:99], 0 offset:40 ; 4-byte Folded Reload
	s_waitcnt vmcnt(0)
	v_addc_co_u32_e32 v63, vcc, v34, v0, vcc
	buffer_load_dword v34, off, s[96:99], 0 offset:44 ; 4-byte Folded Reload
	s_waitcnt vmcnt(0)
	v_add_co_u32_e32 v76, vcc, s8, v34
	buffer_load_dword v34, off, s[96:99], 0 offset:48 ; 4-byte Folded Reload
	s_add_u32 s8, s67, s93
	s_addc_u32 s9, s66, s94
	s_waitcnt vmcnt(0)
	v_addc_co_u32_e32 v65, vcc, v34, v0, vcc
	buffer_load_dword v34, off, s[96:99], 0 offset:52 ; 4-byte Folded Reload
	v_mov_b32_e32 v0, s9
	s_waitcnt vmcnt(0)
	v_add_co_u32_e32 v78, vcc, s8, v34
	buffer_load_dword v34, off, s[96:99], 0 offset:56 ; 4-byte Folded Reload
	s_waitcnt vmcnt(0)
	v_addc_co_u32_e32 v67, vcc, v34, v0, vcc
	buffer_load_dword v34, off, s[96:99], 0 offset:60 ; 4-byte Folded Reload
	s_waitcnt vmcnt(0)
	v_add_co_u32_e32 v80, vcc, s8, v34
	v_mov_b32_e32 v34, v221
	v_addc_co_u32_e32 v71, vcc, v34, v0, vcc
	v_mov_b32_e32 v34, v222
	v_add_co_u32_e32 v82, vcc, s8, v34
	v_mov_b32_e32 v34, v218
	v_addc_co_u32_e32 v73, vcc, v34, v0, vcc
	v_mov_b32_e32 v34, v219
	;; [unrolled: 4-line block ×3, first 2 shown]
.LBB30_327:                             ;   Parent Loop BB30_14 Depth=1
                                        ; =>  This Inner Loop Header: Depth=2
	global_load_dword v34, v[68:69], off
	v_add_u32_e32 v207, 0x4000, v99
	s_waitcnt vmcnt(0)
	ds_write_b32 v151, v34 offset:33792
	v_add_co_u32_e32 v34, vcc, v78, v62
	v_addc_co_u32_e32 v35, vcc, 0, v67, vcc
	global_load_dwordx4 v[34:37], v[34:35], off
	s_waitcnt vmcnt(0)
	ds_write_b128 v98, v[34:37]
	v_add_co_u32_e32 v34, vcc, v80, v62
	v_addc_co_u32_e32 v35, vcc, 0, v71, vcc
	global_load_dwordx4 v[34:37], v[34:35], off
	s_waitcnt vmcnt(0)
	ds_write_b128 v226, v[34:37]
	;; [unrolled: 5-line block ×4, first 2 shown]
	s_waitcnt lgkmcnt(0)
	s_barrier
	ds_read2_b64 v[34:37], v99 offset1:4
	s_waitcnt lgkmcnt(0)
	v_mfma_f32_16x16x16f16 v[38:41], v[34:35], v[30:31], 0
	v_mfma_f32_16x16x16f16 v[34:37], v[36:37], v[32:33], v[38:41]
	s_nop 7
	s_nop 1
	ds_read2_b64 v[38:41], v99 offset0:8 offset1:12
	s_waitcnt lgkmcnt(0)
	v_mfma_f32_16x16x16f16 v[34:37], v[38:39], v[26:27], v[34:37]
	v_mfma_f32_16x16x16f16 v[34:37], v[40:41], v[28:29], v[34:37]
	ds_read2_b64 v[38:41], v99 offset0:16 offset1:20
	s_waitcnt lgkmcnt(0)
	v_mfma_f32_16x16x16f16 v[34:37], v[38:39], v[22:23], v[34:37]
	v_mfma_f32_16x16x16f16 v[34:37], v[40:41], v[24:25], v[34:37]
	;; [unrolled: 4-line block ×7, first 2 shown]
	ds_read2_b64 v[38:41], v207 offset0:64 offset1:68
	s_waitcnt lgkmcnt(0)
	v_mfma_f32_16x16x16f16 v[208:211], v[38:39], v[30:31], 0
	s_nop 7
	v_cmp_nlt_f32_e64 s[8:9], |v34|, s45
	v_mfma_f32_16x16x16f16 v[38:41], v[40:41], v[32:33], v[208:211]
	s_nop 6
	ds_read2_b64 v[208:211], v207 offset0:72 offset1:76
	s_waitcnt lgkmcnt(0)
	v_mfma_f32_16x16x16f16 v[38:41], v[208:209], v[26:27], v[38:41]
	v_mfma_f32_16x16x16f16 v[38:41], v[210:211], v[28:29], v[38:41]
	ds_read2_b64 v[208:211], v207 offset0:80 offset1:84
	s_waitcnt lgkmcnt(0)
	v_mfma_f32_16x16x16f16 v[38:41], v[208:209], v[22:23], v[38:41]
	v_mfma_f32_16x16x16f16 v[38:41], v[210:211], v[24:25], v[38:41]
	;; [unrolled: 4-line block ×6, first 2 shown]
	ds_read2_b64 v[208:211], v207 offset0:120 offset1:124
	s_waitcnt lgkmcnt(0)
	s_barrier
	s_waitcnt lgkmcnt(0)
                                        ; implicit-def: $vgpr207
	v_mfma_f32_16x16x16f16 v[38:41], v[208:209], v[2:3], v[38:41]
	v_mfma_f32_16x16x16f16 v[38:41], v[210:211], v[4:5], v[38:41]
	s_and_saveexec_b64 s[54:55], s[8:9]
	s_xor_b64 s[8:9], exec, s[54:55]
	s_cbranch_execz .LBB30_329
; %bb.328:                              ;   in Loop: Header=BB30_327 Depth=2
	v_add_f32_e64 v207, |v34|, |v34|
	v_mul_f32_e32 v208, 0x3fb8aa3b, v207
	v_rndne_f32_e32 v209, v208
	v_sub_f32_e32 v210, v208, v209
	v_fma_f32 v208, v207, s69, -v208
	v_fmac_f32_e32 v208, 0x32a5705f, v207
	v_add_f32_e32 v208, v210, v208
	v_cvt_i32_f32_e32 v209, v209
	v_exp_f32_e32 v208, v208
	v_cmp_ngt_f32_e32 vcc, s57, v207
	v_ldexp_f32 v208, v208, v209
	v_cndmask_b32_e32 v208, 0, v208, vcc
	v_cmp_nlt_f32_e32 vcc, s68, v207
	v_cndmask_b32_e32 v207, v186, v208, vcc
	v_add_f32_e32 v207, 1.0, v207
	v_rcp_f32_e32 v207, v207
	v_fma_f32 v207, v207, -2.0, 1.0
.LBB30_329:                             ;   in Loop: Header=BB30_327 Depth=2
	s_andn2_saveexec_b64 s[8:9], s[8:9]
; %bb.330:                              ;   in Loop: Header=BB30_327 Depth=2
	v_mul_f32_e32 v207, v34, v34
	v_mov_b32_e32 v208, 0x3ca908c9
	v_fmac_f32_e32 v208, 0xbbbac73d, v207
	v_fma_f32 v208, v207, v208, v189
	v_fma_f32 v208, v207, v208, v190
	v_fma_f32 v208, v207, v208, v185
	v_mul_f32_e64 v208, |v34|, v208
	v_fma_f32 v207, v207, v208, |v34|
; %bb.331:                              ;   in Loop: Header=BB30_327 Depth=2
	s_or_b64 exec, exec, s[8:9]
	v_cmp_nlt_f32_e64 s[8:9], |v35|, s45
                                        ; implicit-def: $vgpr208
	s_and_saveexec_b64 s[54:55], s[8:9]
	s_xor_b64 s[8:9], exec, s[54:55]
	s_cbranch_execz .LBB30_333
; %bb.332:                              ;   in Loop: Header=BB30_327 Depth=2
	v_add_f32_e64 v208, |v35|, |v35|
	v_mul_f32_e32 v209, 0x3fb8aa3b, v208
	v_rndne_f32_e32 v210, v209
	v_sub_f32_e32 v211, v209, v210
	v_fma_f32 v209, v208, s69, -v209
	v_fmac_f32_e32 v209, 0x32a5705f, v208
	v_add_f32_e32 v209, v211, v209
	v_cvt_i32_f32_e32 v210, v210
	v_exp_f32_e32 v209, v209
	v_cmp_ngt_f32_e32 vcc, s57, v208
	v_ldexp_f32 v209, v209, v210
	v_cndmask_b32_e32 v209, 0, v209, vcc
	v_cmp_nlt_f32_e32 vcc, s68, v208
	v_cndmask_b32_e32 v208, v186, v209, vcc
	v_add_f32_e32 v208, 1.0, v208
	v_rcp_f32_e32 v208, v208
	v_fma_f32 v208, v208, -2.0, 1.0
.LBB30_333:                             ;   in Loop: Header=BB30_327 Depth=2
	s_andn2_saveexec_b64 s[8:9], s[8:9]
; %bb.334:                              ;   in Loop: Header=BB30_327 Depth=2
	v_mul_f32_e32 v208, v35, v35
	v_mov_b32_e32 v209, 0x3ca908c9
	v_fmac_f32_e32 v209, 0xbbbac73d, v208
	v_fma_f32 v209, v208, v209, v189
	v_fma_f32 v209, v208, v209, v190
	;; [unrolled: 1-line block ×3, first 2 shown]
	v_mul_f32_e64 v209, |v35|, v209
	v_fma_f32 v208, v208, v209, |v35|
; %bb.335:                              ;   in Loop: Header=BB30_327 Depth=2
	s_or_b64 exec, exec, s[8:9]
	v_cmp_nlt_f32_e64 s[8:9], |v36|, s45
                                        ; implicit-def: $vgpr209
	s_and_saveexec_b64 s[54:55], s[8:9]
	s_xor_b64 s[8:9], exec, s[54:55]
	s_cbranch_execz .LBB30_337
; %bb.336:                              ;   in Loop: Header=BB30_327 Depth=2
	v_add_f32_e64 v209, |v36|, |v36|
	v_mul_f32_e32 v210, 0x3fb8aa3b, v209
	v_rndne_f32_e32 v211, v210
	v_sub_f32_e32 v212, v210, v211
	v_fma_f32 v210, v209, s69, -v210
	v_fmac_f32_e32 v210, 0x32a5705f, v209
	v_add_f32_e32 v210, v212, v210
	v_cvt_i32_f32_e32 v211, v211
	v_exp_f32_e32 v210, v210
	v_cmp_ngt_f32_e32 vcc, s57, v209
	v_ldexp_f32 v210, v210, v211
	v_cndmask_b32_e32 v210, 0, v210, vcc
	v_cmp_nlt_f32_e32 vcc, s68, v209
	v_cndmask_b32_e32 v209, v186, v210, vcc
	v_add_f32_e32 v209, 1.0, v209
	v_rcp_f32_e32 v209, v209
	v_fma_f32 v209, v209, -2.0, 1.0
.LBB30_337:                             ;   in Loop: Header=BB30_327 Depth=2
	s_andn2_saveexec_b64 s[8:9], s[8:9]
; %bb.338:                              ;   in Loop: Header=BB30_327 Depth=2
	v_mul_f32_e32 v209, v36, v36
	v_mov_b32_e32 v210, 0x3ca908c9
	v_fmac_f32_e32 v210, 0xbbbac73d, v209
	v_fma_f32 v210, v209, v210, v189
	v_fma_f32 v210, v209, v210, v190
	;; [unrolled: 1-line block ×3, first 2 shown]
	v_mul_f32_e64 v210, |v36|, v210
	v_fma_f32 v209, v209, v210, |v36|
; %bb.339:                              ;   in Loop: Header=BB30_327 Depth=2
	s_or_b64 exec, exec, s[8:9]
	v_cmp_nlt_f32_e64 s[8:9], |v37|, s45
                                        ; implicit-def: $vgpr210
	s_and_saveexec_b64 s[54:55], s[8:9]
	s_xor_b64 s[8:9], exec, s[54:55]
	s_cbranch_execz .LBB30_341
; %bb.340:                              ;   in Loop: Header=BB30_327 Depth=2
	v_add_f32_e64 v210, |v37|, |v37|
	v_mul_f32_e32 v211, 0x3fb8aa3b, v210
	v_rndne_f32_e32 v212, v211
	v_sub_f32_e32 v213, v211, v212
	v_fma_f32 v211, v210, s69, -v211
	v_fmac_f32_e32 v211, 0x32a5705f, v210
	v_add_f32_e32 v211, v213, v211
	v_cvt_i32_f32_e32 v212, v212
	v_exp_f32_e32 v211, v211
	v_cmp_ngt_f32_e32 vcc, s57, v210
	v_ldexp_f32 v211, v211, v212
	v_cndmask_b32_e32 v211, 0, v211, vcc
	v_cmp_nlt_f32_e32 vcc, s68, v210
	v_cndmask_b32_e32 v210, v186, v211, vcc
	v_add_f32_e32 v210, 1.0, v210
	v_rcp_f32_e32 v210, v210
	v_fma_f32 v210, v210, -2.0, 1.0
.LBB30_341:                             ;   in Loop: Header=BB30_327 Depth=2
	s_andn2_saveexec_b64 s[8:9], s[8:9]
; %bb.342:                              ;   in Loop: Header=BB30_327 Depth=2
	v_mul_f32_e32 v210, v37, v37
	v_mov_b32_e32 v211, 0x3ca908c9
	v_fmac_f32_e32 v211, 0xbbbac73d, v210
	v_fma_f32 v211, v210, v211, v189
	v_fma_f32 v211, v210, v211, v190
	;; [unrolled: 1-line block ×3, first 2 shown]
	v_mul_f32_e64 v211, |v37|, v211
	v_fma_f32 v210, v210, v211, |v37|
; %bb.343:                              ;   in Loop: Header=BB30_327 Depth=2
	s_or_b64 exec, exec, s[8:9]
	v_cmp_nlt_f32_e64 s[8:9], |v38|, s45
                                        ; implicit-def: $vgpr211
	s_and_saveexec_b64 s[54:55], s[8:9]
	s_xor_b64 s[8:9], exec, s[54:55]
	s_cbranch_execz .LBB30_345
; %bb.344:                              ;   in Loop: Header=BB30_327 Depth=2
	v_add_f32_e64 v211, |v38|, |v38|
	v_mul_f32_e32 v212, 0x3fb8aa3b, v211
	v_rndne_f32_e32 v213, v212
	v_sub_f32_e32 v214, v212, v213
	v_fma_f32 v212, v211, s69, -v212
	v_fmac_f32_e32 v212, 0x32a5705f, v211
	v_add_f32_e32 v212, v214, v212
	v_cvt_i32_f32_e32 v213, v213
	v_exp_f32_e32 v212, v212
	v_cmp_ngt_f32_e32 vcc, s57, v211
	v_ldexp_f32 v212, v212, v213
	v_cndmask_b32_e32 v212, 0, v212, vcc
	v_cmp_nlt_f32_e32 vcc, s68, v211
	v_cndmask_b32_e32 v211, v186, v212, vcc
	v_add_f32_e32 v211, 1.0, v211
	v_rcp_f32_e32 v211, v211
	v_fma_f32 v211, v211, -2.0, 1.0
.LBB30_345:                             ;   in Loop: Header=BB30_327 Depth=2
	s_andn2_saveexec_b64 s[8:9], s[8:9]
; %bb.346:                              ;   in Loop: Header=BB30_327 Depth=2
	v_mul_f32_e32 v211, v38, v38
	v_mov_b32_e32 v212, 0x3ca908c9
	v_fmac_f32_e32 v212, 0xbbbac73d, v211
	v_fma_f32 v212, v211, v212, v189
	v_fma_f32 v212, v211, v212, v190
	v_fma_f32 v212, v211, v212, v185
	v_mul_f32_e64 v212, |v38|, v212
	v_fma_f32 v211, v211, v212, |v38|
; %bb.347:                              ;   in Loop: Header=BB30_327 Depth=2
	s_or_b64 exec, exec, s[8:9]
	v_cmp_nlt_f32_e64 s[8:9], |v39|, s45
                                        ; implicit-def: $vgpr212
	s_and_saveexec_b64 s[54:55], s[8:9]
	s_xor_b64 s[8:9], exec, s[54:55]
	s_cbranch_execz .LBB30_349
; %bb.348:                              ;   in Loop: Header=BB30_327 Depth=2
	v_add_f32_e64 v212, |v39|, |v39|
	v_mul_f32_e32 v213, 0x3fb8aa3b, v212
	v_rndne_f32_e32 v214, v213
	v_sub_f32_e32 v215, v213, v214
	v_fma_f32 v213, v212, s69, -v213
	v_fmac_f32_e32 v213, 0x32a5705f, v212
	v_add_f32_e32 v213, v215, v213
	v_cvt_i32_f32_e32 v214, v214
	v_exp_f32_e32 v213, v213
	v_cmp_ngt_f32_e32 vcc, s57, v212
	v_ldexp_f32 v213, v213, v214
	v_cndmask_b32_e32 v213, 0, v213, vcc
	v_cmp_nlt_f32_e32 vcc, s68, v212
	v_cndmask_b32_e32 v212, v186, v213, vcc
	v_add_f32_e32 v212, 1.0, v212
	v_rcp_f32_e32 v212, v212
	v_fma_f32 v212, v212, -2.0, 1.0
.LBB30_349:                             ;   in Loop: Header=BB30_327 Depth=2
	s_andn2_saveexec_b64 s[8:9], s[8:9]
; %bb.350:                              ;   in Loop: Header=BB30_327 Depth=2
	v_mul_f32_e32 v212, v39, v39
	v_mov_b32_e32 v213, 0x3ca908c9
	v_fmac_f32_e32 v213, 0xbbbac73d, v212
	v_fma_f32 v213, v212, v213, v189
	v_fma_f32 v213, v212, v213, v190
	;; [unrolled: 1-line block ×3, first 2 shown]
	v_mul_f32_e64 v213, |v39|, v213
	v_fma_f32 v212, v212, v213, |v39|
; %bb.351:                              ;   in Loop: Header=BB30_327 Depth=2
	s_or_b64 exec, exec, s[8:9]
	v_cmp_nlt_f32_e64 s[8:9], |v40|, s45
                                        ; implicit-def: $vgpr213
	s_and_saveexec_b64 s[54:55], s[8:9]
	s_xor_b64 s[8:9], exec, s[54:55]
	s_cbranch_execz .LBB30_353
; %bb.352:                              ;   in Loop: Header=BB30_327 Depth=2
	v_add_f32_e64 v213, |v40|, |v40|
	v_mul_f32_e32 v214, 0x3fb8aa3b, v213
	v_rndne_f32_e32 v215, v214
	v_sub_f32_e32 v216, v214, v215
	v_fma_f32 v214, v213, s69, -v214
	v_fmac_f32_e32 v214, 0x32a5705f, v213
	v_add_f32_e32 v214, v216, v214
	v_cvt_i32_f32_e32 v215, v215
	v_exp_f32_e32 v214, v214
	v_cmp_ngt_f32_e32 vcc, s57, v213
	v_ldexp_f32 v214, v214, v215
	v_cndmask_b32_e32 v214, 0, v214, vcc
	v_cmp_nlt_f32_e32 vcc, s68, v213
	v_cndmask_b32_e32 v213, v186, v214, vcc
	v_add_f32_e32 v213, 1.0, v213
	v_rcp_f32_e32 v213, v213
	v_fma_f32 v213, v213, -2.0, 1.0
.LBB30_353:                             ;   in Loop: Header=BB30_327 Depth=2
	s_andn2_saveexec_b64 s[8:9], s[8:9]
; %bb.354:                              ;   in Loop: Header=BB30_327 Depth=2
	v_mul_f32_e32 v213, v40, v40
	v_mov_b32_e32 v214, 0x3ca908c9
	v_fmac_f32_e32 v214, 0xbbbac73d, v213
	v_fma_f32 v214, v213, v214, v189
	v_fma_f32 v214, v213, v214, v190
	;; [unrolled: 1-line block ×3, first 2 shown]
	v_mul_f32_e64 v214, |v40|, v214
	v_fma_f32 v213, v213, v214, |v40|
; %bb.355:                              ;   in Loop: Header=BB30_327 Depth=2
	s_or_b64 exec, exec, s[8:9]
	v_cmp_nlt_f32_e64 s[8:9], |v41|, s45
                                        ; implicit-def: $vgpr214
	s_and_saveexec_b64 s[54:55], s[8:9]
	s_xor_b64 s[8:9], exec, s[54:55]
	s_cbranch_execz .LBB30_357
; %bb.356:                              ;   in Loop: Header=BB30_327 Depth=2
	v_add_f32_e64 v214, |v41|, |v41|
	v_mul_f32_e32 v215, 0x3fb8aa3b, v214
	v_rndne_f32_e32 v216, v215
	v_sub_f32_e32 v217, v215, v216
	v_fma_f32 v215, v214, s69, -v215
	v_fmac_f32_e32 v215, 0x32a5705f, v214
	v_add_f32_e32 v215, v217, v215
	v_cvt_i32_f32_e32 v216, v216
	v_exp_f32_e32 v215, v215
	v_cmp_ngt_f32_e32 vcc, s57, v214
	v_ldexp_f32 v215, v215, v216
	v_cndmask_b32_e32 v215, 0, v215, vcc
	v_cmp_nlt_f32_e32 vcc, s68, v214
	v_cndmask_b32_e32 v214, v186, v215, vcc
	v_add_f32_e32 v214, 1.0, v214
	v_rcp_f32_e32 v214, v214
	v_fma_f32 v214, v214, -2.0, 1.0
.LBB30_357:                             ;   in Loop: Header=BB30_327 Depth=2
	s_andn2_saveexec_b64 s[8:9], s[8:9]
; %bb.358:                              ;   in Loop: Header=BB30_327 Depth=2
	v_mul_f32_e32 v214, v41, v41
	v_mov_b32_e32 v215, 0x3ca908c9
	v_fmac_f32_e32 v215, 0xbbbac73d, v214
	v_fma_f32 v215, v214, v215, v189
	v_fma_f32 v215, v214, v215, v190
	;; [unrolled: 1-line block ×3, first 2 shown]
	v_mul_f32_e64 v215, |v41|, v215
	v_fma_f32 v214, v214, v215, |v41|
; %bb.359:                              ;   in Loop: Header=BB30_327 Depth=2
	s_or_b64 exec, exec, s[8:9]
	v_bfi_b32 v34, s7, v207, v34
	v_add_u32_e32 v207, 0x8400, v100
	v_bfi_b32 v39, s7, v212, v39
	v_bfi_b32 v36, s7, v209, v36
	;; [unrolled: 1-line block ×3, first 2 shown]
	ds_read2_b32 v[208:209], v207 offset1:1
	ds_read_b32 v207, v152 offset:33792
	ds_read_b32 v212, v153 offset:33792
	v_bfi_b32 v38, s7, v211, v38
	v_bfi_b32 v37, s7, v210, v37
	s_waitcnt lgkmcnt(2)
	v_cvt_f32_f16_e32 v210, v208
	v_cvt_f32_f16_sdwa v211, v208 dst_sel:DWORD dst_unused:UNUSED_PAD src0_sel:WORD_1
	v_bfi_b32 v41, s7, v214, v41
	v_bfi_b32 v40, s7, v213, v40
	s_add_i32 s34, s34, -1
	v_pk_fma_f32 v[210:211], v[34:35], s[40:41], v[210:211]
	v_add_f32_e32 v34, 0x40051340, v210
	v_add_f32_e32 v35, 0x40051340, v211
	v_max3_f32 v208, v206, v34, v35
	s_waitcnt lgkmcnt(0)
	v_cvt_f32_f16_sdwa v35, v212 dst_sel:DWORD dst_unused:UNUSED_PAD src0_sel:WORD_1
	v_cvt_f32_f16_e32 v34, v212
	s_cmp_lg_u32 s34, 0
	v_pk_fma_f32 v[34:35], v[40:41], s[40:41], v[34:35]
	v_cvt_f32_f16_sdwa v41, v207 dst_sel:DWORD dst_unused:UNUSED_PAD src0_sel:WORD_1
	v_cvt_f32_f16_e32 v40, v207
	v_add_f32_e32 v212, 0x40051340, v34
	v_add_f32_e32 v213, 0x40051340, v35
	v_pk_fma_f32 v[40:41], v[38:39], s[40:41], v[40:41]
	v_cvt_f32_f16_e32 v38, v209
	v_cvt_f32_f16_sdwa v39, v209 dst_sel:DWORD dst_unused:UNUSED_PAD src0_sel:WORD_1
	v_add_f32_e32 v207, 0x40051340, v40
	v_add_f32_e32 v214, 0x40051340, v41
	v_pk_fma_f32 v[36:37], v[36:37], s[40:41], v[38:39]
	v_add_f32_e32 v38, 0x40051340, v36
	v_add_f32_e32 v39, 0x40051340, v37
	v_max3_f32 v38, v208, v38, v39
	v_max3_f32 v38, v38, v207, v214
	;; [unrolled: 1-line block ×3, first 2 shown]
	ds_bpermute_b32 v39, v170, v38
	s_waitcnt lgkmcnt(0)
	v_max_f32_e32 v39, v39, v39
	v_max_f32_e32 v38, v38, v39
	ds_bpermute_b32 v39, v171, v38
	s_waitcnt lgkmcnt(0)
	v_max_f32_e32 v39, v39, v39
	v_max_f32_e32 v38, v38, v39
	v_pk_add_f32 v[208:209], v[210:211], v[38:39] op_sel_hi:[1,0] neg_lo:[0,1] neg_hi:[0,1]
	v_mul_f32_e32 v39, 0x3fb8aa3b, v209
	v_fma_f32 v207, v209, s69, -v39
	v_rndne_f32_e32 v210, v39
	v_fmac_f32_e32 v207, 0x32a5705f, v209
	v_sub_f32_e32 v39, v39, v210
	v_add_f32_e32 v39, v39, v207
	v_exp_f32_e32 v39, v39
	v_cvt_i32_f32_e32 v207, v210
	v_cmp_ngt_f32_e32 vcc, s57, v209
	v_ldexp_f32 v39, v39, v207
	v_cndmask_b32_e32 v39, 0, v39, vcc
	v_cmp_nlt_f32_e32 vcc, s68, v209
	v_cndmask_b32_e32 v209, v186, v39, vcc
	v_mul_f32_e32 v39, 0x3fb8aa3b, v208
	v_fma_f32 v207, v208, s69, -v39
	v_rndne_f32_e32 v210, v39
	v_fmac_f32_e32 v207, 0x32a5705f, v208
	v_sub_f32_e32 v39, v39, v210
	v_add_f32_e32 v39, v39, v207
	v_exp_f32_e32 v39, v39
	v_cvt_i32_f32_e32 v207, v210
	v_cmp_ngt_f32_e32 vcc, s57, v208
	v_ldexp_f32 v39, v39, v207
	v_cndmask_b32_e32 v39, 0, v39, vcc
	v_cmp_nlt_f32_e32 vcc, s68, v208
	v_pk_add_f32 v[36:37], v[36:37], v[38:39] op_sel_hi:[1,0] neg_lo:[0,1] neg_hi:[0,1]
	v_cndmask_b32_e32 v208, v186, v39, vcc
	v_mul_f32_e32 v39, 0x3fb8aa3b, v37
	v_fma_f32 v207, v37, s69, -v39
	v_rndne_f32_e32 v210, v39
	v_fmac_f32_e32 v207, 0x32a5705f, v37
	v_sub_f32_e32 v39, v39, v210
	v_add_f32_e32 v39, v39, v207
	v_exp_f32_e32 v39, v39
	v_cvt_i32_f32_e32 v207, v210
	v_cmp_ngt_f32_e32 vcc, s57, v37
	v_ldexp_f32 v39, v39, v207
	v_cndmask_b32_e32 v39, 0, v39, vcc
	v_cmp_nlt_f32_e32 vcc, s68, v37
	v_mul_f32_e32 v37, 0x3fb8aa3b, v36
	v_cndmask_b32_e32 v210, v186, v39, vcc
	v_fma_f32 v39, v36, s69, -v37
	v_rndne_f32_e32 v207, v37
	v_fmac_f32_e32 v39, 0x32a5705f, v36
	v_sub_f32_e32 v37, v37, v207
	v_add_f32_e32 v37, v37, v39
	v_exp_f32_e32 v37, v37
	v_cvt_i32_f32_e32 v39, v207
	v_cmp_ngt_f32_e32 vcc, s57, v36
	v_ldexp_f32 v37, v37, v39
	v_cndmask_b32_e32 v37, 0, v37, vcc
	v_cmp_nlt_f32_e32 vcc, s68, v36
	v_cndmask_b32_e32 v211, v186, v37, vcc
	v_pk_add_f32 v[36:37], v[40:41], v[38:39] op_sel_hi:[1,0] neg_lo:[0,1] neg_hi:[0,1]
	v_mul_f32_e32 v39, 0x3fb8aa3b, v37
	v_fma_f32 v40, v37, s69, -v39
	v_rndne_f32_e32 v41, v39
	v_fmac_f32_e32 v40, 0x32a5705f, v37
	v_sub_f32_e32 v39, v39, v41
	v_add_f32_e32 v39, v39, v40
	v_exp_f32_e32 v39, v39
	v_cvt_i32_f32_e32 v40, v41
	v_cmp_ngt_f32_e32 vcc, s57, v37
	v_ldexp_f32 v39, v39, v40
	v_cndmask_b32_e32 v39, 0, v39, vcc
	v_cmp_nlt_f32_e32 vcc, s68, v37
	v_mul_f32_e32 v37, 0x3fb8aa3b, v36
	v_cndmask_b32_e32 v212, v186, v39, vcc
	v_fma_f32 v39, v36, s69, -v37
	v_rndne_f32_e32 v40, v37
	v_fmac_f32_e32 v39, 0x32a5705f, v36
	v_sub_f32_e32 v37, v37, v40
	v_add_f32_e32 v37, v37, v39
	v_exp_f32_e32 v37, v37
	v_cvt_i32_f32_e32 v39, v40
	v_cmp_ngt_f32_e32 vcc, s57, v36
	v_ldexp_f32 v37, v37, v39
	v_pk_add_f32 v[34:35], v[34:35], v[38:39] op_sel_hi:[1,0] neg_lo:[0,1] neg_hi:[0,1]
	v_cndmask_b32_e32 v37, 0, v37, vcc
	v_cmp_nlt_f32_e32 vcc, s68, v36
	v_mul_f32_e32 v36, 0x3fb8aa3b, v35
	v_cndmask_b32_e32 v213, v186, v37, vcc
	v_fma_f32 v37, v35, s69, -v36
	v_rndne_f32_e32 v39, v36
	v_fmac_f32_e32 v37, 0x32a5705f, v35
	v_sub_f32_e32 v36, v36, v39
	v_add_f32_e32 v36, v36, v37
	v_exp_f32_e32 v36, v36
	v_cvt_i32_f32_e32 v37, v39
	v_cmp_ngt_f32_e32 vcc, s57, v35
	v_ldexp_f32 v36, v36, v37
	v_cndmask_b32_e32 v36, 0, v36, vcc
	v_cmp_nlt_f32_e32 vcc, s68, v35
	v_cndmask_b32_e32 v35, v186, v36, vcc
	v_mul_f32_e32 v36, 0x3fb8aa3b, v34
	v_fma_f32 v37, v34, s69, -v36
	v_rndne_f32_e32 v39, v36
	v_fmac_f32_e32 v37, 0x32a5705f, v34
	v_sub_f32_e32 v36, v36, v39
	v_add_f32_e32 v36, v36, v37
	v_exp_f32_e32 v36, v36
	v_cvt_i32_f32_e32 v37, v39
	v_cmp_ngt_f32_e32 vcc, s57, v34
	v_ldexp_f32 v36, v36, v37
	v_cndmask_b32_e32 v36, 0, v36, vcc
	v_cmp_nlt_f32_e32 vcc, s68, v34
	v_add_f32_e32 v34, v208, v209
	v_add_f32_e32 v34, v211, v34
	v_add_f32_e32 v34, v210, v34
	v_add_f32_e32 v34, v213, v34
	v_cndmask_b32_e32 v214, v186, v36, vcc
	v_add_f32_e32 v34, v212, v34
	v_add_f32_e32 v34, v214, v34
	;; [unrolled: 1-line block ×3, first 2 shown]
	v_sub_f32_e32 v34, v206, v38
	v_mul_f32_e32 v36, 0x3fb8aa3b, v34
	v_fma_f32 v37, v34, s69, -v36
	v_rndne_f32_e32 v40, v36
	v_fmac_f32_e32 v37, 0x32a5705f, v34
	v_sub_f32_e32 v36, v36, v40
	v_add_f32_e32 v36, v36, v37
	v_exp_f32_e32 v36, v36
	v_cvt_i32_f32_e32 v37, v40
	v_cmp_ngt_f32_e32 vcc, s57, v34
	v_cvt_f16_f32_e32 v35, v35
	v_ldexp_f32 v36, v36, v37
	v_cndmask_b32_e32 v36, 0, v36, vcc
	v_cmp_nlt_f32_e32 vcc, s68, v34
	v_cndmask_b32_e32 v36, v186, v36, vcc
	v_cmp_le_f32_e32 vcc, s6, v34
	v_cndmask_b32_e32 v34, 0, v36, vcc
	v_fmac_f32_e32 v39, v0, v34
	v_cvt_f16_f32_e32 v34, v34
	v_cvt_f16_f32_e32 v36, v209
	;; [unrolled: 1-line block ×3, first 2 shown]
	v_pk_mul_f16 v205, v34, v205 op_sel_hi:[0,1]
	v_pk_mul_f16 v42, v34, v42 op_sel_hi:[0,1]
	;; [unrolled: 1-line block ×32, first 2 shown]
	v_cvt_f16_f32_e32 v34, v208
	v_add_co_u32_e32 v208, vcc, v70, v62
	v_addc_co_u32_e32 v209, vcc, 0, v1, vcc
	v_pack_b32_f16 v36, v34, v36
	v_cvt_f16_f32_e32 v34, v210
	global_load_dwordx4 v[208:211], v[208:209], off
	v_cvt_f16_f32_e32 v43, v213
	v_pack_b32_f16 v37, v37, v34
	v_cvt_f16_f32_e32 v34, v212
	v_add_co_u32_e32 v212, vcc, v72, v62
	v_addc_co_u32_e32 v213, vcc, 0, v45, vcc
	v_pack_b32_f16 v34, v43, v34
	v_cvt_f16_f32_e32 v43, v214
	v_add_co_u32_e32 v214, vcc, v74, v62
	v_addc_co_u32_e32 v215, vcc, 0, v63, vcc
	v_add_co_u32_e32 v216, vcc, v76, v62
	v_addc_co_u32_e32 v217, vcc, 0, v65, vcc
	v_pack_b32_f16 v35, v43, v35
	v_add_co_u32_e32 v68, vcc, s92, v68
	v_addc_co_u32_e32 v69, vcc, 0, v69, vcc
	v_add_co_u32_e32 v70, vcc, s70, v70
	s_waitcnt vmcnt(0)
	ds_write_b128 v98, v[208:211]
	global_load_dwordx4 v[208:211], v[212:213], off
	s_waitcnt vmcnt(0)
	ds_write_b128 v226, v[208:211]
	global_load_dwordx4 v[208:211], v[214:215], off
	;; [unrolled: 3-line block ×3, first 2 shown]
	s_waitcnt vmcnt(0)
	ds_write_b128 v228, v[208:211]
	s_waitcnt lgkmcnt(0)
	s_barrier
	ds_read_u16 v81, v102 offset:528
	ds_read_u16 v43, v102 offset:1056
	v_cvt_f32_f16_e32 v210, v42
	v_cvt_f32_f16_sdwa v211, v42 dst_sel:DWORD dst_unused:UNUSED_PAD src0_sel:WORD_1
	ds_read_u16 v42, v103
	ds_read_u16 v172, v103 offset:32
	v_cvt_f32_f16_e32 v208, v205
	v_cvt_f32_f16_sdwa v209, v205 dst_sel:DWORD dst_unused:UNUSED_PAD src0_sel:WORD_1
	s_waitcnt lgkmcnt(1)
	v_perm_b32 v43, v42, v43, s91
	ds_read_u16 v42, v101
	ds_read_u16 v178, v101 offset:32
	ds_read_u16 v205, v101 offset:16896
	;; [unrolled: 1-line block ×5, first 2 shown]
	s_waitcnt lgkmcnt(5)
	v_perm_b32 v42, v81, v42, s91
	s_nop 1
	v_mfma_f32_16x16x16f16 v[208:211], v[42:43], v[36:37], v[208:211]
	s_nop 7
	s_nop 2
	v_cvt_f16_f32_e32 v42, v208
	v_cvt_f16_f32_e32 v43, v209
	;; [unrolled: 1-line block ×4, first 2 shown]
	v_cvt_f32_f16_e32 v208, v42
	v_cvt_f32_f16_e32 v209, v43
	s_waitcnt lgkmcnt(0)
	v_perm_b32 v43, v214, v213, s91
	v_perm_b32 v42, v212, v205, s91
	v_cvt_f32_f16_e32 v210, v81
	v_cvt_f32_f16_e32 v211, v181
	s_nop 1
	v_mfma_f32_16x16x16f16 v[208:211], v[42:43], v[34:35], v[208:211]
	s_nop 7
	s_nop 2
	v_cvt_f16_f32_e32 v42, v208
	v_cvt_f16_f32_e32 v43, v209
	;; [unrolled: 1-line block ×4, first 2 shown]
	v_cvt_f32_f16_e32 v210, v179
	v_pack_b32_f16 v205, v42, v43
	v_cvt_f32_f16_sdwa v211, v179 dst_sel:DWORD dst_unused:UNUSED_PAD src0_sel:WORD_1
	v_pack_b32_f16 v42, v81, v181
	ds_read_u16 v43, v230 offset:528
	ds_read_u16 v81, v230 offset:1056
	v_cvt_f32_f16_e32 v208, v180
	v_cvt_f32_f16_sdwa v209, v180 dst_sel:DWORD dst_unused:UNUSED_PAD src0_sel:WORD_1
	s_waitcnt lgkmcnt(1)
	v_perm_b32 v178, v43, v178, s91
	s_waitcnt lgkmcnt(0)
	v_perm_b32 v179, v172, v81, s91
	s_nop 1
	v_mfma_f32_16x16x16f16 v[178:181], v[178:179], v[36:37], v[208:211]
	s_nop 6
	ds_read_u16 v208, v104 offset:16896
	ds_read_u16 v210, v134 offset:528
	;; [unrolled: 1-line block ×4, first 2 shown]
	s_waitcnt lgkmcnt(2)
	v_perm_b32 v208, v210, v208, s91
	v_cvt_f32_f16_e32 v210, v176
	s_waitcnt lgkmcnt(0)
	v_perm_b32 v209, v211, v209, s91
	v_cvt_f32_f16_sdwa v211, v176 dst_sel:DWORD dst_unused:UNUSED_PAD src0_sel:WORD_1
	v_cvt_f16_f32_e32 v43, v178
	v_cvt_f16_f32_e32 v81, v179
	;; [unrolled: 1-line block ×4, first 2 shown]
	v_cvt_f32_f16_e32 v178, v43
	v_cvt_f32_f16_e32 v179, v81
	;; [unrolled: 1-line block ×4, first 2 shown]
	s_nop 1
	v_mfma_f32_16x16x16f16 v[178:181], v[208:209], v[34:35], v[178:181]
	v_cvt_f32_f16_e32 v208, v207
	v_cvt_f32_f16_sdwa v209, v207 dst_sel:DWORD dst_unused:UNUSED_PAD src0_sel:WORD_1
	s_nop 7
	s_nop 0
	v_cvt_f16_f32_e32 v43, v178
	v_cvt_f16_f32_e32 v81, v179
	v_cvt_f16_f32_e32 v172, v180
	v_cvt_f16_f32_e32 v178, v181
	v_pack_b32_f16 v180, v43, v81
	v_pack_b32_f16 v179, v172, v178
	ds_read_u16 v43, v101 offset:64
	ds_read_u16 v81, v232 offset:528
	;; [unrolled: 1-line block ×4, first 2 shown]
	s_waitcnt lgkmcnt(2)
	v_perm_b32 v212, v81, v43, s91
	s_waitcnt lgkmcnt(0)
	v_perm_b32 v213, v178, v172, s91
	s_nop 1
	v_mfma_f32_16x16x16f16 v[208:211], v[212:213], v[36:37], v[208:211]
	ds_read_u16 v178, v106 offset:16896
	ds_read_u16 v181, v135 offset:528
	;; [unrolled: 1-line block ×4, first 2 shown]
	s_waitcnt lgkmcnt(0)
	v_perm_b32 v213, v212, v207, s91
	v_perm_b32 v212, v181, v178, s91
	s_nop 3
	v_cvt_f16_f32_e32 v43, v208
	v_cvt_f16_f32_e32 v81, v209
	v_cvt_f16_f32_e32 v172, v210
	v_cvt_f16_f32_e32 v176, v211
	v_cvt_f32_f16_e32 v208, v43
	v_cvt_f32_f16_e32 v209, v81
	;; [unrolled: 1-line block ×4, first 2 shown]
	s_nop 1
	v_mfma_f32_16x16x16f16 v[208:211], v[212:213], v[34:35], v[208:211]
	s_nop 7
	s_nop 2
	v_cvt_f16_f32_e32 v43, v208
	v_cvt_f16_f32_e32 v81, v209
	;; [unrolled: 1-line block ×4, first 2 shown]
	v_cvt_f32_f16_e32 v210, v173
	v_pack_b32_f16 v176, v43, v81
	v_cvt_f32_f16_sdwa v211, v173 dst_sel:DWORD dst_unused:UNUSED_PAD src0_sel:WORD_1
	v_pack_b32_f16 v181, v172, v178
	ds_read_u16 v43, v101 offset:96
	ds_read_u16 v81, v234 offset:528
	;; [unrolled: 1-line block ×4, first 2 shown]
	v_cvt_f32_f16_e32 v208, v206
	v_cvt_f32_f16_sdwa v209, v206 dst_sel:DWORD dst_unused:UNUSED_PAD src0_sel:WORD_1
	s_waitcnt lgkmcnt(0)
	v_perm_b32 v173, v178, v172, s91
	v_perm_b32 v172, v81, v43, s91
	s_nop 1
	v_mfma_f32_16x16x16f16 v[206:209], v[172:173], v[36:37], v[208:211]
	ds_read_u16 v178, v108 offset:16896
	s_nop 5
	ds_read_u16 v210, v136 offset:528
	ds_read_u16 v211, v235 offset:1056
	;; [unrolled: 1-line block ×3, first 2 shown]
	s_nop 0
	v_cvt_f16_f32_e32 v172, v208
	v_cvt_f16_f32_e32 v173, v209
	;; [unrolled: 1-line block ×4, first 2 shown]
	v_cvt_f32_f16_e32 v208, v172
	v_cvt_f32_f16_e32 v209, v173
	s_waitcnt lgkmcnt(0)
	v_perm_b32 v173, v212, v211, s91
	v_perm_b32 v172, v210, v178, s91
	v_cvt_f32_f16_e32 v206, v43
	v_cvt_f32_f16_e32 v207, v81
	s_nop 1
	v_mfma_f32_16x16x16f16 v[206:209], v[172:173], v[34:35], v[206:209]
	s_nop 7
	s_nop 2
	v_cvt_f16_f32_e32 v43, v206
	v_cvt_f16_f32_e32 v81, v207
	;; [unrolled: 1-line block ×4, first 2 shown]
	v_cvt_f32_f16_e32 v206, v175
	v_pack_b32_f16 v173, v43, v81
	v_cvt_f32_f16_sdwa v207, v175 dst_sel:DWORD dst_unused:UNUSED_PAD src0_sel:WORD_1
	v_pack_b32_f16 v178, v172, v178
	ds_read_u16 v43, v101 offset:128
	ds_read_u16 v81, v236 offset:528
	;; [unrolled: 1-line block ×4, first 2 shown]
	v_cvt_f32_f16_e32 v208, v174
	v_cvt_f32_f16_sdwa v209, v174 dst_sel:DWORD dst_unused:UNUSED_PAD src0_sel:WORD_1
	s_waitcnt lgkmcnt(2)
	v_perm_b32 v174, v81, v43, s91
	s_waitcnt lgkmcnt(0)
	v_perm_b32 v175, v210, v172, s91
	s_nop 1
	v_mfma_f32_16x16x16f16 v[206:209], v[174:175], v[36:37], v[206:209]
	ds_read_u16 v210, v110 offset:16896
	ds_read_u16 v211, v137 offset:528
	;; [unrolled: 1-line block ×4, first 2 shown]
	s_waitcnt lgkmcnt(0)
	v_perm_b32 v175, v212, v175, s91
	s_nop 4
	v_cvt_f16_f32_e32 v174, v209
	v_cvt_f16_f32_e32 v43, v206
	;; [unrolled: 1-line block ×4, first 2 shown]
	v_cvt_f32_f16_e32 v209, v174
	v_perm_b32 v174, v211, v210, s91
	v_cvt_f32_f16_e32 v206, v43
	v_cvt_f32_f16_e32 v207, v81
	;; [unrolled: 1-line block ×3, first 2 shown]
	s_nop 1
	v_mfma_f32_16x16x16f16 v[206:209], v[174:175], v[34:35], v[206:209]
	s_nop 7
	s_nop 2
	v_cvt_f16_f32_e32 v43, v206
	v_cvt_f16_f32_e32 v81, v207
	;; [unrolled: 1-line block ×4, first 2 shown]
	v_cvt_f32_f16_e32 v206, v0
	v_pack_b32_f16 v175, v43, v81
	v_cvt_f32_f16_sdwa v207, v0 dst_sel:DWORD dst_unused:UNUSED_PAD src0_sel:WORD_1
	v_pack_b32_f16 v174, v172, v174
	ds_read_u16 v43, v101 offset:160
	ds_read_u16 v81, v238 offset:528
	;; [unrolled: 1-line block ×4, first 2 shown]
	v_cvt_f32_f16_e32 v208, v167
	v_cvt_f32_f16_sdwa v209, v167 dst_sel:DWORD dst_unused:UNUSED_PAD src0_sel:WORD_1
	s_waitcnt lgkmcnt(0)
	v_perm_b32 v211, v210, v172, s91
	v_perm_b32 v210, v81, v43, s91
	s_nop 1
	v_mfma_f32_16x16x16f16 v[206:209], v[210:211], v[36:37], v[206:209]
	ds_read_u16 v172, v112 offset:16896
	ds_read_u16 v210, v138 offset:528
	;; [unrolled: 1-line block ×4, first 2 shown]
	s_waitcnt lgkmcnt(2)
	v_perm_b32 v210, v210, v172, s91
	s_waitcnt lgkmcnt(0)
	v_perm_b32 v211, v212, v211, s91
	s_nop 2
	v_cvt_f16_f32_e32 v0, v206
	v_cvt_f16_f32_e32 v43, v207
	;; [unrolled: 1-line block ×4, first 2 shown]
	v_cvt_f32_f16_e32 v206, v0
	v_cvt_f32_f16_e32 v207, v43
	;; [unrolled: 1-line block ×4, first 2 shown]
	s_nop 1
	v_mfma_f32_16x16x16f16 v[206:209], v[210:211], v[34:35], v[206:209]
	s_nop 7
	s_nop 2
	v_cvt_f16_f32_e32 v0, v206
	v_cvt_f16_f32_e32 v43, v207
	;; [unrolled: 1-line block ×4, first 2 shown]
	v_cvt_f32_f16_e32 v206, v169
	v_pack_b32_f16 v167, v0, v43
	v_cvt_f32_f16_sdwa v207, v169 dst_sel:DWORD dst_unused:UNUSED_PAD src0_sel:WORD_1
	v_pack_b32_f16 v172, v81, v172
	ds_read_u16 v0, v101 offset:192
	ds_read_u16 v43, v240 offset:528
	;; [unrolled: 1-line block ×4, first 2 shown]
	v_cvt_f32_f16_e32 v208, v168
	v_cvt_f32_f16_sdwa v209, v168 dst_sel:DWORD dst_unused:UNUSED_PAD src0_sel:WORD_1
	s_waitcnt lgkmcnt(2)
	v_perm_b32 v168, v43, v0, s91
	s_waitcnt lgkmcnt(0)
	v_perm_b32 v169, v210, v81, s91
	s_nop 1
	v_mfma_f32_16x16x16f16 v[206:209], v[168:169], v[36:37], v[206:209]
	ds_read_u16 v210, v114 offset:16896
	ds_read_u16 v211, v139 offset:528
	;; [unrolled: 1-line block ×4, first 2 shown]
	s_waitcnt lgkmcnt(0)
	v_perm_b32 v169, v212, v169, s91
	s_nop 4
	v_cvt_f16_f32_e32 v168, v209
	v_cvt_f16_f32_e32 v0, v206
	;; [unrolled: 1-line block ×4, first 2 shown]
	v_cvt_f32_f16_e32 v209, v168
	v_perm_b32 v168, v211, v210, s91
	v_cvt_f32_f16_e32 v206, v0
	v_cvt_f32_f16_e32 v207, v43
	v_cvt_f32_f16_e32 v208, v81
	s_nop 1
	v_mfma_f32_16x16x16f16 v[206:209], v[168:169], v[34:35], v[206:209]
	s_nop 7
	s_nop 2
	v_cvt_f16_f32_e32 v0, v206
	v_cvt_f16_f32_e32 v43, v207
	v_cvt_f16_f32_e32 v81, v208
	v_cvt_f16_f32_e32 v168, v209
	v_cvt_f32_f16_e32 v206, v164
	v_pack_b32_f16 v169, v0, v43
	v_cvt_f32_f16_sdwa v207, v164 dst_sel:DWORD dst_unused:UNUSED_PAD src0_sel:WORD_1
	v_pack_b32_f16 v168, v81, v168
	ds_read_u16 v0, v101 offset:224
	ds_read_u16 v43, v242 offset:528
	ds_read_u16 v81, v242 offset:1056
	ds_read_u16 v210, v103 offset:224
	v_cvt_f32_f16_e32 v208, v83
	v_cvt_f32_f16_sdwa v209, v83 dst_sel:DWORD dst_unused:UNUSED_PAD src0_sel:WORD_1
	s_waitcnt lgkmcnt(0)
	v_perm_b32 v211, v210, v81, s91
	v_perm_b32 v210, v43, v0, s91
	s_nop 1
	v_mfma_f32_16x16x16f16 v[206:209], v[210:211], v[36:37], v[206:209]
	ds_read_u16 v164, v116 offset:16896
	ds_read_u16 v210, v140 offset:528
	ds_read_u16 v211, v243 offset:1056
	ds_read_u16 v212, v117 offset:16896
	s_waitcnt lgkmcnt(2)
	v_perm_b32 v210, v210, v164, s91
	s_waitcnt lgkmcnt(0)
	v_perm_b32 v211, v212, v211, s91
	s_nop 2
	v_cvt_f16_f32_e32 v0, v206
	v_cvt_f16_f32_e32 v43, v207
	v_cvt_f16_f32_e32 v81, v208
	v_cvt_f16_f32_e32 v83, v209
	v_cvt_f32_f16_e32 v206, v0
	v_cvt_f32_f16_e32 v207, v43
	v_cvt_f32_f16_e32 v208, v81
	v_cvt_f32_f16_e32 v209, v83
	s_nop 1
	v_mfma_f32_16x16x16f16 v[206:209], v[210:211], v[34:35], v[206:209]
	s_nop 7
	s_nop 2
	v_cvt_f16_f32_e32 v0, v206
	v_cvt_f16_f32_e32 v43, v207
	v_cvt_f16_f32_e32 v81, v208
	v_cvt_f16_f32_e32 v83, v209
	v_cvt_f32_f16_e32 v206, v166
	v_pack_b32_f16 v164, v0, v43
	v_cvt_f32_f16_sdwa v207, v166 dst_sel:DWORD dst_unused:UNUSED_PAD src0_sel:WORD_1
	v_pack_b32_f16 v83, v81, v83
	ds_read_u16 v0, v101 offset:256
	ds_read_u16 v43, v244 offset:528
	ds_read_u16 v81, v244 offset:1056
	ds_read_u16 v210, v103 offset:256
	v_cvt_f32_f16_e32 v208, v165
	v_cvt_f32_f16_sdwa v209, v165 dst_sel:DWORD dst_unused:UNUSED_PAD src0_sel:WORD_1
	s_waitcnt lgkmcnt(0)
	v_perm_b32 v211, v210, v81, s91
	v_perm_b32 v210, v43, v0, s91
	s_nop 1
	v_mfma_f32_16x16x16f16 v[206:209], v[210:211], v[36:37], v[206:209]
	ds_read_u16 v166, v118 offset:16896
	ds_read_u16 v210, v141 offset:528
	ds_read_u16 v211, v245 offset:1056
	ds_read_u16 v212, v119 offset:16896
	s_waitcnt lgkmcnt(2)
	v_perm_b32 v210, v210, v166, s91
	s_waitcnt lgkmcnt(0)
	v_perm_b32 v211, v212, v211, s91
	s_nop 2
	v_cvt_f16_f32_e32 v0, v206
	v_cvt_f16_f32_e32 v43, v207
	v_cvt_f16_f32_e32 v81, v208
	v_cvt_f16_f32_e32 v165, v209
	v_cvt_f32_f16_e32 v206, v0
	;; [unrolled: 40-line block ×6, first 2 shown]
	v_cvt_f32_f16_e32 v207, v43
	v_cvt_f32_f16_e32 v208, v81
	;; [unrolled: 1-line block ×3, first 2 shown]
	s_nop 1
	v_mfma_f32_16x16x16f16 v[206:209], v[210:211], v[34:35], v[206:209]
	s_nop 7
	s_nop 2
	v_cvt_f16_f32_e32 v0, v206
	v_cvt_f16_f32_e32 v43, v207
	;; [unrolled: 1-line block ×4, first 2 shown]
	v_cvt_f32_f16_e32 v206, v163
	v_pack_b32_f16 v161, v0, v43
	v_cvt_f32_f16_sdwa v207, v163 dst_sel:DWORD dst_unused:UNUSED_PAD src0_sel:WORD_1
	v_pack_b32_f16 v93, v81, v93
	ds_read_u16 v0, v101 offset:416
	ds_read_u16 v43, v254 offset:528
	;; [unrolled: 1-line block ×4, first 2 shown]
	v_cvt_f32_f16_e32 v208, v162
	v_cvt_f32_f16_sdwa v209, v162 dst_sel:DWORD dst_unused:UNUSED_PAD src0_sel:WORD_1
	s_waitcnt lgkmcnt(2)
	v_perm_b32 v162, v43, v0, s91
	s_waitcnt lgkmcnt(0)
	v_perm_b32 v163, v210, v81, s91
	s_nop 1
	v_mfma_f32_16x16x16f16 v[206:209], v[162:163], v[36:37], v[206:209]
	ds_read_u16 v210, v128 offset:16896
	ds_read_u16 v211, v146 offset:528
	;; [unrolled: 1-line block ×4, first 2 shown]
	s_waitcnt lgkmcnt(0)
	v_perm_b32 v163, v212, v163, s91
	s_nop 4
	v_cvt_f16_f32_e32 v162, v209
	v_cvt_f16_f32_e32 v0, v206
	;; [unrolled: 1-line block ×4, first 2 shown]
	v_cvt_f32_f16_e32 v209, v162
	v_perm_b32 v162, v211, v210, s91
	v_cvt_f32_f16_e32 v206, v0
	v_cvt_f32_f16_e32 v207, v43
	;; [unrolled: 1-line block ×3, first 2 shown]
	s_nop 1
	v_mfma_f32_16x16x16f16 v[206:209], v[162:163], v[34:35], v[206:209]
	s_nop 7
	s_nop 2
	v_cvt_f16_f32_e32 v0, v206
	v_cvt_f16_f32_e32 v43, v207
	;; [unrolled: 1-line block ×4, first 2 shown]
	v_cvt_f32_f16_e32 v206, v184
	v_pack_b32_f16 v163, v0, v43
	v_cvt_f32_f16_sdwa v207, v184 dst_sel:DWORD dst_unused:UNUSED_PAD src0_sel:WORD_1
	v_pack_b32_f16 v162, v81, v162
	ds_read_u16 v0, v101 offset:448
	ds_read_u16 v43, v204 offset:528
	;; [unrolled: 1-line block ×4, first 2 shown]
	v_cvt_f32_f16_e32 v208, v183
	v_cvt_f32_f16_sdwa v209, v183 dst_sel:DWORD dst_unused:UNUSED_PAD src0_sel:WORD_1
	s_waitcnt lgkmcnt(0)
	v_perm_b32 v211, v210, v81, s91
	v_perm_b32 v210, v43, v0, s91
	s_nop 1
	v_mfma_f32_16x16x16f16 v[206:209], v[210:211], v[36:37], v[206:209]
	ds_read_u16 v184, v130 offset:16896
	ds_read_u16 v210, v147 offset:528
	;; [unrolled: 1-line block ×4, first 2 shown]
	s_waitcnt lgkmcnt(2)
	v_perm_b32 v210, v210, v184, s91
	s_waitcnt lgkmcnt(0)
	v_perm_b32 v211, v212, v211, s91
	s_nop 2
	v_cvt_f16_f32_e32 v0, v206
	v_cvt_f16_f32_e32 v43, v207
	;; [unrolled: 1-line block ×4, first 2 shown]
	v_cvt_f32_f16_e32 v206, v0
	v_cvt_f32_f16_e32 v207, v43
	;; [unrolled: 1-line block ×4, first 2 shown]
	s_nop 1
	v_mfma_f32_16x16x16f16 v[206:209], v[210:211], v[34:35], v[206:209]
	s_nop 7
	s_nop 2
	v_cvt_f16_f32_e32 v0, v206
	v_cvt_f16_f32_e32 v43, v207
	;; [unrolled: 1-line block ×4, first 2 shown]
	v_cvt_f32_f16_e32 v206, v41
	v_pack_b32_f16 v184, v0, v43
	v_cvt_f32_f16_sdwa v207, v41 dst_sel:DWORD dst_unused:UNUSED_PAD src0_sel:WORD_1
	v_pack_b32_f16 v183, v81, v183
	ds_read_u16 v0, v101 offset:480
	ds_read_u16 v43, v201 offset:528
	;; [unrolled: 1-line block ×4, first 2 shown]
	v_cvt_f32_f16_e32 v208, v40
	v_cvt_f32_f16_sdwa v209, v40 dst_sel:DWORD dst_unused:UNUSED_PAD src0_sel:WORD_1
	s_waitcnt lgkmcnt(2)
	v_perm_b32 v40, v43, v0, s91
	s_waitcnt lgkmcnt(0)
	v_perm_b32 v41, v210, v81, s91
	s_nop 1
	v_mfma_f32_16x16x16f16 v[206:209], v[40:41], v[36:37], v[206:209]
	ds_read_u16 v41, v132 offset:16896
	ds_read_u16 v43, v148 offset:528
	;; [unrolled: 1-line block ×4, first 2 shown]
	s_waitcnt lgkmcnt(0)
	s_barrier
	s_nop 4
	v_cvt_f16_f32_e32 v36, v207
	v_cvt_f16_f32_e32 v37, v208
	;; [unrolled: 1-line block ×4, first 2 shown]
	v_cvt_f32_f16_e32 v207, v36
	v_cvt_f32_f16_e32 v208, v37
	v_perm_b32 v37, v210, v81, s91
	v_perm_b32 v36, v43, v41, s91
	v_cvt_f32_f16_e32 v206, v0
	v_cvt_f32_f16_e32 v209, v40
	s_nop 1
	v_mfma_f32_16x16x16f16 v[34:37], v[36:37], v[34:35], v[206:209]
	s_nop 7
	s_nop 2
	v_cvt_f16_f32_e32 v0, v34
	v_cvt_f16_f32_e32 v34, v35
	;; [unrolled: 1-line block ×4, first 2 shown]
	v_pack_b32_f16 v43, v0, v34
	v_mov_b32_e32 v0, s71
	v_addc_co_u32_e32 v1, vcc, v1, v0, vcc
	v_add_co_u32_e32 v72, vcc, s70, v72
	v_addc_co_u32_e32 v45, vcc, v45, v0, vcc
	v_add_co_u32_e32 v74, vcc, s70, v74
	;; [unrolled: 2-line block ×4, first 2 shown]
	v_mov_b32_e32 v0, s73
	v_addc_co_u32_e32 v67, vcc, v67, v0, vcc
	v_add_co_u32_e32 v80, vcc, s72, v80
	v_addc_co_u32_e32 v71, vcc, v71, v0, vcc
	v_add_co_u32_e32 v82, vcc, s72, v82
	;; [unrolled: 2-line block ×3, first 2 shown]
	v_pack_b32_f16 v81, v35, v36
	v_addc_co_u32_e32 v75, vcc, v75, v0, vcc
	s_cbranch_scc0 .LBB30_361
; %bb.360:                              ;   in Loop: Header=BB30_327 Depth=2
	v_mov_b32_e32 v0, v39
	v_mov_b32_e32 v206, v38
	s_branch .LBB30_327
.LBB30_361:                             ;   in Loop: Header=BB30_14 Depth=1
	v_mad_i64_i32 v[0:1], s[8:9], v177, s44, 0
	s_lshl_b32 s62, s35, 6
	s_lshl_b64 s[8:9], s[62:63], 1
	v_add_co_u32_e32 v34, vcc, s8, v182
	v_mov_b32_e32 v35, s9
	v_addc_co_u32_e32 v35, vcc, v187, v35, vcc
	v_lshlrev_b64 v[0:1], 1, v[0:1]
	v_add_co_u32_e32 v0, vcc, v34, v0
	v_addc_co_u32_e32 v1, vcc, v35, v1, vcc
	v_lshlrev_b32_e32 v34, 1, v44
	v_add_co_u32_e32 v0, vcc, v0, v34
	v_addc_co_u32_e32 v1, vcc, 0, v1, vcc
	global_load_dword v0, v[0:1], off
	s_mul_i32 s8, s43, s62
	s_mul_hi_u32 s9, s42, s62
	s_add_i32 s9, s9, s8
	s_mul_i32 s8, s42, s62
	s_lshl_b64 s[8:9], s[8:9], 2
	s_add_u32 s8, s83, s8
	s_addc_u32 s9, s64, s9
	v_mov_b32_e32 v1, s9
	s_waitcnt vmcnt(0)
	ds_write_b32 v151, v0 offset:33792
	v_add_co_u32_e32 v0, vcc, s8, v54
	v_addc_co_u32_e32 v1, vcc, v1, v55, vcc
	v_add_co_u32_e32 v0, vcc, v0, v150
	v_addc_co_u32_e32 v1, vcc, 0, v1, vcc
	global_load_dwordx4 v[34:37], v[0:1], off
	v_add_co_u32_e32 v0, vcc, s8, v56
	v_mov_b32_e32 v1, s9
	v_addc_co_u32_e32 v1, vcc, v1, v57, vcc
	v_add_co_u32_e32 v0, vcc, v0, v150
	v_addc_co_u32_e32 v1, vcc, 0, v1, vcc
	s_waitcnt vmcnt(0)
	ds_write_b128 v98, v[34:37]
	global_load_dwordx4 v[34:37], v[0:1], off
	v_add_co_u32_e32 v0, vcc, s8, v58
	v_mov_b32_e32 v1, s9
	v_addc_co_u32_e32 v1, vcc, v1, v59, vcc
	v_add_co_u32_e32 v0, vcc, v0, v150
	v_addc_co_u32_e32 v1, vcc, 0, v1, vcc
	s_waitcnt vmcnt(0)
	ds_write_b128 v226, v[34:37]
	;; [unrolled: 8-line block ×3, first 2 shown]
	global_load_dwordx4 v[34:37], v[0:1], off
	v_add_u32_e32 v0, 0x4000, v99
	s_waitcnt vmcnt(0)
	ds_write_b128 v228, v[34:37]
	s_waitcnt lgkmcnt(0)
	s_barrier
	ds_read2_b64 v[34:37], v99 offset1:4
	s_waitcnt lgkmcnt(0)
	v_mfma_f32_16x16x16f16 v[68:71], v[34:35], v[30:31], 0
	v_mfma_f32_16x16x16f16 v[34:37], v[36:37], v[32:33], v[68:71]
	s_nop 7
	s_nop 1
	ds_read2_b64 v[68:71], v99 offset0:8 offset1:12
	s_waitcnt lgkmcnt(0)
	v_mfma_f32_16x16x16f16 v[34:37], v[68:69], v[26:27], v[34:37]
	v_mfma_f32_16x16x16f16 v[34:37], v[70:71], v[28:29], v[34:37]
	ds_read2_b64 v[68:71], v99 offset0:16 offset1:20
	s_waitcnt lgkmcnt(0)
	v_mfma_f32_16x16x16f16 v[34:37], v[68:69], v[22:23], v[34:37]
	v_mfma_f32_16x16x16f16 v[34:37], v[70:71], v[24:25], v[34:37]
	;; [unrolled: 4-line block ×7, first 2 shown]
	ds_read2_b64 v[68:71], v0 offset0:64 offset1:68
	s_waitcnt lgkmcnt(0)
	v_mfma_f32_16x16x16f16 v[72:75], v[68:69], v[30:31], 0
	s_nop 7
	v_cmp_nlt_f32_e64 s[8:9], |v34|, s45
	v_mfma_f32_16x16x16f16 v[30:33], v[70:71], v[32:33], v[72:75]
	ds_read2_b64 v[68:71], v0 offset0:72 offset1:76
	s_waitcnt lgkmcnt(0)
	v_mfma_f32_16x16x16f16 v[30:33], v[68:69], v[26:27], v[30:33]
	v_mfma_f32_16x16x16f16 v[26:29], v[70:71], v[28:29], v[30:33]
	s_nop 7
	s_nop 1
	ds_read2_b64 v[30:33], v0 offset0:80 offset1:84
	s_waitcnt lgkmcnt(0)
	v_mfma_f32_16x16x16f16 v[26:29], v[30:31], v[22:23], v[26:29]
	v_mfma_f32_16x16x16f16 v[22:25], v[32:33], v[24:25], v[26:29]
	s_nop 7
	s_nop 1
	;; [unrolled: 6-line block ×6, first 2 shown]
	ds_read2_b64 v[10:13], v0 offset0:120 offset1:124
	s_waitcnt lgkmcnt(0)
	v_mfma_f32_16x16x16f16 v[0:3], v[10:11], v[2:3], v[6:9]
	s_barrier
	v_mfma_f32_16x16x16f16 v[2:5], v[12:13], v[4:5], v[0:3]
                                        ; implicit-def: $vgpr0
	s_and_saveexec_b64 s[34:35], s[8:9]
	s_xor_b64 s[8:9], exec, s[34:35]
	s_cbranch_execz .LBB30_363
; %bb.362:                              ;   in Loop: Header=BB30_14 Depth=1
	s_nop 5
	v_add_f32_e64 v0, |v34|, |v34|
	v_mul_f32_e32 v1, 0x3fb8aa3b, v0
	v_rndne_f32_e32 v6, v1
	v_sub_f32_e32 v7, v1, v6
	v_fma_f32 v1, v0, s69, -v1
	v_fmac_f32_e32 v1, 0x32a5705f, v0
	v_add_f32_e32 v1, v7, v1
	v_cvt_i32_f32_e32 v6, v6
	v_exp_f32_e32 v1, v1
	v_cmp_ngt_f32_e32 vcc, s57, v0
	v_ldexp_f32 v1, v1, v6
	v_cndmask_b32_e32 v1, 0, v1, vcc
	v_cmp_nlt_f32_e32 vcc, s68, v0
	v_cndmask_b32_e32 v0, v186, v1, vcc
	v_add_f32_e32 v0, 1.0, v0
	v_rcp_f32_e32 v0, v0
	v_fma_f32 v0, v0, -2.0, 1.0
.LBB30_363:                             ;   in Loop: Header=BB30_14 Depth=1
	s_andn2_saveexec_b64 s[8:9], s[8:9]
; %bb.364:                              ;   in Loop: Header=BB30_14 Depth=1
	s_nop 4
	v_mul_f32_e32 v0, v34, v34
	v_mov_b32_e32 v1, 0x3ca908c9
	v_fmac_f32_e32 v1, 0xbbbac73d, v0
	v_fma_f32 v1, v0, v1, v189
	v_fma_f32 v1, v0, v1, v190
	;; [unrolled: 1-line block ×3, first 2 shown]
	v_mul_f32_e64 v1, |v34|, v1
	v_fma_f32 v0, v0, v1, |v34|
; %bb.365:                              ;   in Loop: Header=BB30_14 Depth=1
	s_or_b64 exec, exec, s[8:9]
	v_cmp_nlt_f32_e64 s[8:9], |v35|, s45
                                        ; implicit-def: $vgpr1
	s_and_saveexec_b64 s[34:35], s[8:9]
	s_xor_b64 s[8:9], exec, s[34:35]
	s_cbranch_execz .LBB30_367
; %bb.366:                              ;   in Loop: Header=BB30_14 Depth=1
	v_add_f32_e64 v1, |v35|, |v35|
	v_mul_f32_e32 v6, 0x3fb8aa3b, v1
	v_rndne_f32_e32 v7, v6
	v_sub_f32_e32 v8, v6, v7
	v_fma_f32 v6, v1, s69, -v6
	v_fmac_f32_e32 v6, 0x32a5705f, v1
	v_add_f32_e32 v6, v8, v6
	v_cvt_i32_f32_e32 v7, v7
	v_exp_f32_e32 v6, v6
	v_cmp_ngt_f32_e32 vcc, s57, v1
	v_ldexp_f32 v6, v6, v7
	v_cndmask_b32_e32 v6, 0, v6, vcc
	v_cmp_nlt_f32_e32 vcc, s68, v1
	v_cndmask_b32_e32 v1, v186, v6, vcc
	v_add_f32_e32 v1, 1.0, v1
	v_rcp_f32_e32 v1, v1
	v_fma_f32 v1, v1, -2.0, 1.0
.LBB30_367:                             ;   in Loop: Header=BB30_14 Depth=1
	s_andn2_saveexec_b64 s[8:9], s[8:9]
; %bb.368:                              ;   in Loop: Header=BB30_14 Depth=1
	v_mul_f32_e32 v1, v35, v35
	v_mov_b32_e32 v6, 0x3ca908c9
	v_fmac_f32_e32 v6, 0xbbbac73d, v1
	v_fma_f32 v6, v1, v6, v189
	v_fma_f32 v6, v1, v6, v190
	;; [unrolled: 1-line block ×3, first 2 shown]
	v_mul_f32_e64 v6, |v35|, v6
	v_fma_f32 v1, v1, v6, |v35|
; %bb.369:                              ;   in Loop: Header=BB30_14 Depth=1
	s_or_b64 exec, exec, s[8:9]
	v_cmp_nlt_f32_e64 s[8:9], |v36|, s45
                                        ; implicit-def: $vgpr6
	s_and_saveexec_b64 s[34:35], s[8:9]
	s_xor_b64 s[8:9], exec, s[34:35]
	s_cbranch_execz .LBB30_371
; %bb.370:                              ;   in Loop: Header=BB30_14 Depth=1
	v_add_f32_e64 v6, |v36|, |v36|
	v_mul_f32_e32 v7, 0x3fb8aa3b, v6
	v_rndne_f32_e32 v8, v7
	v_sub_f32_e32 v9, v7, v8
	v_fma_f32 v7, v6, s69, -v7
	v_fmac_f32_e32 v7, 0x32a5705f, v6
	v_add_f32_e32 v7, v9, v7
	v_cvt_i32_f32_e32 v8, v8
	v_exp_f32_e32 v7, v7
	v_cmp_ngt_f32_e32 vcc, s57, v6
	v_ldexp_f32 v7, v7, v8
	v_cndmask_b32_e32 v7, 0, v7, vcc
	v_cmp_nlt_f32_e32 vcc, s68, v6
	v_cndmask_b32_e32 v6, v186, v7, vcc
	v_add_f32_e32 v6, 1.0, v6
	v_rcp_f32_e32 v6, v6
	v_fma_f32 v6, v6, -2.0, 1.0
.LBB30_371:                             ;   in Loop: Header=BB30_14 Depth=1
	s_andn2_saveexec_b64 s[8:9], s[8:9]
; %bb.372:                              ;   in Loop: Header=BB30_14 Depth=1
	v_mul_f32_e32 v6, v36, v36
	v_mov_b32_e32 v7, 0x3ca908c9
	v_fmac_f32_e32 v7, 0xbbbac73d, v6
	v_fma_f32 v7, v6, v7, v189
	v_fma_f32 v7, v6, v7, v190
	;; [unrolled: 1-line block ×3, first 2 shown]
	v_mul_f32_e64 v7, |v36|, v7
	v_fma_f32 v6, v6, v7, |v36|
; %bb.373:                              ;   in Loop: Header=BB30_14 Depth=1
	s_or_b64 exec, exec, s[8:9]
	v_cmp_nlt_f32_e64 s[8:9], |v37|, s45
                                        ; implicit-def: $vgpr7
	s_and_saveexec_b64 s[34:35], s[8:9]
	s_xor_b64 s[8:9], exec, s[34:35]
	s_cbranch_execz .LBB30_375
; %bb.374:                              ;   in Loop: Header=BB30_14 Depth=1
	v_add_f32_e64 v7, |v37|, |v37|
	v_mul_f32_e32 v8, 0x3fb8aa3b, v7
	v_rndne_f32_e32 v9, v8
	v_sub_f32_e32 v10, v8, v9
	v_fma_f32 v8, v7, s69, -v8
	v_fmac_f32_e32 v8, 0x32a5705f, v7
	v_add_f32_e32 v8, v10, v8
	v_cvt_i32_f32_e32 v9, v9
	v_exp_f32_e32 v8, v8
	v_cmp_ngt_f32_e32 vcc, s57, v7
	v_ldexp_f32 v8, v8, v9
	v_cndmask_b32_e32 v8, 0, v8, vcc
	v_cmp_nlt_f32_e32 vcc, s68, v7
	v_cndmask_b32_e32 v7, v186, v8, vcc
	v_add_f32_e32 v7, 1.0, v7
	v_rcp_f32_e32 v7, v7
	v_fma_f32 v7, v7, -2.0, 1.0
.LBB30_375:                             ;   in Loop: Header=BB30_14 Depth=1
	s_andn2_saveexec_b64 s[8:9], s[8:9]
; %bb.376:                              ;   in Loop: Header=BB30_14 Depth=1
	v_mul_f32_e32 v7, v37, v37
	v_mov_b32_e32 v8, 0x3ca908c9
	v_fmac_f32_e32 v8, 0xbbbac73d, v7
	v_fma_f32 v8, v7, v8, v189
	v_fma_f32 v8, v7, v8, v190
	;; [unrolled: 1-line block ×3, first 2 shown]
	v_mul_f32_e64 v8, |v37|, v8
	v_fma_f32 v7, v7, v8, |v37|
; %bb.377:                              ;   in Loop: Header=BB30_14 Depth=1
	s_or_b64 exec, exec, s[8:9]
	v_cmp_nlt_f32_e64 s[8:9], |v2|, s45
                                        ; implicit-def: $vgpr8
	s_and_saveexec_b64 s[34:35], s[8:9]
	s_xor_b64 s[8:9], exec, s[34:35]
	s_cbranch_execz .LBB30_379
; %bb.378:                              ;   in Loop: Header=BB30_14 Depth=1
	v_add_f32_e64 v8, |v2|, |v2|
	v_mul_f32_e32 v9, 0x3fb8aa3b, v8
	v_rndne_f32_e32 v10, v9
	v_sub_f32_e32 v11, v9, v10
	v_fma_f32 v9, v8, s69, -v9
	v_fmac_f32_e32 v9, 0x32a5705f, v8
	v_add_f32_e32 v9, v11, v9
	v_cvt_i32_f32_e32 v10, v10
	v_exp_f32_e32 v9, v9
	v_cmp_ngt_f32_e32 vcc, s57, v8
	v_ldexp_f32 v9, v9, v10
	v_cndmask_b32_e32 v9, 0, v9, vcc
	v_cmp_nlt_f32_e32 vcc, s68, v8
	v_cndmask_b32_e32 v8, v186, v9, vcc
	v_add_f32_e32 v8, 1.0, v8
	v_rcp_f32_e32 v8, v8
	v_fma_f32 v8, v8, -2.0, 1.0
.LBB30_379:                             ;   in Loop: Header=BB30_14 Depth=1
	s_andn2_saveexec_b64 s[8:9], s[8:9]
; %bb.380:                              ;   in Loop: Header=BB30_14 Depth=1
	v_mul_f32_e32 v8, v2, v2
	v_mov_b32_e32 v9, 0x3ca908c9
	v_fmac_f32_e32 v9, 0xbbbac73d, v8
	v_fma_f32 v9, v8, v9, v189
	v_fma_f32 v9, v8, v9, v190
	;; [unrolled: 1-line block ×3, first 2 shown]
	v_mul_f32_e64 v9, |v2|, v9
	v_fma_f32 v8, v8, v9, |v2|
; %bb.381:                              ;   in Loop: Header=BB30_14 Depth=1
	s_or_b64 exec, exec, s[8:9]
	v_cmp_nlt_f32_e64 s[8:9], |v3|, s45
                                        ; implicit-def: $vgpr9
	s_and_saveexec_b64 s[34:35], s[8:9]
	s_xor_b64 s[8:9], exec, s[34:35]
	s_cbranch_execz .LBB30_383
; %bb.382:                              ;   in Loop: Header=BB30_14 Depth=1
	v_add_f32_e64 v9, |v3|, |v3|
	v_mul_f32_e32 v10, 0x3fb8aa3b, v9
	v_rndne_f32_e32 v11, v10
	v_sub_f32_e32 v12, v10, v11
	v_fma_f32 v10, v9, s69, -v10
	v_fmac_f32_e32 v10, 0x32a5705f, v9
	v_add_f32_e32 v10, v12, v10
	v_cvt_i32_f32_e32 v11, v11
	v_exp_f32_e32 v10, v10
	v_cmp_ngt_f32_e32 vcc, s57, v9
	v_ldexp_f32 v10, v10, v11
	v_cndmask_b32_e32 v10, 0, v10, vcc
	v_cmp_nlt_f32_e32 vcc, s68, v9
	v_cndmask_b32_e32 v9, v186, v10, vcc
	v_add_f32_e32 v9, 1.0, v9
	v_rcp_f32_e32 v9, v9
	v_fma_f32 v9, v9, -2.0, 1.0
.LBB30_383:                             ;   in Loop: Header=BB30_14 Depth=1
	s_andn2_saveexec_b64 s[8:9], s[8:9]
; %bb.384:                              ;   in Loop: Header=BB30_14 Depth=1
	v_mul_f32_e32 v9, v3, v3
	v_mov_b32_e32 v10, 0x3ca908c9
	v_fmac_f32_e32 v10, 0xbbbac73d, v9
	v_fma_f32 v10, v9, v10, v189
	v_fma_f32 v10, v9, v10, v190
	;; [unrolled: 1-line block ×3, first 2 shown]
	v_mul_f32_e64 v10, |v3|, v10
	v_fma_f32 v9, v9, v10, |v3|
; %bb.385:                              ;   in Loop: Header=BB30_14 Depth=1
	s_or_b64 exec, exec, s[8:9]
	v_cmp_nlt_f32_e64 s[8:9], |v4|, s45
                                        ; implicit-def: $vgpr10
	s_and_saveexec_b64 s[34:35], s[8:9]
	s_xor_b64 s[8:9], exec, s[34:35]
	s_cbranch_execz .LBB30_387
; %bb.386:                              ;   in Loop: Header=BB30_14 Depth=1
	v_add_f32_e64 v10, |v4|, |v4|
	v_mul_f32_e32 v11, 0x3fb8aa3b, v10
	v_rndne_f32_e32 v12, v11
	v_sub_f32_e32 v13, v11, v12
	v_fma_f32 v11, v10, s69, -v11
	v_fmac_f32_e32 v11, 0x32a5705f, v10
	v_add_f32_e32 v11, v13, v11
	v_cvt_i32_f32_e32 v12, v12
	v_exp_f32_e32 v11, v11
	v_cmp_ngt_f32_e32 vcc, s57, v10
	v_ldexp_f32 v11, v11, v12
	v_cndmask_b32_e32 v11, 0, v11, vcc
	v_cmp_nlt_f32_e32 vcc, s68, v10
	v_cndmask_b32_e32 v10, v186, v11, vcc
	v_add_f32_e32 v10, 1.0, v10
	v_rcp_f32_e32 v10, v10
	v_fma_f32 v10, v10, -2.0, 1.0
.LBB30_387:                             ;   in Loop: Header=BB30_14 Depth=1
	s_andn2_saveexec_b64 s[8:9], s[8:9]
; %bb.388:                              ;   in Loop: Header=BB30_14 Depth=1
	v_mul_f32_e32 v10, v4, v4
	v_mov_b32_e32 v11, 0x3ca908c9
	v_fmac_f32_e32 v11, 0xbbbac73d, v10
	v_fma_f32 v11, v10, v11, v189
	v_fma_f32 v11, v10, v11, v190
	;; [unrolled: 1-line block ×3, first 2 shown]
	v_mul_f32_e64 v11, |v4|, v11
	v_fma_f32 v10, v10, v11, |v4|
; %bb.389:                              ;   in Loop: Header=BB30_14 Depth=1
	s_or_b64 exec, exec, s[8:9]
	v_cmp_nlt_f32_e64 s[8:9], |v5|, s45
                                        ; implicit-def: $vgpr11
	s_and_saveexec_b64 s[34:35], s[8:9]
	s_xor_b64 s[8:9], exec, s[34:35]
	s_cbranch_execz .LBB30_391
; %bb.390:                              ;   in Loop: Header=BB30_14 Depth=1
	v_add_f32_e64 v11, |v5|, |v5|
	v_mul_f32_e32 v12, 0x3fb8aa3b, v11
	v_rndne_f32_e32 v13, v12
	v_sub_f32_e32 v14, v12, v13
	v_fma_f32 v12, v11, s69, -v12
	v_fmac_f32_e32 v12, 0x32a5705f, v11
	v_add_f32_e32 v12, v14, v12
	v_cvt_i32_f32_e32 v13, v13
	v_exp_f32_e32 v12, v12
	v_cmp_ngt_f32_e32 vcc, s57, v11
	v_ldexp_f32 v12, v12, v13
	v_cndmask_b32_e32 v12, 0, v12, vcc
	v_cmp_nlt_f32_e32 vcc, s68, v11
	v_cndmask_b32_e32 v11, v186, v12, vcc
	v_add_f32_e32 v11, 1.0, v11
	v_rcp_f32_e32 v11, v11
	v_fma_f32 v11, v11, -2.0, 1.0
.LBB30_391:                             ;   in Loop: Header=BB30_14 Depth=1
	s_andn2_saveexec_b64 s[8:9], s[8:9]
; %bb.392:                              ;   in Loop: Header=BB30_14 Depth=1
	v_mul_f32_e32 v11, v5, v5
	v_mov_b32_e32 v12, 0x3ca908c9
	v_fmac_f32_e32 v12, 0xbbbac73d, v11
	v_fma_f32 v12, v11, v12, v189
	v_fma_f32 v12, v11, v12, v190
	;; [unrolled: 1-line block ×3, first 2 shown]
	v_mul_f32_e64 v12, |v5|, v12
	v_fma_f32 v11, v11, v12, |v5|
; %bb.393:                              ;   in Loop: Header=BB30_14 Depth=1
	s_or_b64 exec, exec, s[8:9]
	v_bfi_b32 v8, s7, v8, v2
	v_bfi_b32 v2, s7, v10, v4
	v_and_b32_e32 v10, 64, v223
	v_bfi_b32 v9, s7, v9, v3
	v_bfi_b32 v3, s7, v11, v5
	v_add_u32_e32 v10, 64, v10
	v_xor_b32_e32 v11, 32, v223
	v_cmp_lt_i32_e32 vcc, v11, v10
	v_bfi_b32 v4, s7, v6, v36
	v_add_u32_e32 v6, 0x8400, v100
	v_cndmask_b32_e32 v11, v223, v11, vcc
	v_bfi_b32 v5, s7, v7, v37
	ds_read2_b32 v[6:7], v6 offset1:1
	ds_read_b32 v12, v152 offset:33792
	ds_read_b32 v14, v153 offset:33792
	v_lshlrev_b32_e32 v13, 2, v11
	v_xor_b32_e32 v11, 16, v223
	v_cmp_lt_i32_e32 vcc, v11, v10
	v_cndmask_b32_e32 v10, v223, v11, vcc
	v_bfi_b32 v1, s7, v1, v35
	v_lshlrev_b32_e32 v35, 2, v10
	s_waitcnt lgkmcnt(2)
	v_cvt_f32_f16_e32 v10, v6
	v_cvt_f32_f16_sdwa v11, v6 dst_sel:DWORD dst_unused:UNUSED_PAD src0_sel:WORD_1
	v_bfi_b32 v0, s7, v0, v34
	s_mul_i32 s8, s62, s31
	s_mul_hi_u32 s9, s62, s30
	v_pk_fma_f32 v[0:1], v[0:1], s[40:41], v[10:11]
	v_add_f32_e32 v6, 0x40051340, v0
	v_add_f32_e32 v10, 0x40051340, v1
	v_max3_f32 v15, v38, v6, v10
	s_waitcnt lgkmcnt(0)
	v_cvt_f32_f16_sdwa v11, v14 dst_sel:DWORD dst_unused:UNUSED_PAD src0_sel:WORD_1
	v_cvt_f32_f16_e32 v10, v14
	v_cvt_f32_f16_e32 v6, v7
	v_cvt_f32_f16_sdwa v7, v7 dst_sel:DWORD dst_unused:UNUSED_PAD src0_sel:WORD_1
	s_add_i32 s9, s9, s8
	v_pk_fma_f32 v[2:3], v[2:3], s[40:41], v[10:11]
	v_cvt_f32_f16_sdwa v11, v12 dst_sel:DWORD dst_unused:UNUSED_PAD src0_sel:WORD_1
	v_cvt_f32_f16_e32 v10, v12
	v_pk_fma_f32 v[4:5], v[4:5], s[40:41], v[6:7]
	v_add_f32_e32 v6, 0x40051340, v4
	v_add_f32_e32 v7, 0x40051340, v5
	v_pk_fma_f32 v[8:9], v[8:9], s[40:41], v[10:11]
	v_add_f32_e32 v10, 0x40051340, v8
	v_add_f32_e32 v11, 0x40051340, v9
	v_max3_f32 v6, v15, v6, v7
	v_add_f32_e32 v14, 0x40051340, v2
	v_add_f32_e32 v16, 0x40051340, v3
	v_max3_f32 v6, v6, v10, v11
	v_max3_f32 v6, v6, v14, v16
	ds_bpermute_b32 v7, v13, v6
	s_mul_i32 s8, s62, s30
	s_lshl_b64 s[8:9], s[8:9], 2
	s_add_u32 s8, s85, s8
	s_addc_u32 s9, s86, s9
	s_waitcnt lgkmcnt(0)
	v_max_f32_e32 v7, v7, v7
	v_max_f32_e32 v6, v6, v7
	ds_bpermute_b32 v7, v35, v6
	s_cmp_eq_u64 s[74:75], 0
	s_waitcnt lgkmcnt(0)
	v_max_f32_e32 v7, v7, v7
	v_max_f32_e32 v12, v6, v7
	v_pk_add_f32 v[0:1], v[0:1], v[12:13] op_sel_hi:[1,0] neg_lo:[0,1] neg_hi:[0,1]
	v_mul_f32_e32 v6, 0x3fb8aa3b, v1
	v_fma_f32 v7, v1, s69, -v6
	v_rndne_f32_e32 v10, v6
	v_fmac_f32_e32 v7, 0x32a5705f, v1
	v_sub_f32_e32 v6, v6, v10
	v_add_f32_e32 v6, v6, v7
	v_exp_f32_e32 v6, v6
	v_cvt_i32_f32_e32 v7, v10
	v_cmp_ngt_f32_e32 vcc, s57, v1
	v_ldexp_f32 v6, v6, v7
	v_cndmask_b32_e32 v6, 0, v6, vcc
	v_cmp_nlt_f32_e32 vcc, s68, v1
	v_mul_f32_e32 v1, 0x3fb8aa3b, v0
	v_cndmask_b32_e32 v24, v186, v6, vcc
	v_fma_f32 v6, v0, s69, -v1
	v_rndne_f32_e32 v7, v1
	v_fmac_f32_e32 v6, 0x32a5705f, v0
	v_sub_f32_e32 v1, v1, v7
	v_add_f32_e32 v1, v1, v6
	v_exp_f32_e32 v1, v1
	v_cvt_i32_f32_e32 v6, v7
	v_cmp_ngt_f32_e32 vcc, s57, v0
	v_ldexp_f32 v1, v1, v6
	v_cndmask_b32_e32 v1, 0, v1, vcc
	v_cmp_nlt_f32_e32 vcc, s68, v0
	v_cndmask_b32_e32 v25, v186, v1, vcc
	v_pk_add_f32 v[0:1], v[4:5], v[12:13] op_sel_hi:[1,0] neg_lo:[0,1] neg_hi:[0,1]
	v_mul_f32_e32 v4, 0x3fb8aa3b, v1
	v_fma_f32 v5, v1, s69, -v4
	v_rndne_f32_e32 v6, v4
	v_fmac_f32_e32 v5, 0x32a5705f, v1
	v_sub_f32_e32 v4, v4, v6
	v_add_f32_e32 v4, v4, v5
	v_exp_f32_e32 v4, v4
	v_cvt_i32_f32_e32 v5, v6
	v_cmp_ngt_f32_e32 vcc, s57, v1
	v_ldexp_f32 v4, v4, v5
	v_cndmask_b32_e32 v4, 0, v4, vcc
	v_cmp_nlt_f32_e32 vcc, s68, v1
	v_mul_f32_e32 v1, 0x3fb8aa3b, v0
	v_cndmask_b32_e32 v28, v186, v4, vcc
	v_fma_f32 v4, v0, s69, -v1
	v_rndne_f32_e32 v5, v1
	v_fmac_f32_e32 v4, 0x32a5705f, v0
	v_sub_f32_e32 v1, v1, v5
	v_add_f32_e32 v1, v1, v4
	v_exp_f32_e32 v1, v1
	v_cvt_i32_f32_e32 v4, v5
	v_cmp_ngt_f32_e32 vcc, s57, v0
	v_ldexp_f32 v1, v1, v4
	v_cndmask_b32_e32 v1, 0, v1, vcc
	v_cmp_nlt_f32_e32 vcc, s68, v0
	v_cndmask_b32_e32 v37, v186, v1, vcc
	;; [unrolled: 27-line block ×3, first 2 shown]
	v_pk_add_f32 v[0:1], v[2:3], v[12:13] op_sel_hi:[1,0] neg_lo:[0,1] neg_hi:[0,1]
	v_mul_f32_e32 v2, 0x3fb8aa3b, v1
	v_fma_f32 v3, v1, s69, -v2
	v_rndne_f32_e32 v4, v2
	v_fmac_f32_e32 v3, 0x32a5705f, v1
	v_sub_f32_e32 v2, v2, v4
	v_add_f32_e32 v2, v2, v3
	v_exp_f32_e32 v2, v2
	v_cvt_i32_f32_e32 v3, v4
	v_cmp_ngt_f32_e32 vcc, s57, v1
	v_ldexp_f32 v2, v2, v3
	v_cndmask_b32_e32 v2, 0, v2, vcc
	v_cmp_nlt_f32_e32 vcc, s68, v1
	v_mul_f32_e32 v1, 0x3fb8aa3b, v0
	v_cndmask_b32_e32 v63, v186, v2, vcc
	v_fma_f32 v2, v0, s69, -v1
	v_rndne_f32_e32 v3, v1
	v_fmac_f32_e32 v2, 0x32a5705f, v0
	v_sub_f32_e32 v1, v1, v3
	v_add_f32_e32 v1, v1, v2
	v_exp_f32_e32 v1, v1
	v_cvt_i32_f32_e32 v2, v3
	v_cmp_ngt_f32_e32 vcc, s57, v0
	v_ldexp_f32 v1, v1, v2
	v_cndmask_b32_e32 v1, 0, v1, vcc
	v_cmp_nlt_f32_e32 vcc, s68, v0
	v_add_f32_e32 v0, v25, v24
	v_add_f32_e32 v0, v37, v0
	;; [unrolled: 1-line block ×4, first 2 shown]
	v_cndmask_b32_e32 v65, v186, v1, vcc
	v_add_f32_e32 v0, v41, v0
	v_add_f32_e32 v0, v65, v0
	;; [unrolled: 1-line block ×3, first 2 shown]
	v_sub_f32_e32 v0, v38, v12
	v_mul_f32_e32 v1, 0x3fb8aa3b, v0
	v_fma_f32 v2, v0, s69, -v1
	v_rndne_f32_e32 v3, v1
	v_fmac_f32_e32 v2, 0x32a5705f, v0
	v_sub_f32_e32 v1, v1, v3
	v_add_f32_e32 v1, v1, v2
	v_exp_f32_e32 v1, v1
	v_cvt_i32_f32_e32 v2, v3
	v_cmp_ngt_f32_e32 vcc, s57, v0
	v_cvt_f16_f32_e32 v25, v25
	v_cvt_f16_f32_e32 v24, v24
	v_ldexp_f32 v1, v1, v2
	v_cndmask_b32_e32 v1, 0, v1, vcc
	v_cmp_nlt_f32_e32 vcc, s68, v0
	v_cndmask_b32_e32 v1, v186, v1, vcc
	v_cmp_le_f32_e32 vcc, s6, v0
	v_cndmask_b32_e32 v0, 0, v1, vcc
	v_cvt_f16_f32_e32 v36, v0
	v_fmac_f32_e32 v40, v39, v0
	v_pk_mul_f16 v18, v36, v205 op_sel_hi:[0,1]
	v_pk_mul_f16 v17, v36, v42 op_sel_hi:[0,1]
	;; [unrolled: 1-line block ×32, first 2 shown]
	v_pack_b32_f16 v36, v25, v24
	v_cvt_f16_f32_e32 v24, v28
	v_cvt_f16_f32_e32 v25, v37
	v_cvt_f16_f32_e32 v28, v65
	v_pack_b32_f16 v37, v25, v24
	v_cvt_f16_f32_e32 v24, v41
	v_cvt_f16_f32_e32 v25, v45
	v_mov_b32_e32 v41, s9
	v_pack_b32_f16 v24, v25, v24
	v_cvt_f16_f32_e32 v25, v63
	v_pack_b32_f16 v25, v28, v25
	v_add_co_u32_e32 v28, vcc, s8, v46
	v_addc_co_u32_e32 v41, vcc, v41, v47, vcc
	v_add_co_u32_e32 v42, vcc, v28, v150
	v_addc_co_u32_e32 v43, vcc, 0, v41, vcc
	global_load_dwordx4 v[68:71], v[42:43], off
	v_add_co_u32_e32 v28, vcc, s8, v48
	v_mov_b32_e32 v41, s9
	v_addc_co_u32_e32 v41, vcc, v41, v49, vcc
	v_add_co_u32_e32 v72, vcc, v28, v150
	v_addc_co_u32_e32 v73, vcc, 0, v41, vcc
	v_add_co_u32_e32 v28, vcc, s8, v50
	v_mov_b32_e32 v41, s9
	v_addc_co_u32_e32 v41, vcc, v41, v51, vcc
	v_add_co_u32_e32 v74, vcc, v28, v150
	v_addc_co_u32_e32 v75, vcc, 0, v41, vcc
	v_add_co_u32_e32 v28, vcc, s8, v52
	v_mov_b32_e32 v41, s9
	v_addc_co_u32_e32 v41, vcc, v41, v53, vcc
	v_add_co_u32_e32 v80, vcc, v28, v150
	v_addc_co_u32_e32 v81, vcc, 0, v41, vcc
	s_cselect_b64 s[8:9], -1, 0
	s_xor_b64 s[34:35], s[0:1], -1
	s_or_b64 s[8:9], s[34:35], s[8:9]
	s_waitcnt vmcnt(0)
	ds_write_b128 v98, v[68:71]
	global_load_dwordx4 v[68:71], v[72:73], off
	s_waitcnt vmcnt(0)
	ds_write_b128 v226, v[68:71]
	global_load_dwordx4 v[68:71], v[74:75], off
	;; [unrolled: 3-line block ×3, first 2 shown]
	s_waitcnt vmcnt(0)
	ds_write_b128 v228, v[68:71]
	s_waitcnt lgkmcnt(0)
	s_barrier
	ds_read_u16 v28, v102 offset:528
	ds_read_u16 v41, v102 offset:1056
	v_cvt_f32_f16_e32 v70, v17
	v_cvt_f32_f16_sdwa v71, v17 dst_sel:DWORD dst_unused:UNUSED_PAD src0_sel:WORD_1
	ds_read_u16 v17, v103
	ds_read_u16 v45, v103 offset:32
	v_cvt_f32_f16_e32 v68, v18
	v_cvt_f32_f16_sdwa v69, v18 dst_sel:DWORD dst_unused:UNUSED_PAD src0_sel:WORD_1
	s_waitcnt lgkmcnt(1)
	v_perm_b32 v43, v17, v41, s91
	ds_read_u16 v17, v101
	ds_read_u16 v41, v101 offset:32
	s_waitcnt lgkmcnt(1)
	v_perm_b32 v42, v28, v17, s91
	s_nop 1
	v_mfma_f32_16x16x16f16 v[68:71], v[42:43], v[36:37], v[68:71]
	ds_read_u16 v63, v101 offset:16896
	ds_read_u16 v65, v229 offset:528
	;; [unrolled: 1-line block ×4, first 2 shown]
	s_waitcnt lgkmcnt(0)
	v_perm_b32 v43, v67, v43, s91
	s_nop 4
	v_cvt_f16_f32_e32 v42, v71
	v_cvt_f16_f32_e32 v17, v68
	;; [unrolled: 1-line block ×4, first 2 shown]
	v_cvt_f32_f16_e32 v71, v42
	v_perm_b32 v42, v65, v63, s91
	v_cvt_f32_f16_e32 v68, v17
	v_cvt_f32_f16_e32 v69, v18
	;; [unrolled: 1-line block ×3, first 2 shown]
	s_nop 1
	v_mfma_f32_16x16x16f16 v[68:71], v[42:43], v[24:25], v[68:71]
	s_nop 7
	s_nop 2
	v_cvt_f16_f32_e32 v17, v68
	v_cvt_f16_f32_e32 v18, v69
	;; [unrolled: 1-line block ×4, first 2 shown]
	v_cvt_f32_f16_e32 v68, v20
	v_pack_b32_f16 v18, v17, v18
	v_cvt_f32_f16_sdwa v69, v20 dst_sel:DWORD dst_unused:UNUSED_PAD src0_sel:WORD_1
	v_pack_b32_f16 v17, v28, v42
	ds_read_u16 v28, v230 offset:528
	ds_read_u16 v42, v230 offset:1056
	v_cvt_f32_f16_e32 v70, v19
	v_cvt_f32_f16_sdwa v71, v19 dst_sel:DWORD dst_unused:UNUSED_PAD src0_sel:WORD_1
	s_waitcnt lgkmcnt(0)
	v_perm_b32 v43, v45, v42, s91
	v_perm_b32 v42, v28, v41, s91
	s_nop 1
	v_mfma_f32_16x16x16f16 v[68:71], v[42:43], v[36:37], v[68:71]
	ds_read_u16 v42, v104 offset:16896
	ds_read_u16 v45, v134 offset:528
	ds_read_u16 v43, v231 offset:1056
	ds_read_u16 v63, v105 offset:16896
	s_waitcnt lgkmcnt(2)
	v_perm_b32 v42, v45, v42, s91
	s_waitcnt lgkmcnt(0)
	v_perm_b32 v43, v63, v43, s91
	s_nop 2
	v_cvt_f16_f32_e32 v19, v68
	v_cvt_f16_f32_e32 v20, v69
	v_cvt_f16_f32_e32 v28, v70
	v_cvt_f16_f32_e32 v41, v71
	v_cvt_f32_f16_e32 v68, v19
	v_cvt_f32_f16_e32 v69, v20
	v_cvt_f32_f16_e32 v70, v28
	v_cvt_f32_f16_e32 v71, v41
	s_nop 1
	v_mfma_f32_16x16x16f16 v[68:71], v[42:43], v[24:25], v[68:71]
	s_nop 7
	s_nop 2
	v_cvt_f16_f32_e32 v19, v68
	v_cvt_f16_f32_e32 v20, v69
	v_cvt_f16_f32_e32 v28, v70
	v_cvt_f16_f32_e32 v41, v71
	v_cvt_f32_f16_e32 v68, v22
	v_pack_b32_f16 v20, v19, v20
	v_cvt_f32_f16_sdwa v69, v22 dst_sel:DWORD dst_unused:UNUSED_PAD src0_sel:WORD_1
	v_pack_b32_f16 v19, v28, v41
	ds_read_u16 v28, v101 offset:64
	ds_read_u16 v41, v232 offset:528
	ds_read_u16 v42, v232 offset:1056
	ds_read_u16 v43, v103 offset:64
	v_cvt_f32_f16_e32 v70, v21
	v_cvt_f32_f16_sdwa v71, v21 dst_sel:DWORD dst_unused:UNUSED_PAD src0_sel:WORD_1
	s_waitcnt lgkmcnt(0)
	v_perm_b32 v43, v43, v42, s91
	v_perm_b32 v42, v41, v28, s91
	s_nop 1
	v_mfma_f32_16x16x16f16 v[68:71], v[42:43], v[36:37], v[68:71]
	ds_read_u16 v42, v106 offset:16896
	ds_read_u16 v45, v135 offset:528
	ds_read_u16 v43, v233 offset:1056
	ds_read_u16 v63, v107 offset:16896
	s_waitcnt lgkmcnt(2)
	v_perm_b32 v42, v45, v42, s91
	s_waitcnt lgkmcnt(0)
	v_perm_b32 v43, v63, v43, s91
	s_nop 2
	v_cvt_f16_f32_e32 v21, v68
	v_cvt_f16_f32_e32 v22, v69
	v_cvt_f16_f32_e32 v28, v70
	v_cvt_f16_f32_e32 v41, v71
	v_cvt_f32_f16_e32 v68, v21
	v_cvt_f32_f16_e32 v69, v22
	v_cvt_f32_f16_e32 v70, v28
	v_cvt_f32_f16_e32 v71, v41
	s_nop 1
	v_mfma_f32_16x16x16f16 v[68:71], v[42:43], v[24:25], v[68:71]
	s_nop 7
	s_nop 2
	v_cvt_f16_f32_e32 v21, v68
	v_cvt_f16_f32_e32 v22, v69
	v_cvt_f16_f32_e32 v28, v70
	v_cvt_f16_f32_e32 v41, v71
	v_cvt_f32_f16_e32 v68, v26
	v_pack_b32_f16 v22, v21, v22
	v_cvt_f32_f16_sdwa v69, v26 dst_sel:DWORD dst_unused:UNUSED_PAD src0_sel:WORD_1
	v_pack_b32_f16 v21, v28, v41
	ds_read_u16 v28, v101 offset:96
	ds_read_u16 v41, v234 offset:528
	;; [unrolled: 40-line block ×7, first 2 shown]
	ds_read_u16 v42, v244 offset:1056
	ds_read_u16 v43, v103 offset:256
	v_cvt_f32_f16_e32 v68, v2
	v_cvt_f32_f16_sdwa v69, v2 dst_sel:DWORD dst_unused:UNUSED_PAD src0_sel:WORD_1
	s_waitcnt lgkmcnt(2)
	v_perm_b32 v0, v41, v0, s91
	s_waitcnt lgkmcnt(0)
	v_perm_b32 v1, v43, v42, s91
	ds_read_u16 v42, v118 offset:16896
	ds_read_u16 v43, v141 offset:528
	;; [unrolled: 1-line block ×4, first 2 shown]
	v_mfma_f32_16x16x16f16 v[68:71], v[0:1], v[36:37], v[68:71]
	s_nop 7
	s_nop 2
	v_cvt_f16_f32_e32 v0, v68
	v_cvt_f16_f32_e32 v1, v69
	;; [unrolled: 1-line block ×4, first 2 shown]
	v_cvt_f32_f16_e32 v68, v0
	v_cvt_f32_f16_e32 v69, v1
	s_waitcnt lgkmcnt(0)
	v_perm_b32 v1, v63, v45, s91
	v_perm_b32 v0, v43, v42, s91
	v_cvt_f32_f16_e32 v70, v2
	v_cvt_f32_f16_e32 v71, v41
	s_nop 1
	v_mfma_f32_16x16x16f16 v[68:71], v[0:1], v[24:25], v[68:71]
	s_nop 7
	s_nop 2
	v_cvt_f16_f32_e32 v0, v68
	v_cvt_f16_f32_e32 v1, v69
	v_cvt_f16_f32_e32 v41, v70
	v_cvt_f16_f32_e32 v42, v71
	v_cvt_f32_f16_e32 v68, v4
	v_pack_b32_f16 v2, v0, v1
	v_cvt_f32_f16_sdwa v69, v4 dst_sel:DWORD dst_unused:UNUSED_PAD src0_sel:WORD_1
	v_pack_b32_f16 v1, v41, v42
	ds_read_u16 v0, v101 offset:288
	ds_read_u16 v41, v246 offset:528
	ds_read_u16 v42, v246 offset:1056
	ds_read_u16 v43, v103 offset:288
	v_cvt_f32_f16_e32 v70, v3
	v_cvt_f32_f16_sdwa v71, v3 dst_sel:DWORD dst_unused:UNUSED_PAD src0_sel:WORD_1
	s_waitcnt lgkmcnt(0)
	v_perm_b32 v43, v43, v42, s91
	v_perm_b32 v42, v41, v0, s91
	s_nop 1
	v_mfma_f32_16x16x16f16 v[68:71], v[42:43], v[36:37], v[68:71]
	ds_read_u16 v42, v120 offset:16896
	ds_read_u16 v45, v142 offset:528
	ds_read_u16 v43, v247 offset:1056
	ds_read_u16 v63, v121 offset:16896
	s_waitcnt lgkmcnt(2)
	v_perm_b32 v42, v45, v42, s91
	s_waitcnt lgkmcnt(0)
	v_perm_b32 v43, v63, v43, s91
	s_nop 2
	v_cvt_f16_f32_e32 v0, v68
	v_cvt_f16_f32_e32 v3, v69
	v_cvt_f16_f32_e32 v4, v70
	v_cvt_f16_f32_e32 v41, v71
	v_cvt_f32_f16_e32 v68, v0
	v_cvt_f32_f16_e32 v69, v3
	v_cvt_f32_f16_e32 v70, v4
	v_cvt_f32_f16_e32 v71, v41
	s_nop 1
	v_mfma_f32_16x16x16f16 v[68:71], v[42:43], v[24:25], v[68:71]
	s_nop 7
	s_nop 2
	v_cvt_f16_f32_e32 v0, v68
	v_cvt_f16_f32_e32 v3, v69
	v_cvt_f16_f32_e32 v41, v70
	v_cvt_f16_f32_e32 v42, v71
	v_cvt_f32_f16_e32 v68, v6
	v_pack_b32_f16 v4, v0, v3
	v_cvt_f32_f16_sdwa v69, v6 dst_sel:DWORD dst_unused:UNUSED_PAD src0_sel:WORD_1
	v_pack_b32_f16 v3, v41, v42
	ds_read_u16 v0, v101 offset:320
	ds_read_u16 v41, v248 offset:528
	ds_read_u16 v42, v248 offset:1056
	ds_read_u16 v43, v103 offset:320
	v_cvt_f32_f16_e32 v70, v5
	v_cvt_f32_f16_sdwa v71, v5 dst_sel:DWORD dst_unused:UNUSED_PAD src0_sel:WORD_1
	s_waitcnt lgkmcnt(0)
	v_perm_b32 v43, v43, v42, s91
	v_perm_b32 v42, v41, v0, s91
	s_nop 1
	v_mfma_f32_16x16x16f16 v[68:71], v[42:43], v[36:37], v[68:71]
	ds_read_u16 v42, v122 offset:16896
	ds_read_u16 v45, v143 offset:528
	ds_read_u16 v43, v249 offset:1056
	ds_read_u16 v63, v123 offset:16896
	s_waitcnt lgkmcnt(2)
	v_perm_b32 v42, v45, v42, s91
	s_waitcnt lgkmcnt(0)
	v_perm_b32 v43, v63, v43, s91
	s_nop 2
	v_cvt_f16_f32_e32 v0, v68
	v_cvt_f16_f32_e32 v5, v69
	v_cvt_f16_f32_e32 v6, v70
	v_cvt_f16_f32_e32 v41, v71
	v_cvt_f32_f16_e32 v68, v0
	v_cvt_f32_f16_e32 v69, v5
	;; [unrolled: 40-line block ×6, first 2 shown]
	v_cvt_f32_f16_e32 v70, v16
	v_cvt_f32_f16_e32 v71, v41
	s_nop 1
	v_mfma_f32_16x16x16f16 v[68:71], v[42:43], v[24:25], v[68:71]
	s_nop 7
	s_nop 2
	v_cvt_f16_f32_e32 v0, v68
	v_cvt_f16_f32_e32 v15, v69
	;; [unrolled: 1-line block ×4, first 2 shown]
	v_cvt_f32_f16_e32 v68, v39
	v_pack_b32_f16 v16, v0, v15
	v_cvt_f32_f16_sdwa v69, v39 dst_sel:DWORD dst_unused:UNUSED_PAD src0_sel:WORD_1
	v_pack_b32_f16 v15, v41, v42
	ds_read_u16 v0, v101 offset:480
	ds_read_u16 v41, v201 offset:528
	;; [unrolled: 1-line block ×4, first 2 shown]
	v_cvt_f32_f16_e32 v70, v38
	v_cvt_f32_f16_sdwa v71, v38 dst_sel:DWORD dst_unused:UNUSED_PAD src0_sel:WORD_1
	s_waitcnt lgkmcnt(2)
	v_perm_b32 v38, v41, v0, s91
	s_waitcnt lgkmcnt(0)
	v_perm_b32 v39, v43, v42, s91
	s_nop 1
	v_mfma_f32_16x16x16f16 v[36:39], v[38:39], v[36:37], v[68:71]
	s_nop 7
	s_nop 2
	v_cvt_f16_f32_e32 v0, v36
	v_cvt_f16_f32_e32 v36, v37
	;; [unrolled: 1-line block ×4, first 2 shown]
	ds_read_u16 v39, v132 offset:16896
	ds_read_u16 v41, v148 offset:528
	;; [unrolled: 1-line block ×4, first 2 shown]
	v_cvt_f32_f16_e32 v69, v36
	v_cvt_f32_f16_e32 v70, v37
	s_waitcnt lgkmcnt(2)
	v_perm_b32 v36, v41, v39, s91
	v_cvt_f32_f16_e32 v68, v0
	s_waitcnt lgkmcnt(0)
	v_perm_b32 v37, v43, v42, s91
	v_cvt_f32_f16_e32 v71, v38
	s_barrier
	s_nop 0
	v_mfma_f32_16x16x16f16 v[36:39], v[36:37], v[24:25], v[68:71]
	s_nop 7
	s_nop 2
	v_cvt_f16_f32_e32 v0, v36
	v_cvt_f16_f32_e32 v24, v37
	;; [unrolled: 1-line block ×4, first 2 shown]
	v_pack_b32_f16 v24, v0, v24
	ds_bpermute_b32 v0, v13, v40
	v_pack_b32_f16 v25, v25, v36
	s_waitcnt lgkmcnt(0)
	v_add_f32_e32 v0, v40, v0
	ds_bpermute_b32 v13, v35, v0
	s_waitcnt lgkmcnt(0)
	v_add_f32_e32 v13, v0, v13
	s_and_saveexec_b64 s[34:35], s[8:9]
	s_xor_b64 s[8:9], exec, s[34:35]
	s_andn2_saveexec_b64 s[8:9], s[8:9]
	s_cbranch_execz .LBB30_395
; %bb.394:                              ;   in Loop: Header=BB30_14 Depth=1
	v_lshlrev_b32_e32 v0, 2, v64
	global_load_dword v0, v0, s[74:75]
	v_max_f32_e32 v37, v12, v12
	s_waitcnt vmcnt(0)
	v_max_f32_e32 v36, v0, v0
	v_max_f32_e32 v36, v37, v36
	v_sub_f32_e32 v12, v12, v36
	v_mul_f32_e32 v37, 0x3fb8aa3b, v12
	v_fma_f32 v38, v12, s69, -v37
	v_rndne_f32_e32 v39, v37
	v_fmac_f32_e32 v38, 0x32a5705f, v12
	v_sub_f32_e32 v37, v37, v39
	v_add_f32_e32 v37, v37, v38
	v_exp_f32_e32 v37, v37
	v_cvt_i32_f32_e32 v38, v39
	v_cmp_ngt_f32_e32 vcc, s57, v12
	v_sub_f32_e32 v0, v0, v36
	v_ldexp_f32 v37, v37, v38
	v_cndmask_b32_e32 v37, 0, v37, vcc
	v_cmp_nlt_f32_e32 vcc, s68, v12
	v_cndmask_b32_e32 v37, v186, v37, vcc
	v_cmp_le_f32_e32 vcc, s6, v12
	v_cndmask_b32_e32 v12, 0, v37, vcc
	v_cvt_f16_f32_e32 v37, v12
	v_cmp_ngt_f32_e32 vcc, s57, v0
	v_pk_mul_f16 v18, v37, v18 op_sel_hi:[0,1]
	v_pk_mul_f16 v17, v37, v17 op_sel_hi:[0,1]
	;; [unrolled: 1-line block ×32, first 2 shown]
	v_mul_f32_e32 v37, 0x3fb8aa3b, v0
	v_fma_f32 v38, v0, s69, -v37
	v_rndne_f32_e32 v39, v37
	v_fmac_f32_e32 v38, 0x32a5705f, v0
	v_sub_f32_e32 v37, v37, v39
	v_add_f32_e32 v37, v37, v38
	v_exp_f32_e32 v37, v37
	v_cvt_i32_f32_e32 v38, v39
	v_ldexp_f32 v37, v37, v38
	v_cndmask_b32_e32 v37, 0, v37, vcc
	v_cmp_nlt_f32_e32 vcc, s68, v0
	v_cndmask_b32_e32 v37, v186, v37, vcc
	v_fmac_f32_e32 v37, v13, v12
	v_pk_mov_b32 v[12:13], v[36:37], v[36:37] op_sel:[0,1]
.LBB30_395:                             ;   in Loop: Header=BB30_14 Depth=1
	s_or_b64 exec, exec, s[8:9]
	s_and_saveexec_b64 s[8:9], s[4:5]
	s_cbranch_execz .LBB30_397
; %bb.396:                              ;   in Loop: Header=BB30_14 Depth=1
	v_add_u32_e32 v0, 0, v155
	ds_write2_b32 v0, v12, v13 offset0:64 offset1:65
.LBB30_397:                             ;   in Loop: Header=BB30_14 Depth=1
	s_or_b64 exec, exec, s[8:9]
	s_waitcnt lgkmcnt(0)
	s_barrier
	s_and_saveexec_b64 s[8:9], s[2:3]
	s_xor_b64 s[8:9], exec, s[8:9]
	s_cbranch_execz .LBB30_399
; %bb.398:                              ;   in Loop: Header=BB30_14 Depth=1
	s_barrier
	s_waitcnt lgkmcnt(0)
                                        ; implicit-def: $vgpr35
.LBB30_399:                             ;   in Loop: Header=BB30_14 Depth=1
	s_andn2_saveexec_b64 s[8:9], s[8:9]
	s_cbranch_execz .LBB30_403
; %bb.400:                              ;   in Loop: Header=BB30_14 Depth=1
	v_add_u32_e32 v0, 0, v156
	ds_read_b64 v[12:13], v0 offset:256
	s_waitcnt lgkmcnt(0)
	s_barrier
	ds_bpermute_b32 v36, v35, v12
	v_max_f32_e32 v37, v12, v12
	s_waitcnt lgkmcnt(0)
	v_max_f32_e32 v36, v36, v36
	v_max_f32_e32 v36, v37, v36
	v_sub_f32_e32 v12, v12, v36
	v_mul_f32_e32 v36, 0x3fb8aa3b, v12
	v_fma_f32 v37, v12, s69, -v36
	v_rndne_f32_e32 v38, v36
	v_fmac_f32_e32 v37, 0x32a5705f, v12
	v_sub_f32_e32 v36, v36, v38
	v_add_f32_e32 v36, v36, v37
	v_cvt_i32_f32_e32 v38, v38
	v_exp_f32_e32 v36, v36
	v_cmp_ngt_f32_e32 vcc, s57, v12
	v_ldexp_f32 v36, v36, v38
	v_cndmask_b32_e32 v36, 0, v36, vcc
	v_cmp_nlt_f32_e32 vcc, s68, v12
	v_cndmask_b32_e32 v12, v186, v36, vcc
	v_mul_f32_e32 v13, v13, v12
	ds_bpermute_b32 v35, v35, v13
	s_mov_b64 s[74:75], exec
	v_readlane_b32 s34, v255, 19
	v_readlane_b32 s35, v255, 20
	s_and_b64 s[34:35], s[74:75], s[34:35]
	s_mov_b64 exec, s[34:35]
	s_cbranch_execz .LBB30_402
; %bb.401:                              ;   in Loop: Header=BB30_14 Depth=1
	s_waitcnt lgkmcnt(0)
	v_add_f32_e32 v13, v13, v35
	ds_write_b64 v0, v[12:13] offset:256
.LBB30_402:                             ;   in Loop: Header=BB30_14 Depth=1
	s_or_b64 exec, exec, s[74:75]
.LBB30_403:                             ;   in Loop: Header=BB30_14 Depth=1
	s_or_b64 exec, exec, s[8:9]
	ds_write2_b32 v157, v18, v17 offset1:1
	ds_write2_b32 v157, v20, v19 offset0:8 offset1:9
	ds_write2_b32 v157, v22, v21 offset0:16 offset1:17
	;; [unrolled: 1-line block ×7, first 2 shown]
	s_waitcnt lgkmcnt(0)
	s_barrier
	s_and_saveexec_b64 s[74:75], s[0:1]
	s_cbranch_execz .LBB30_481
; %bb.404:                              ;   in Loop: Header=BB30_14 Depth=1
	v_add_u32_e32 v12, s80, v188
	v_or_b32_e32 v0, s84, v66
	v_cmp_gt_i32_e32 vcc, s28, v12
	v_cmp_gt_i32_e64 s[8:9], s82, v0
	s_and_b64 s[34:35], vcc, s[8:9]
	v_mov_b32_e32 v0, 0x47
	s_and_saveexec_b64 s[76:77], s[34:35]
	s_cbranch_execz .LBB30_406
; %bb.405:                              ;   in Loop: Header=BB30_14 Depth=1
	v_add_u32_e32 v0, 0, v158
	ds_read2_b32 v[18:19], v0 offset0:64 offset1:65
	ds_read2st64_b32 v[20:21], v159 offset1:17
	ds_read_b32 v0, v0 offset:4608
	v_mad_u64_u32 v[12:13], s[34:35], v12, s29, v[66:67]
	v_lshl_add_u32 v12, v12, 7, v95
	s_waitcnt lgkmcnt(1)
	v_cvt_f32_f16_sdwa v23, v20 dst_sel:DWORD dst_unused:UNUSED_PAD src0_sel:WORD_1
	v_cvt_f32_f16_e32 v22, v20
	v_cvt_f32_f16_sdwa v27, v21 dst_sel:DWORD dst_unused:UNUSED_PAD src0_sel:WORD_1
	v_cvt_f32_f16_e32 v26, v21
	v_ashrrev_i32_e32 v13, 31, v12
	v_pk_fma_f32 v[22:23], v[18:19], v[22:23], 0 op_sel_hi:[0,1,0]
	v_lshlrev_b64 v[12:13], 3, v[12:13]
	s_waitcnt lgkmcnt(0)
	v_pk_fma_f32 v[20:21], v[0:1], v[26:27], v[22:23] op_sel_hi:[0,1,1]
	v_add_co_u32_e32 v12, vcc, s10, v12
	v_mov_b32_e32 v17, s11
	v_div_scale_f32 v0, s[34:35], v19, v19, v21
	v_addc_co_u32_e32 v13, vcc, v17, v13, vcc
	v_rcp_f32_e32 v17, v0
	v_fma_f32 v18, -v0, v17, 1.0
	v_fmac_f32_e32 v17, v18, v17
	v_div_scale_f32 v18, vcc, v21, v19, v21
	v_mul_f32_e32 v22, v18, v17
	v_fma_f32 v23, -v0, v22, v18
	v_fmac_f32_e32 v22, v23, v17
	v_fma_f32 v0, -v0, v22, v18
	v_div_fmas_f32 v0, v0, v17, v22
	v_div_fixup_f32 v21, v0, v19, v21
	v_div_scale_f32 v0, s[34:35], v19, v19, v20
	v_rcp_f32_e32 v17, v0
	v_fma_f32 v18, -v0, v17, 1.0
	v_fmac_f32_e32 v17, v18, v17
	v_div_scale_f32 v18, vcc, v20, v19, v20
	v_mul_f32_e32 v22, v18, v17
	v_fma_f32 v23, -v0, v22, v18
	v_fmac_f32_e32 v22, v23, v17
	v_fma_f32 v0, -v0, v22, v18
	v_div_fmas_f32 v0, v0, v17, v22
	v_div_fixup_f32 v20, v0, v19, v20
	v_mov_b32_e32 v0, 0
	global_store_dwordx2 v[12:13], v[20:21], off
.LBB30_406:                             ;   in Loop: Header=BB30_14 Depth=1
	s_or_b64 exec, exec, s[76:77]
	v_cmp_gt_i32_e32 vcc, s53, v0
	s_mov_b64 s[76:77], -1
	s_and_saveexec_b64 s[78:79], vcc
; %bb.407:                              ;   in Loop: Header=BB30_14 Depth=1
	v_cmp_eq_u32_e32 vcc, 0, v0
	s_orn2_b64 s[76:77], vcc, exec
; %bb.408:                              ;   in Loop: Header=BB30_14 Depth=1
	s_or_b64 exec, exec, s[78:79]
	s_and_b64 exec, exec, s[76:77]
	s_cbranch_execz .LBB30_481
; %bb.409:                              ;   in Loop: Header=BB30_14 Depth=1
	v_add_u32_e32 v12, s80, v160
	v_cmp_gt_i32_e32 vcc, s28, v12
	s_and_b64 s[34:35], vcc, s[8:9]
	v_mov_b32_e32 v0, 0x47
	s_and_saveexec_b64 s[76:77], s[34:35]
	s_cbranch_execz .LBB30_411
; %bb.410:                              ;   in Loop: Header=BB30_14 Depth=1
	buffer_load_dword v0, off, s[96:99], 0  ; 4-byte Folded Reload
	v_mad_u64_u32 v[12:13], s[34:35], v12, s29, v[66:67]
	buffer_load_dword v13, off, s[96:99], 0 offset:4 ; 4-byte Folded Reload
	v_lshl_add_u32 v12, v12, 7, v95
	v_mov_b32_e32 v17, s11
	s_waitcnt vmcnt(1)
	v_add_u32_e32 v0, 0, v0
	ds_read2_b32 v[18:19], v0 offset0:64 offset1:65
	s_waitcnt vmcnt(0)
	ds_read2st64_b32 v[20:21], v13 offset1:17
	ds_read_b32 v0, v0 offset:4608
	v_ashrrev_i32_e32 v13, 31, v12
	v_lshlrev_b64 v[12:13], 3, v[12:13]
	v_add_co_u32_e32 v12, vcc, s10, v12
	s_waitcnt lgkmcnt(1)
	v_cvt_f32_f16_sdwa v23, v20 dst_sel:DWORD dst_unused:UNUSED_PAD src0_sel:WORD_1
	v_cvt_f32_f16_e32 v22, v20
	v_cvt_f32_f16_sdwa v27, v21 dst_sel:DWORD dst_unused:UNUSED_PAD src0_sel:WORD_1
	v_cvt_f32_f16_e32 v26, v21
	v_addc_co_u32_e32 v13, vcc, v17, v13, vcc
	v_pk_fma_f32 v[22:23], v[18:19], v[22:23], 0 op_sel_hi:[0,1,0]
	s_waitcnt lgkmcnt(0)
	v_pk_fma_f32 v[20:21], v[0:1], v[26:27], v[22:23] op_sel_hi:[0,1,1]
	v_div_scale_f32 v0, s[34:35], v19, v19, v21
	v_rcp_f32_e32 v17, v0
	v_fma_f32 v18, -v0, v17, 1.0
	v_fmac_f32_e32 v17, v18, v17
	v_div_scale_f32 v18, vcc, v21, v19, v21
	v_mul_f32_e32 v22, v18, v17
	v_fma_f32 v23, -v0, v22, v18
	v_fmac_f32_e32 v22, v23, v17
	v_fma_f32 v0, -v0, v22, v18
	v_div_fmas_f32 v0, v0, v17, v22
	v_div_fixup_f32 v21, v0, v19, v21
	v_div_scale_f32 v0, s[34:35], v19, v19, v20
	v_rcp_f32_e32 v17, v0
	v_fma_f32 v18, -v0, v17, 1.0
	v_fmac_f32_e32 v17, v18, v17
	v_div_scale_f32 v18, vcc, v20, v19, v20
	v_mul_f32_e32 v22, v18, v17
	v_fma_f32 v23, -v0, v22, v18
	v_fmac_f32_e32 v22, v23, v17
	v_fma_f32 v0, -v0, v22, v18
	v_div_fmas_f32 v0, v0, v17, v22
	v_div_fixup_f32 v20, v0, v19, v20
	v_mov_b32_e32 v0, 0
	global_store_dwordx2 v[12:13], v[20:21], off
.LBB30_411:                             ;   in Loop: Header=BB30_14 Depth=1
	s_or_b64 exec, exec, s[76:77]
	v_cmp_gt_i32_e32 vcc, s53, v0
	s_mov_b64 s[76:77], -1
	s_and_saveexec_b64 s[78:79], vcc
; %bb.412:                              ;   in Loop: Header=BB30_14 Depth=1
	v_cmp_eq_u32_e32 vcc, 0, v0
	s_orn2_b64 s[76:77], vcc, exec
; %bb.413:                              ;   in Loop: Header=BB30_14 Depth=1
	s_or_b64 exec, exec, s[78:79]
	s_and_b64 exec, exec, s[76:77]
	s_cbranch_execz .LBB30_481
; %bb.414:                              ;   in Loop: Header=BB30_14 Depth=1
	buffer_load_dword v0, off, s[96:99], 0 offset:8 ; 4-byte Folded Reload
	s_waitcnt vmcnt(0)
	v_add_u32_e32 v12, s80, v0
	v_cmp_gt_i32_e32 vcc, s28, v12
	s_and_b64 s[34:35], vcc, s[8:9]
	v_mov_b32_e32 v0, 0x47
	s_and_saveexec_b64 s[76:77], s[34:35]
	s_cbranch_execz .LBB30_416
; %bb.415:                              ;   in Loop: Header=BB30_14 Depth=1
	buffer_load_dword v0, off, s[96:99], 0 offset:72 ; 4-byte Folded Reload
	v_mad_u64_u32 v[12:13], s[34:35], v12, s29, v[66:67]
	buffer_load_dword v13, off, s[96:99], 0 offset:76 ; 4-byte Folded Reload
	v_lshl_add_u32 v12, v12, 7, v95
	v_mov_b32_e32 v17, s11
	s_waitcnt vmcnt(1)
	v_add_u32_e32 v0, 0, v0
	ds_read2_b32 v[18:19], v0 offset0:64 offset1:65
	s_waitcnt vmcnt(0)
	ds_read2st64_b32 v[20:21], v13 offset1:17
	ds_read_b32 v0, v0 offset:4608
	v_ashrrev_i32_e32 v13, 31, v12
	v_lshlrev_b64 v[12:13], 3, v[12:13]
	v_add_co_u32_e32 v12, vcc, s10, v12
	s_waitcnt lgkmcnt(1)
	v_cvt_f32_f16_sdwa v23, v20 dst_sel:DWORD dst_unused:UNUSED_PAD src0_sel:WORD_1
	v_cvt_f32_f16_e32 v22, v20
	v_cvt_f32_f16_sdwa v27, v21 dst_sel:DWORD dst_unused:UNUSED_PAD src0_sel:WORD_1
	v_cvt_f32_f16_e32 v26, v21
	v_addc_co_u32_e32 v13, vcc, v17, v13, vcc
	v_pk_fma_f32 v[22:23], v[18:19], v[22:23], 0 op_sel_hi:[0,1,0]
	s_waitcnt lgkmcnt(0)
	v_pk_fma_f32 v[20:21], v[0:1], v[26:27], v[22:23] op_sel_hi:[0,1,1]
	v_div_scale_f32 v0, s[34:35], v19, v19, v21
	v_rcp_f32_e32 v17, v0
	v_fma_f32 v18, -v0, v17, 1.0
	v_fmac_f32_e32 v17, v18, v17
	v_div_scale_f32 v18, vcc, v21, v19, v21
	v_mul_f32_e32 v22, v18, v17
	v_fma_f32 v23, -v0, v22, v18
	v_fmac_f32_e32 v22, v23, v17
	v_fma_f32 v0, -v0, v22, v18
	v_div_fmas_f32 v0, v0, v17, v22
	v_div_fixup_f32 v21, v0, v19, v21
	v_div_scale_f32 v0, s[34:35], v19, v19, v20
	v_rcp_f32_e32 v17, v0
	v_fma_f32 v18, -v0, v17, 1.0
	v_fmac_f32_e32 v17, v18, v17
	v_div_scale_f32 v18, vcc, v20, v19, v20
	v_mul_f32_e32 v22, v18, v17
	v_fma_f32 v23, -v0, v22, v18
	v_fmac_f32_e32 v22, v23, v17
	v_fma_f32 v0, -v0, v22, v18
	v_div_fmas_f32 v0, v0, v17, v22
	v_div_fixup_f32 v20, v0, v19, v20
	v_mov_b32_e32 v0, 0
	global_store_dwordx2 v[12:13], v[20:21], off
.LBB30_416:                             ;   in Loop: Header=BB30_14 Depth=1
	s_or_b64 exec, exec, s[76:77]
	v_cmp_gt_i32_e32 vcc, s53, v0
	s_mov_b64 s[76:77], -1
	s_and_saveexec_b64 s[78:79], vcc
; %bb.417:                              ;   in Loop: Header=BB30_14 Depth=1
	v_cmp_eq_u32_e32 vcc, 0, v0
	s_orn2_b64 s[76:77], vcc, exec
; %bb.418:                              ;   in Loop: Header=BB30_14 Depth=1
	s_or_b64 exec, exec, s[78:79]
	s_and_b64 exec, exec, s[76:77]
	s_cbranch_execz .LBB30_481
; %bb.419:                              ;   in Loop: Header=BB30_14 Depth=1
	buffer_load_dword v0, off, s[96:99], 0 offset:80 ; 4-byte Folded Reload
	s_waitcnt vmcnt(0)
	v_add_u32_e32 v12, s80, v0
	v_cmp_gt_i32_e32 vcc, s28, v12
	s_and_b64 s[34:35], vcc, s[8:9]
	v_mov_b32_e32 v0, 0x47
	s_and_saveexec_b64 s[76:77], s[34:35]
	s_cbranch_execz .LBB30_421
; %bb.420:                              ;   in Loop: Header=BB30_14 Depth=1
	buffer_load_dword v0, off, s[96:99], 0 offset:84 ; 4-byte Folded Reload
	v_mad_u64_u32 v[12:13], s[34:35], v12, s29, v[66:67]
	buffer_load_dword v13, off, s[96:99], 0 offset:88 ; 4-byte Folded Reload
	v_lshl_add_u32 v12, v12, 7, v95
	v_mov_b32_e32 v17, s11
	s_waitcnt vmcnt(1)
	v_add_u32_e32 v0, 0, v0
	ds_read2_b32 v[18:19], v0 offset0:64 offset1:65
	s_waitcnt vmcnt(0)
	ds_read2st64_b32 v[20:21], v13 offset1:17
	ds_read_b32 v0, v0 offset:4608
	v_ashrrev_i32_e32 v13, 31, v12
	v_lshlrev_b64 v[12:13], 3, v[12:13]
	v_add_co_u32_e32 v12, vcc, s10, v12
	s_waitcnt lgkmcnt(1)
	v_cvt_f32_f16_sdwa v23, v20 dst_sel:DWORD dst_unused:UNUSED_PAD src0_sel:WORD_1
	v_cvt_f32_f16_e32 v22, v20
	v_cvt_f32_f16_sdwa v27, v21 dst_sel:DWORD dst_unused:UNUSED_PAD src0_sel:WORD_1
	v_cvt_f32_f16_e32 v26, v21
	v_addc_co_u32_e32 v13, vcc, v17, v13, vcc
	v_pk_fma_f32 v[22:23], v[18:19], v[22:23], 0 op_sel_hi:[0,1,0]
	s_waitcnt lgkmcnt(0)
	v_pk_fma_f32 v[20:21], v[0:1], v[26:27], v[22:23] op_sel_hi:[0,1,1]
	v_div_scale_f32 v0, s[34:35], v19, v19, v21
	v_rcp_f32_e32 v17, v0
	v_fma_f32 v18, -v0, v17, 1.0
	v_fmac_f32_e32 v17, v18, v17
	v_div_scale_f32 v18, vcc, v21, v19, v21
	v_mul_f32_e32 v22, v18, v17
	v_fma_f32 v23, -v0, v22, v18
	v_fmac_f32_e32 v22, v23, v17
	v_fma_f32 v0, -v0, v22, v18
	v_div_fmas_f32 v0, v0, v17, v22
	v_div_fixup_f32 v21, v0, v19, v21
	v_div_scale_f32 v0, s[34:35], v19, v19, v20
	v_rcp_f32_e32 v17, v0
	v_fma_f32 v18, -v0, v17, 1.0
	v_fmac_f32_e32 v17, v18, v17
	v_div_scale_f32 v18, vcc, v20, v19, v20
	v_mul_f32_e32 v22, v18, v17
	v_fma_f32 v23, -v0, v22, v18
	v_fmac_f32_e32 v22, v23, v17
	v_fma_f32 v0, -v0, v22, v18
	v_div_fmas_f32 v0, v0, v17, v22
	v_div_fixup_f32 v20, v0, v19, v20
	v_mov_b32_e32 v0, 0
	global_store_dwordx2 v[12:13], v[20:21], off
.LBB30_421:                             ;   in Loop: Header=BB30_14 Depth=1
	s_or_b64 exec, exec, s[76:77]
	v_cmp_gt_i32_e32 vcc, s53, v0
	s_mov_b64 s[76:77], -1
	s_and_saveexec_b64 s[78:79], vcc
; %bb.422:                              ;   in Loop: Header=BB30_14 Depth=1
	v_cmp_eq_u32_e32 vcc, 0, v0
	s_orn2_b64 s[76:77], vcc, exec
; %bb.423:                              ;   in Loop: Header=BB30_14 Depth=1
	s_or_b64 exec, exec, s[78:79]
	s_and_b64 exec, exec, s[76:77]
	s_cbranch_execz .LBB30_481
; %bb.424:                              ;   in Loop: Header=BB30_14 Depth=1
	buffer_load_dword v0, off, s[96:99], 0 offset:92 ; 4-byte Folded Reload
	s_waitcnt vmcnt(0)
	v_add_u32_e32 v12, s80, v0
	v_cmp_gt_i32_e32 vcc, s28, v12
	s_and_b64 s[34:35], vcc, s[8:9]
	v_mov_b32_e32 v0, 0x47
	s_and_saveexec_b64 s[76:77], s[34:35]
	s_cbranch_execz .LBB30_426
; %bb.425:                              ;   in Loop: Header=BB30_14 Depth=1
	buffer_load_dword v0, off, s[96:99], 0 offset:96 ; 4-byte Folded Reload
	v_mad_u64_u32 v[12:13], s[34:35], v12, s29, v[66:67]
	buffer_load_dword v13, off, s[96:99], 0 offset:100 ; 4-byte Folded Reload
	v_lshl_add_u32 v12, v12, 7, v95
	v_mov_b32_e32 v17, s11
	s_waitcnt vmcnt(1)
	v_add_u32_e32 v0, 0, v0
	ds_read2_b32 v[18:19], v0 offset0:64 offset1:65
	s_waitcnt vmcnt(0)
	ds_read2st64_b32 v[20:21], v13 offset1:17
	ds_read_b32 v0, v0 offset:4608
	v_ashrrev_i32_e32 v13, 31, v12
	v_lshlrev_b64 v[12:13], 3, v[12:13]
	v_add_co_u32_e32 v12, vcc, s10, v12
	s_waitcnt lgkmcnt(1)
	v_cvt_f32_f16_sdwa v23, v20 dst_sel:DWORD dst_unused:UNUSED_PAD src0_sel:WORD_1
	v_cvt_f32_f16_e32 v22, v20
	v_cvt_f32_f16_sdwa v27, v21 dst_sel:DWORD dst_unused:UNUSED_PAD src0_sel:WORD_1
	v_cvt_f32_f16_e32 v26, v21
	v_addc_co_u32_e32 v13, vcc, v17, v13, vcc
	v_pk_fma_f32 v[22:23], v[18:19], v[22:23], 0 op_sel_hi:[0,1,0]
	s_waitcnt lgkmcnt(0)
	v_pk_fma_f32 v[20:21], v[0:1], v[26:27], v[22:23] op_sel_hi:[0,1,1]
	v_div_scale_f32 v0, s[34:35], v19, v19, v21
	v_rcp_f32_e32 v17, v0
	v_fma_f32 v18, -v0, v17, 1.0
	v_fmac_f32_e32 v17, v18, v17
	v_div_scale_f32 v18, vcc, v21, v19, v21
	v_mul_f32_e32 v22, v18, v17
	v_fma_f32 v23, -v0, v22, v18
	v_fmac_f32_e32 v22, v23, v17
	v_fma_f32 v0, -v0, v22, v18
	v_div_fmas_f32 v0, v0, v17, v22
	v_div_fixup_f32 v21, v0, v19, v21
	v_div_scale_f32 v0, s[34:35], v19, v19, v20
	v_rcp_f32_e32 v17, v0
	v_fma_f32 v18, -v0, v17, 1.0
	v_fmac_f32_e32 v17, v18, v17
	v_div_scale_f32 v18, vcc, v20, v19, v20
	v_mul_f32_e32 v22, v18, v17
	v_fma_f32 v23, -v0, v22, v18
	v_fmac_f32_e32 v22, v23, v17
	v_fma_f32 v0, -v0, v22, v18
	v_div_fmas_f32 v0, v0, v17, v22
	v_div_fixup_f32 v20, v0, v19, v20
	v_mov_b32_e32 v0, 0
	global_store_dwordx2 v[12:13], v[20:21], off
.LBB30_426:                             ;   in Loop: Header=BB30_14 Depth=1
	s_or_b64 exec, exec, s[76:77]
	v_cmp_gt_i32_e32 vcc, s53, v0
	s_mov_b64 s[76:77], -1
	s_and_saveexec_b64 s[78:79], vcc
; %bb.427:                              ;   in Loop: Header=BB30_14 Depth=1
	v_cmp_eq_u32_e32 vcc, 0, v0
	s_orn2_b64 s[76:77], vcc, exec
; %bb.428:                              ;   in Loop: Header=BB30_14 Depth=1
	s_or_b64 exec, exec, s[78:79]
	s_and_b64 exec, exec, s[76:77]
	s_cbranch_execz .LBB30_481
; %bb.429:                              ;   in Loop: Header=BB30_14 Depth=1
	buffer_load_dword v0, off, s[96:99], 0 offset:104 ; 4-byte Folded Reload
	s_waitcnt vmcnt(0)
	v_add_u32_e32 v12, s80, v0
	v_cmp_gt_i32_e32 vcc, s28, v12
	s_and_b64 s[34:35], vcc, s[8:9]
	v_mov_b32_e32 v0, 0x47
	s_and_saveexec_b64 s[76:77], s[34:35]
	s_cbranch_execz .LBB30_431
; %bb.430:                              ;   in Loop: Header=BB30_14 Depth=1
	buffer_load_dword v0, off, s[96:99], 0 offset:112 ; 4-byte Folded Reload
	v_mad_u64_u32 v[12:13], s[34:35], v12, s29, v[66:67]
	buffer_load_dword v13, off, s[96:99], 0 offset:116 ; 4-byte Folded Reload
	v_lshl_add_u32 v12, v12, 7, v95
	v_mov_b32_e32 v17, s11
	s_waitcnt vmcnt(1)
	v_add_u32_e32 v0, 0, v0
	ds_read2_b32 v[18:19], v0 offset0:64 offset1:65
	s_waitcnt vmcnt(0)
	ds_read2st64_b32 v[20:21], v13 offset1:17
	ds_read_b32 v0, v0 offset:4608
	v_ashrrev_i32_e32 v13, 31, v12
	v_lshlrev_b64 v[12:13], 3, v[12:13]
	v_add_co_u32_e32 v12, vcc, s10, v12
	s_waitcnt lgkmcnt(1)
	v_cvt_f32_f16_sdwa v23, v20 dst_sel:DWORD dst_unused:UNUSED_PAD src0_sel:WORD_1
	v_cvt_f32_f16_e32 v22, v20
	v_cvt_f32_f16_sdwa v27, v21 dst_sel:DWORD dst_unused:UNUSED_PAD src0_sel:WORD_1
	v_cvt_f32_f16_e32 v26, v21
	v_addc_co_u32_e32 v13, vcc, v17, v13, vcc
	v_pk_fma_f32 v[22:23], v[18:19], v[22:23], 0 op_sel_hi:[0,1,0]
	s_waitcnt lgkmcnt(0)
	v_pk_fma_f32 v[20:21], v[0:1], v[26:27], v[22:23] op_sel_hi:[0,1,1]
	v_div_scale_f32 v0, s[34:35], v19, v19, v21
	v_rcp_f32_e32 v17, v0
	v_fma_f32 v18, -v0, v17, 1.0
	v_fmac_f32_e32 v17, v18, v17
	v_div_scale_f32 v18, vcc, v21, v19, v21
	v_mul_f32_e32 v22, v18, v17
	v_fma_f32 v23, -v0, v22, v18
	v_fmac_f32_e32 v22, v23, v17
	v_fma_f32 v0, -v0, v22, v18
	v_div_fmas_f32 v0, v0, v17, v22
	v_div_fixup_f32 v21, v0, v19, v21
	v_div_scale_f32 v0, s[34:35], v19, v19, v20
	v_rcp_f32_e32 v17, v0
	v_fma_f32 v18, -v0, v17, 1.0
	v_fmac_f32_e32 v17, v18, v17
	v_div_scale_f32 v18, vcc, v20, v19, v20
	v_mul_f32_e32 v22, v18, v17
	v_fma_f32 v23, -v0, v22, v18
	v_fmac_f32_e32 v22, v23, v17
	v_fma_f32 v0, -v0, v22, v18
	v_div_fmas_f32 v0, v0, v17, v22
	v_div_fixup_f32 v20, v0, v19, v20
	v_mov_b32_e32 v0, 0
	global_store_dwordx2 v[12:13], v[20:21], off
.LBB30_431:                             ;   in Loop: Header=BB30_14 Depth=1
	s_or_b64 exec, exec, s[76:77]
	v_cmp_gt_i32_e32 vcc, s53, v0
	s_mov_b64 s[76:77], -1
	s_and_saveexec_b64 s[78:79], vcc
; %bb.432:                              ;   in Loop: Header=BB30_14 Depth=1
	v_cmp_eq_u32_e32 vcc, 0, v0
	s_orn2_b64 s[76:77], vcc, exec
; %bb.433:                              ;   in Loop: Header=BB30_14 Depth=1
	s_or_b64 exec, exec, s[78:79]
	s_and_b64 exec, exec, s[76:77]
	s_cbranch_execz .LBB30_481
; %bb.434:                              ;   in Loop: Header=BB30_14 Depth=1
	buffer_load_dword v0, off, s[96:99], 0 offset:120 ; 4-byte Folded Reload
	s_waitcnt vmcnt(0)
	v_add_u32_e32 v12, s80, v0
	v_cmp_gt_i32_e32 vcc, s28, v12
	s_and_b64 s[34:35], vcc, s[8:9]
	v_mov_b32_e32 v0, 0x47
	s_and_saveexec_b64 s[76:77], s[34:35]
	s_cbranch_execz .LBB30_436
; %bb.435:                              ;   in Loop: Header=BB30_14 Depth=1
	buffer_load_dword v0, off, s[96:99], 0 offset:124 ; 4-byte Folded Reload
	v_mad_u64_u32 v[12:13], s[34:35], v12, s29, v[66:67]
	buffer_load_dword v13, off, s[96:99], 0 offset:128 ; 4-byte Folded Reload
	v_lshl_add_u32 v12, v12, 7, v95
	v_mov_b32_e32 v17, s11
	s_waitcnt vmcnt(1)
	v_add_u32_e32 v0, 0, v0
	ds_read2_b32 v[18:19], v0 offset0:64 offset1:65
	s_waitcnt vmcnt(0)
	ds_read2st64_b32 v[20:21], v13 offset1:17
	ds_read_b32 v0, v0 offset:4608
	v_ashrrev_i32_e32 v13, 31, v12
	v_lshlrev_b64 v[12:13], 3, v[12:13]
	v_add_co_u32_e32 v12, vcc, s10, v12
	s_waitcnt lgkmcnt(1)
	v_cvt_f32_f16_sdwa v23, v20 dst_sel:DWORD dst_unused:UNUSED_PAD src0_sel:WORD_1
	v_cvt_f32_f16_e32 v22, v20
	v_cvt_f32_f16_sdwa v27, v21 dst_sel:DWORD dst_unused:UNUSED_PAD src0_sel:WORD_1
	v_cvt_f32_f16_e32 v26, v21
	v_addc_co_u32_e32 v13, vcc, v17, v13, vcc
	v_pk_fma_f32 v[22:23], v[18:19], v[22:23], 0 op_sel_hi:[0,1,0]
	s_waitcnt lgkmcnt(0)
	v_pk_fma_f32 v[20:21], v[0:1], v[26:27], v[22:23] op_sel_hi:[0,1,1]
	v_div_scale_f32 v0, s[34:35], v19, v19, v21
	v_rcp_f32_e32 v17, v0
	v_fma_f32 v18, -v0, v17, 1.0
	v_fmac_f32_e32 v17, v18, v17
	v_div_scale_f32 v18, vcc, v21, v19, v21
	v_mul_f32_e32 v22, v18, v17
	v_fma_f32 v23, -v0, v22, v18
	v_fmac_f32_e32 v22, v23, v17
	v_fma_f32 v0, -v0, v22, v18
	v_div_fmas_f32 v0, v0, v17, v22
	v_div_fixup_f32 v21, v0, v19, v21
	v_div_scale_f32 v0, s[34:35], v19, v19, v20
	v_rcp_f32_e32 v17, v0
	v_fma_f32 v18, -v0, v17, 1.0
	v_fmac_f32_e32 v17, v18, v17
	v_div_scale_f32 v18, vcc, v20, v19, v20
	v_mul_f32_e32 v22, v18, v17
	v_fma_f32 v23, -v0, v22, v18
	v_fmac_f32_e32 v22, v23, v17
	v_fma_f32 v0, -v0, v22, v18
	v_div_fmas_f32 v0, v0, v17, v22
	v_div_fixup_f32 v20, v0, v19, v20
	v_mov_b32_e32 v0, 0
	global_store_dwordx2 v[12:13], v[20:21], off
.LBB30_436:                             ;   in Loop: Header=BB30_14 Depth=1
	s_or_b64 exec, exec, s[76:77]
	v_cmp_gt_i32_e32 vcc, s53, v0
	s_mov_b64 s[76:77], -1
	s_and_saveexec_b64 s[78:79], vcc
; %bb.437:                              ;   in Loop: Header=BB30_14 Depth=1
	v_cmp_eq_u32_e32 vcc, 0, v0
	s_orn2_b64 s[76:77], vcc, exec
; %bb.438:                              ;   in Loop: Header=BB30_14 Depth=1
	s_or_b64 exec, exec, s[78:79]
	s_and_b64 exec, exec, s[76:77]
	s_cbranch_execz .LBB30_481
; %bb.439:                              ;   in Loop: Header=BB30_14 Depth=1
	buffer_load_dword v0, off, s[96:99], 0 offset:132 ; 4-byte Folded Reload
	s_waitcnt vmcnt(0)
	v_add_u32_e32 v12, s80, v0
	v_cmp_gt_i32_e32 vcc, s28, v12
	s_and_b64 s[34:35], vcc, s[8:9]
	v_mov_b32_e32 v0, 0x47
	s_and_saveexec_b64 s[76:77], s[34:35]
	s_cbranch_execz .LBB30_441
; %bb.440:                              ;   in Loop: Header=BB30_14 Depth=1
	buffer_load_dword v0, off, s[96:99], 0 offset:136 ; 4-byte Folded Reload
	v_mad_u64_u32 v[12:13], s[34:35], v12, s29, v[66:67]
	buffer_load_dword v13, off, s[96:99], 0 offset:140 ; 4-byte Folded Reload
	v_lshl_add_u32 v12, v12, 7, v95
	v_mov_b32_e32 v17, s11
	s_waitcnt vmcnt(1)
	v_add_u32_e32 v0, 0, v0
	ds_read2_b32 v[18:19], v0 offset0:64 offset1:65
	s_waitcnt vmcnt(0)
	ds_read2st64_b32 v[20:21], v13 offset1:17
	ds_read_b32 v0, v0 offset:4608
	v_ashrrev_i32_e32 v13, 31, v12
	v_lshlrev_b64 v[12:13], 3, v[12:13]
	v_add_co_u32_e32 v12, vcc, s10, v12
	s_waitcnt lgkmcnt(1)
	v_cvt_f32_f16_sdwa v23, v20 dst_sel:DWORD dst_unused:UNUSED_PAD src0_sel:WORD_1
	v_cvt_f32_f16_e32 v22, v20
	v_cvt_f32_f16_sdwa v27, v21 dst_sel:DWORD dst_unused:UNUSED_PAD src0_sel:WORD_1
	v_cvt_f32_f16_e32 v26, v21
	v_addc_co_u32_e32 v13, vcc, v17, v13, vcc
	v_pk_fma_f32 v[22:23], v[18:19], v[22:23], 0 op_sel_hi:[0,1,0]
	s_waitcnt lgkmcnt(0)
	v_pk_fma_f32 v[20:21], v[0:1], v[26:27], v[22:23] op_sel_hi:[0,1,1]
	v_div_scale_f32 v0, s[34:35], v19, v19, v21
	v_rcp_f32_e32 v17, v0
	v_fma_f32 v18, -v0, v17, 1.0
	v_fmac_f32_e32 v17, v18, v17
	v_div_scale_f32 v18, vcc, v21, v19, v21
	v_mul_f32_e32 v22, v18, v17
	v_fma_f32 v23, -v0, v22, v18
	v_fmac_f32_e32 v22, v23, v17
	v_fma_f32 v0, -v0, v22, v18
	v_div_fmas_f32 v0, v0, v17, v22
	v_div_fixup_f32 v21, v0, v19, v21
	v_div_scale_f32 v0, s[34:35], v19, v19, v20
	v_rcp_f32_e32 v17, v0
	v_fma_f32 v18, -v0, v17, 1.0
	v_fmac_f32_e32 v17, v18, v17
	v_div_scale_f32 v18, vcc, v20, v19, v20
	v_mul_f32_e32 v22, v18, v17
	v_fma_f32 v23, -v0, v22, v18
	v_fmac_f32_e32 v22, v23, v17
	v_fma_f32 v0, -v0, v22, v18
	v_div_fmas_f32 v0, v0, v17, v22
	v_div_fixup_f32 v20, v0, v19, v20
	v_mov_b32_e32 v0, 0
	global_store_dwordx2 v[12:13], v[20:21], off
.LBB30_441:                             ;   in Loop: Header=BB30_14 Depth=1
	s_or_b64 exec, exec, s[76:77]
	v_cmp_gt_i32_e32 vcc, s53, v0
	s_mov_b64 s[76:77], -1
	s_and_saveexec_b64 s[78:79], vcc
; %bb.442:                              ;   in Loop: Header=BB30_14 Depth=1
	v_cmp_eq_u32_e32 vcc, 0, v0
	s_orn2_b64 s[76:77], vcc, exec
; %bb.443:                              ;   in Loop: Header=BB30_14 Depth=1
	s_or_b64 exec, exec, s[78:79]
	s_and_b64 exec, exec, s[76:77]
	s_cbranch_execz .LBB30_481
; %bb.444:                              ;   in Loop: Header=BB30_14 Depth=1
	buffer_load_dword v0, off, s[96:99], 0 offset:144 ; 4-byte Folded Reload
	s_waitcnt vmcnt(0)
	v_add_u32_e32 v12, s80, v0
	v_cmp_gt_i32_e32 vcc, s28, v12
	s_and_b64 s[34:35], vcc, s[8:9]
	v_mov_b32_e32 v0, 0x47
	s_and_saveexec_b64 s[76:77], s[34:35]
	s_cbranch_execz .LBB30_446
; %bb.445:                              ;   in Loop: Header=BB30_14 Depth=1
	buffer_load_dword v0, off, s[96:99], 0 offset:148 ; 4-byte Folded Reload
	v_mad_u64_u32 v[12:13], s[34:35], v12, s29, v[66:67]
	buffer_load_dword v13, off, s[96:99], 0 offset:152 ; 4-byte Folded Reload
	v_lshl_add_u32 v12, v12, 7, v95
	v_mov_b32_e32 v17, s11
	s_waitcnt vmcnt(1)
	v_add_u32_e32 v0, 0, v0
	ds_read2_b32 v[18:19], v0 offset0:64 offset1:65
	s_waitcnt vmcnt(0)
	ds_read2st64_b32 v[20:21], v13 offset1:17
	ds_read_b32 v0, v0 offset:4608
	v_ashrrev_i32_e32 v13, 31, v12
	v_lshlrev_b64 v[12:13], 3, v[12:13]
	v_add_co_u32_e32 v12, vcc, s10, v12
	s_waitcnt lgkmcnt(1)
	v_cvt_f32_f16_sdwa v23, v20 dst_sel:DWORD dst_unused:UNUSED_PAD src0_sel:WORD_1
	v_cvt_f32_f16_e32 v22, v20
	v_cvt_f32_f16_sdwa v27, v21 dst_sel:DWORD dst_unused:UNUSED_PAD src0_sel:WORD_1
	v_cvt_f32_f16_e32 v26, v21
	v_addc_co_u32_e32 v13, vcc, v17, v13, vcc
	v_pk_fma_f32 v[22:23], v[18:19], v[22:23], 0 op_sel_hi:[0,1,0]
	s_waitcnt lgkmcnt(0)
	v_pk_fma_f32 v[20:21], v[0:1], v[26:27], v[22:23] op_sel_hi:[0,1,1]
	v_div_scale_f32 v0, s[34:35], v19, v19, v21
	v_rcp_f32_e32 v17, v0
	v_fma_f32 v18, -v0, v17, 1.0
	v_fmac_f32_e32 v17, v18, v17
	v_div_scale_f32 v18, vcc, v21, v19, v21
	v_mul_f32_e32 v22, v18, v17
	v_fma_f32 v23, -v0, v22, v18
	v_fmac_f32_e32 v22, v23, v17
	v_fma_f32 v0, -v0, v22, v18
	v_div_fmas_f32 v0, v0, v17, v22
	v_div_fixup_f32 v21, v0, v19, v21
	v_div_scale_f32 v0, s[34:35], v19, v19, v20
	v_rcp_f32_e32 v17, v0
	v_fma_f32 v18, -v0, v17, 1.0
	v_fmac_f32_e32 v17, v18, v17
	v_div_scale_f32 v18, vcc, v20, v19, v20
	v_mul_f32_e32 v22, v18, v17
	v_fma_f32 v23, -v0, v22, v18
	v_fmac_f32_e32 v22, v23, v17
	v_fma_f32 v0, -v0, v22, v18
	v_div_fmas_f32 v0, v0, v17, v22
	v_div_fixup_f32 v20, v0, v19, v20
	v_mov_b32_e32 v0, 0
	global_store_dwordx2 v[12:13], v[20:21], off
.LBB30_446:                             ;   in Loop: Header=BB30_14 Depth=1
	s_or_b64 exec, exec, s[76:77]
	v_cmp_gt_i32_e32 vcc, s53, v0
	s_mov_b64 s[76:77], -1
	s_and_saveexec_b64 s[78:79], vcc
; %bb.447:                              ;   in Loop: Header=BB30_14 Depth=1
	v_cmp_eq_u32_e32 vcc, 0, v0
	s_orn2_b64 s[76:77], vcc, exec
; %bb.448:                              ;   in Loop: Header=BB30_14 Depth=1
	s_or_b64 exec, exec, s[78:79]
	s_and_b64 exec, exec, s[76:77]
	s_cbranch_execz .LBB30_481
; %bb.449:                              ;   in Loop: Header=BB30_14 Depth=1
	buffer_load_dword v0, off, s[96:99], 0 offset:156 ; 4-byte Folded Reload
	s_waitcnt vmcnt(0)
	v_add_u32_e32 v12, s80, v0
	v_cmp_gt_i32_e32 vcc, s28, v12
	s_and_b64 s[34:35], vcc, s[8:9]
	v_mov_b32_e32 v0, 0x47
	s_and_saveexec_b64 s[76:77], s[34:35]
	s_cbranch_execz .LBB30_451
; %bb.450:                              ;   in Loop: Header=BB30_14 Depth=1
	buffer_load_dword v0, off, s[96:99], 0 offset:160 ; 4-byte Folded Reload
	v_mad_u64_u32 v[12:13], s[34:35], v12, s29, v[66:67]
	buffer_load_dword v13, off, s[96:99], 0 offset:164 ; 4-byte Folded Reload
	v_lshl_add_u32 v12, v12, 7, v95
	v_mov_b32_e32 v17, s11
	s_waitcnt vmcnt(1)
	v_add_u32_e32 v0, 0, v0
	ds_read2_b32 v[18:19], v0 offset0:64 offset1:65
	s_waitcnt vmcnt(0)
	ds_read2st64_b32 v[20:21], v13 offset1:17
	ds_read_b32 v0, v0 offset:4608
	v_ashrrev_i32_e32 v13, 31, v12
	v_lshlrev_b64 v[12:13], 3, v[12:13]
	v_add_co_u32_e32 v12, vcc, s10, v12
	s_waitcnt lgkmcnt(1)
	v_cvt_f32_f16_sdwa v23, v20 dst_sel:DWORD dst_unused:UNUSED_PAD src0_sel:WORD_1
	v_cvt_f32_f16_e32 v22, v20
	v_cvt_f32_f16_sdwa v27, v21 dst_sel:DWORD dst_unused:UNUSED_PAD src0_sel:WORD_1
	v_cvt_f32_f16_e32 v26, v21
	v_addc_co_u32_e32 v13, vcc, v17, v13, vcc
	v_pk_fma_f32 v[22:23], v[18:19], v[22:23], 0 op_sel_hi:[0,1,0]
	s_waitcnt lgkmcnt(0)
	v_pk_fma_f32 v[20:21], v[0:1], v[26:27], v[22:23] op_sel_hi:[0,1,1]
	v_div_scale_f32 v0, s[34:35], v19, v19, v21
	v_rcp_f32_e32 v17, v0
	v_fma_f32 v18, -v0, v17, 1.0
	v_fmac_f32_e32 v17, v18, v17
	v_div_scale_f32 v18, vcc, v21, v19, v21
	v_mul_f32_e32 v22, v18, v17
	v_fma_f32 v23, -v0, v22, v18
	v_fmac_f32_e32 v22, v23, v17
	v_fma_f32 v0, -v0, v22, v18
	v_div_fmas_f32 v0, v0, v17, v22
	v_div_fixup_f32 v21, v0, v19, v21
	v_div_scale_f32 v0, s[34:35], v19, v19, v20
	v_rcp_f32_e32 v17, v0
	v_fma_f32 v18, -v0, v17, 1.0
	v_fmac_f32_e32 v17, v18, v17
	v_div_scale_f32 v18, vcc, v20, v19, v20
	v_mul_f32_e32 v22, v18, v17
	v_fma_f32 v23, -v0, v22, v18
	v_fmac_f32_e32 v22, v23, v17
	v_fma_f32 v0, -v0, v22, v18
	v_div_fmas_f32 v0, v0, v17, v22
	v_div_fixup_f32 v20, v0, v19, v20
	v_mov_b32_e32 v0, 0
	global_store_dwordx2 v[12:13], v[20:21], off
.LBB30_451:                             ;   in Loop: Header=BB30_14 Depth=1
	s_or_b64 exec, exec, s[76:77]
	v_cmp_gt_i32_e32 vcc, s53, v0
	s_mov_b64 s[76:77], -1
	s_and_saveexec_b64 s[78:79], vcc
; %bb.452:                              ;   in Loop: Header=BB30_14 Depth=1
	v_cmp_eq_u32_e32 vcc, 0, v0
	s_orn2_b64 s[76:77], vcc, exec
; %bb.453:                              ;   in Loop: Header=BB30_14 Depth=1
	s_or_b64 exec, exec, s[78:79]
	s_and_b64 exec, exec, s[76:77]
	s_cbranch_execz .LBB30_481
; %bb.454:                              ;   in Loop: Header=BB30_14 Depth=1
	buffer_load_dword v0, off, s[96:99], 0 offset:168 ; 4-byte Folded Reload
	s_waitcnt vmcnt(0)
	v_add_u32_e32 v12, s80, v0
	v_cmp_gt_i32_e32 vcc, s28, v12
	s_and_b64 s[34:35], vcc, s[8:9]
	v_mov_b32_e32 v0, 0x47
	s_and_saveexec_b64 s[76:77], s[34:35]
	s_cbranch_execz .LBB30_456
; %bb.455:                              ;   in Loop: Header=BB30_14 Depth=1
	buffer_load_dword v0, off, s[96:99], 0 offset:172 ; 4-byte Folded Reload
	v_mad_u64_u32 v[12:13], s[34:35], v12, s29, v[66:67]
	buffer_load_dword v13, off, s[96:99], 0 offset:176 ; 4-byte Folded Reload
	v_lshl_add_u32 v12, v12, 7, v95
	v_mov_b32_e32 v17, s11
	s_waitcnt vmcnt(1)
	v_add_u32_e32 v0, 0, v0
	ds_read2_b32 v[18:19], v0 offset0:64 offset1:65
	s_waitcnt vmcnt(0)
	ds_read2st64_b32 v[20:21], v13 offset1:17
	ds_read_b32 v0, v0 offset:4608
	v_ashrrev_i32_e32 v13, 31, v12
	v_lshlrev_b64 v[12:13], 3, v[12:13]
	v_add_co_u32_e32 v12, vcc, s10, v12
	s_waitcnt lgkmcnt(1)
	v_cvt_f32_f16_sdwa v23, v20 dst_sel:DWORD dst_unused:UNUSED_PAD src0_sel:WORD_1
	v_cvt_f32_f16_e32 v22, v20
	v_cvt_f32_f16_sdwa v27, v21 dst_sel:DWORD dst_unused:UNUSED_PAD src0_sel:WORD_1
	v_cvt_f32_f16_e32 v26, v21
	v_addc_co_u32_e32 v13, vcc, v17, v13, vcc
	v_pk_fma_f32 v[22:23], v[18:19], v[22:23], 0 op_sel_hi:[0,1,0]
	s_waitcnt lgkmcnt(0)
	v_pk_fma_f32 v[20:21], v[0:1], v[26:27], v[22:23] op_sel_hi:[0,1,1]
	v_div_scale_f32 v0, s[34:35], v19, v19, v21
	v_rcp_f32_e32 v17, v0
	v_fma_f32 v18, -v0, v17, 1.0
	v_fmac_f32_e32 v17, v18, v17
	v_div_scale_f32 v18, vcc, v21, v19, v21
	v_mul_f32_e32 v22, v18, v17
	v_fma_f32 v23, -v0, v22, v18
	v_fmac_f32_e32 v22, v23, v17
	v_fma_f32 v0, -v0, v22, v18
	v_div_fmas_f32 v0, v0, v17, v22
	v_div_fixup_f32 v21, v0, v19, v21
	v_div_scale_f32 v0, s[34:35], v19, v19, v20
	v_rcp_f32_e32 v17, v0
	v_fma_f32 v18, -v0, v17, 1.0
	v_fmac_f32_e32 v17, v18, v17
	v_div_scale_f32 v18, vcc, v20, v19, v20
	v_mul_f32_e32 v22, v18, v17
	v_fma_f32 v23, -v0, v22, v18
	v_fmac_f32_e32 v22, v23, v17
	v_fma_f32 v0, -v0, v22, v18
	v_div_fmas_f32 v0, v0, v17, v22
	v_div_fixup_f32 v20, v0, v19, v20
	v_mov_b32_e32 v0, 0
	global_store_dwordx2 v[12:13], v[20:21], off
.LBB30_456:                             ;   in Loop: Header=BB30_14 Depth=1
	s_or_b64 exec, exec, s[76:77]
	v_cmp_gt_i32_e32 vcc, s53, v0
	s_mov_b64 s[76:77], -1
	s_and_saveexec_b64 s[78:79], vcc
; %bb.457:                              ;   in Loop: Header=BB30_14 Depth=1
	v_cmp_eq_u32_e32 vcc, 0, v0
	s_orn2_b64 s[76:77], vcc, exec
; %bb.458:                              ;   in Loop: Header=BB30_14 Depth=1
	s_or_b64 exec, exec, s[78:79]
	s_and_b64 exec, exec, s[76:77]
	s_cbranch_execz .LBB30_481
; %bb.459:                              ;   in Loop: Header=BB30_14 Depth=1
	buffer_load_dword v0, off, s[96:99], 0 offset:180 ; 4-byte Folded Reload
	s_waitcnt vmcnt(0)
	v_add_u32_e32 v12, s80, v0
	v_cmp_gt_i32_e32 vcc, s28, v12
	s_and_b64 s[34:35], vcc, s[8:9]
	v_mov_b32_e32 v0, 0x47
	s_and_saveexec_b64 s[76:77], s[34:35]
	s_cbranch_execz .LBB30_461
; %bb.460:                              ;   in Loop: Header=BB30_14 Depth=1
	buffer_load_dword v0, off, s[96:99], 0 offset:184 ; 4-byte Folded Reload
	v_mad_u64_u32 v[12:13], s[34:35], v12, s29, v[66:67]
	buffer_load_dword v13, off, s[96:99], 0 offset:188 ; 4-byte Folded Reload
	v_lshl_add_u32 v12, v12, 7, v95
	v_mov_b32_e32 v17, s11
	s_waitcnt vmcnt(1)
	v_add_u32_e32 v0, 0, v0
	ds_read2_b32 v[18:19], v0 offset0:64 offset1:65
	s_waitcnt vmcnt(0)
	ds_read2st64_b32 v[20:21], v13 offset1:17
	ds_read_b32 v0, v0 offset:4608
	v_ashrrev_i32_e32 v13, 31, v12
	v_lshlrev_b64 v[12:13], 3, v[12:13]
	v_add_co_u32_e32 v12, vcc, s10, v12
	s_waitcnt lgkmcnt(1)
	v_cvt_f32_f16_sdwa v23, v20 dst_sel:DWORD dst_unused:UNUSED_PAD src0_sel:WORD_1
	v_cvt_f32_f16_e32 v22, v20
	v_cvt_f32_f16_sdwa v27, v21 dst_sel:DWORD dst_unused:UNUSED_PAD src0_sel:WORD_1
	v_cvt_f32_f16_e32 v26, v21
	v_addc_co_u32_e32 v13, vcc, v17, v13, vcc
	v_pk_fma_f32 v[22:23], v[18:19], v[22:23], 0 op_sel_hi:[0,1,0]
	s_waitcnt lgkmcnt(0)
	v_pk_fma_f32 v[20:21], v[0:1], v[26:27], v[22:23] op_sel_hi:[0,1,1]
	v_div_scale_f32 v0, s[34:35], v19, v19, v21
	v_rcp_f32_e32 v17, v0
	v_fma_f32 v18, -v0, v17, 1.0
	v_fmac_f32_e32 v17, v18, v17
	v_div_scale_f32 v18, vcc, v21, v19, v21
	v_mul_f32_e32 v22, v18, v17
	v_fma_f32 v23, -v0, v22, v18
	v_fmac_f32_e32 v22, v23, v17
	v_fma_f32 v0, -v0, v22, v18
	v_div_fmas_f32 v0, v0, v17, v22
	v_div_fixup_f32 v21, v0, v19, v21
	v_div_scale_f32 v0, s[34:35], v19, v19, v20
	v_rcp_f32_e32 v17, v0
	v_fma_f32 v18, -v0, v17, 1.0
	v_fmac_f32_e32 v17, v18, v17
	v_div_scale_f32 v18, vcc, v20, v19, v20
	v_mul_f32_e32 v22, v18, v17
	v_fma_f32 v23, -v0, v22, v18
	v_fmac_f32_e32 v22, v23, v17
	v_fma_f32 v0, -v0, v22, v18
	v_div_fmas_f32 v0, v0, v17, v22
	v_div_fixup_f32 v20, v0, v19, v20
	v_mov_b32_e32 v0, 0
	global_store_dwordx2 v[12:13], v[20:21], off
.LBB30_461:                             ;   in Loop: Header=BB30_14 Depth=1
	s_or_b64 exec, exec, s[76:77]
	v_cmp_gt_i32_e32 vcc, s53, v0
	s_mov_b64 s[76:77], -1
	s_and_saveexec_b64 s[78:79], vcc
; %bb.462:                              ;   in Loop: Header=BB30_14 Depth=1
	v_cmp_eq_u32_e32 vcc, 0, v0
	s_orn2_b64 s[76:77], vcc, exec
; %bb.463:                              ;   in Loop: Header=BB30_14 Depth=1
	s_or_b64 exec, exec, s[78:79]
	s_and_b64 exec, exec, s[76:77]
	s_cbranch_execz .LBB30_481
; %bb.464:                              ;   in Loop: Header=BB30_14 Depth=1
	buffer_load_dword v0, off, s[96:99], 0 offset:192 ; 4-byte Folded Reload
	s_waitcnt vmcnt(0)
	v_add_u32_e32 v12, s80, v0
	v_cmp_gt_i32_e32 vcc, s28, v12
	s_and_b64 s[34:35], vcc, s[8:9]
	v_mov_b32_e32 v0, 0x47
	s_and_saveexec_b64 s[76:77], s[34:35]
	s_cbranch_execz .LBB30_466
; %bb.465:                              ;   in Loop: Header=BB30_14 Depth=1
	buffer_load_dword v0, off, s[96:99], 0 offset:196 ; 4-byte Folded Reload
	v_mad_u64_u32 v[12:13], s[34:35], v12, s29, v[66:67]
	buffer_load_dword v13, off, s[96:99], 0 offset:200 ; 4-byte Folded Reload
	v_lshl_add_u32 v12, v12, 7, v95
	v_mov_b32_e32 v17, s11
	s_waitcnt vmcnt(1)
	v_add_u32_e32 v0, 0, v0
	ds_read2_b32 v[18:19], v0 offset0:64 offset1:65
	s_waitcnt vmcnt(0)
	ds_read2st64_b32 v[20:21], v13 offset1:17
	ds_read_b32 v0, v0 offset:4608
	v_ashrrev_i32_e32 v13, 31, v12
	v_lshlrev_b64 v[12:13], 3, v[12:13]
	v_add_co_u32_e32 v12, vcc, s10, v12
	s_waitcnt lgkmcnt(1)
	v_cvt_f32_f16_sdwa v23, v20 dst_sel:DWORD dst_unused:UNUSED_PAD src0_sel:WORD_1
	v_cvt_f32_f16_e32 v22, v20
	v_cvt_f32_f16_sdwa v27, v21 dst_sel:DWORD dst_unused:UNUSED_PAD src0_sel:WORD_1
	v_cvt_f32_f16_e32 v26, v21
	v_addc_co_u32_e32 v13, vcc, v17, v13, vcc
	v_pk_fma_f32 v[22:23], v[18:19], v[22:23], 0 op_sel_hi:[0,1,0]
	s_waitcnt lgkmcnt(0)
	v_pk_fma_f32 v[20:21], v[0:1], v[26:27], v[22:23] op_sel_hi:[0,1,1]
	v_div_scale_f32 v0, s[34:35], v19, v19, v21
	v_rcp_f32_e32 v17, v0
	v_fma_f32 v18, -v0, v17, 1.0
	v_fmac_f32_e32 v17, v18, v17
	v_div_scale_f32 v18, vcc, v21, v19, v21
	v_mul_f32_e32 v22, v18, v17
	v_fma_f32 v23, -v0, v22, v18
	v_fmac_f32_e32 v22, v23, v17
	v_fma_f32 v0, -v0, v22, v18
	v_div_fmas_f32 v0, v0, v17, v22
	v_div_fixup_f32 v21, v0, v19, v21
	v_div_scale_f32 v0, s[34:35], v19, v19, v20
	v_rcp_f32_e32 v17, v0
	v_fma_f32 v18, -v0, v17, 1.0
	v_fmac_f32_e32 v17, v18, v17
	v_div_scale_f32 v18, vcc, v20, v19, v20
	v_mul_f32_e32 v22, v18, v17
	v_fma_f32 v23, -v0, v22, v18
	v_fmac_f32_e32 v22, v23, v17
	v_fma_f32 v0, -v0, v22, v18
	v_div_fmas_f32 v0, v0, v17, v22
	v_div_fixup_f32 v20, v0, v19, v20
	v_mov_b32_e32 v0, 0
	global_store_dwordx2 v[12:13], v[20:21], off
.LBB30_466:                             ;   in Loop: Header=BB30_14 Depth=1
	s_or_b64 exec, exec, s[76:77]
	v_cmp_gt_i32_e32 vcc, s53, v0
	s_mov_b64 s[76:77], -1
	s_and_saveexec_b64 s[78:79], vcc
; %bb.467:                              ;   in Loop: Header=BB30_14 Depth=1
	v_cmp_eq_u32_e32 vcc, 0, v0
	s_orn2_b64 s[76:77], vcc, exec
; %bb.468:                              ;   in Loop: Header=BB30_14 Depth=1
	s_or_b64 exec, exec, s[78:79]
	s_and_b64 exec, exec, s[76:77]
	s_cbranch_execz .LBB30_481
; %bb.469:                              ;   in Loop: Header=BB30_14 Depth=1
	buffer_load_dword v0, off, s[96:99], 0 offset:204 ; 4-byte Folded Reload
	s_waitcnt vmcnt(0)
	v_add_u32_e32 v12, s80, v0
	v_cmp_gt_i32_e32 vcc, s28, v12
	s_and_b64 s[34:35], vcc, s[8:9]
	v_mov_b32_e32 v0, 0x47
	s_and_saveexec_b64 s[76:77], s[34:35]
	s_cbranch_execz .LBB30_471
; %bb.470:                              ;   in Loop: Header=BB30_14 Depth=1
	buffer_load_dword v0, off, s[96:99], 0 offset:208 ; 4-byte Folded Reload
	v_mad_u64_u32 v[12:13], s[34:35], v12, s29, v[66:67]
	buffer_load_dword v13, off, s[96:99], 0 offset:212 ; 4-byte Folded Reload
	v_lshl_add_u32 v12, v12, 7, v95
	v_mov_b32_e32 v17, s11
	s_waitcnt vmcnt(1)
	v_add_u32_e32 v0, 0, v0
	ds_read2_b32 v[18:19], v0 offset0:64 offset1:65
	s_waitcnt vmcnt(0)
	ds_read2st64_b32 v[20:21], v13 offset1:17
	ds_read_b32 v0, v0 offset:4608
	v_ashrrev_i32_e32 v13, 31, v12
	v_lshlrev_b64 v[12:13], 3, v[12:13]
	v_add_co_u32_e32 v12, vcc, s10, v12
	s_waitcnt lgkmcnt(1)
	v_cvt_f32_f16_sdwa v23, v20 dst_sel:DWORD dst_unused:UNUSED_PAD src0_sel:WORD_1
	v_cvt_f32_f16_e32 v22, v20
	v_cvt_f32_f16_sdwa v27, v21 dst_sel:DWORD dst_unused:UNUSED_PAD src0_sel:WORD_1
	v_cvt_f32_f16_e32 v26, v21
	v_addc_co_u32_e32 v13, vcc, v17, v13, vcc
	v_pk_fma_f32 v[22:23], v[18:19], v[22:23], 0 op_sel_hi:[0,1,0]
	s_waitcnt lgkmcnt(0)
	v_pk_fma_f32 v[20:21], v[0:1], v[26:27], v[22:23] op_sel_hi:[0,1,1]
	v_div_scale_f32 v0, s[34:35], v19, v19, v21
	v_rcp_f32_e32 v17, v0
	v_fma_f32 v18, -v0, v17, 1.0
	v_fmac_f32_e32 v17, v18, v17
	v_div_scale_f32 v18, vcc, v21, v19, v21
	v_mul_f32_e32 v22, v18, v17
	v_fma_f32 v23, -v0, v22, v18
	v_fmac_f32_e32 v22, v23, v17
	v_fma_f32 v0, -v0, v22, v18
	v_div_fmas_f32 v0, v0, v17, v22
	v_div_fixup_f32 v21, v0, v19, v21
	v_div_scale_f32 v0, s[34:35], v19, v19, v20
	v_rcp_f32_e32 v17, v0
	v_fma_f32 v18, -v0, v17, 1.0
	v_fmac_f32_e32 v17, v18, v17
	v_div_scale_f32 v18, vcc, v20, v19, v20
	v_mul_f32_e32 v22, v18, v17
	v_fma_f32 v23, -v0, v22, v18
	v_fmac_f32_e32 v22, v23, v17
	v_fma_f32 v0, -v0, v22, v18
	v_div_fmas_f32 v0, v0, v17, v22
	v_div_fixup_f32 v20, v0, v19, v20
	v_mov_b32_e32 v0, 0
	global_store_dwordx2 v[12:13], v[20:21], off
.LBB30_471:                             ;   in Loop: Header=BB30_14 Depth=1
	s_or_b64 exec, exec, s[76:77]
	v_cmp_gt_i32_e32 vcc, s53, v0
	s_mov_b64 s[76:77], -1
	s_and_saveexec_b64 s[78:79], vcc
; %bb.472:                              ;   in Loop: Header=BB30_14 Depth=1
	v_cmp_eq_u32_e32 vcc, 0, v0
	s_orn2_b64 s[76:77], vcc, exec
; %bb.473:                              ;   in Loop: Header=BB30_14 Depth=1
	s_or_b64 exec, exec, s[78:79]
	s_and_b64 exec, exec, s[76:77]
	s_cbranch_execz .LBB30_481
; %bb.474:                              ;   in Loop: Header=BB30_14 Depth=1
	buffer_load_dword v0, off, s[96:99], 0 offset:216 ; 4-byte Folded Reload
	s_waitcnt vmcnt(0)
	v_add_u32_e32 v12, s80, v0
	v_cmp_gt_i32_e32 vcc, s28, v12
	s_and_b64 s[34:35], vcc, s[8:9]
	v_mov_b32_e32 v0, 0x47
	s_and_saveexec_b64 s[76:77], s[34:35]
	s_cbranch_execz .LBB30_476
; %bb.475:                              ;   in Loop: Header=BB30_14 Depth=1
	buffer_load_dword v0, off, s[96:99], 0 offset:220 ; 4-byte Folded Reload
	v_mad_u64_u32 v[12:13], s[34:35], v12, s29, v[66:67]
	buffer_load_dword v13, off, s[96:99], 0 offset:224 ; 4-byte Folded Reload
	v_lshl_add_u32 v12, v12, 7, v95
	v_mov_b32_e32 v17, s11
	s_waitcnt vmcnt(1)
	v_add_u32_e32 v0, 0, v0
	ds_read2_b32 v[18:19], v0 offset0:64 offset1:65
	s_waitcnt vmcnt(0)
	ds_read2st64_b32 v[20:21], v13 offset1:17
	ds_read_b32 v0, v0 offset:4608
	v_ashrrev_i32_e32 v13, 31, v12
	v_lshlrev_b64 v[12:13], 3, v[12:13]
	v_add_co_u32_e32 v12, vcc, s10, v12
	s_waitcnt lgkmcnt(1)
	v_cvt_f32_f16_sdwa v23, v20 dst_sel:DWORD dst_unused:UNUSED_PAD src0_sel:WORD_1
	v_cvt_f32_f16_e32 v22, v20
	v_cvt_f32_f16_sdwa v27, v21 dst_sel:DWORD dst_unused:UNUSED_PAD src0_sel:WORD_1
	v_cvt_f32_f16_e32 v26, v21
	v_addc_co_u32_e32 v13, vcc, v17, v13, vcc
	v_pk_fma_f32 v[22:23], v[18:19], v[22:23], 0 op_sel_hi:[0,1,0]
	s_waitcnt lgkmcnt(0)
	v_pk_fma_f32 v[20:21], v[0:1], v[26:27], v[22:23] op_sel_hi:[0,1,1]
	v_div_scale_f32 v0, s[34:35], v19, v19, v21
	v_rcp_f32_e32 v17, v0
	v_fma_f32 v18, -v0, v17, 1.0
	v_fmac_f32_e32 v17, v18, v17
	v_div_scale_f32 v18, vcc, v21, v19, v21
	v_mul_f32_e32 v22, v18, v17
	v_fma_f32 v23, -v0, v22, v18
	v_fmac_f32_e32 v22, v23, v17
	v_fma_f32 v0, -v0, v22, v18
	v_div_fmas_f32 v0, v0, v17, v22
	v_div_fixup_f32 v21, v0, v19, v21
	v_div_scale_f32 v0, s[34:35], v19, v19, v20
	v_rcp_f32_e32 v17, v0
	v_fma_f32 v18, -v0, v17, 1.0
	v_fmac_f32_e32 v17, v18, v17
	v_div_scale_f32 v18, vcc, v20, v19, v20
	v_mul_f32_e32 v22, v18, v17
	v_fma_f32 v23, -v0, v22, v18
	v_fmac_f32_e32 v22, v23, v17
	v_fma_f32 v0, -v0, v22, v18
	v_div_fmas_f32 v0, v0, v17, v22
	v_div_fixup_f32 v20, v0, v19, v20
	v_mov_b32_e32 v0, 0
	global_store_dwordx2 v[12:13], v[20:21], off
.LBB30_476:                             ;   in Loop: Header=BB30_14 Depth=1
	s_or_b64 exec, exec, s[76:77]
	v_cmp_gt_i32_e32 vcc, s53, v0
	s_mov_b64 s[76:77], -1
	s_and_saveexec_b64 s[78:79], vcc
; %bb.477:                              ;   in Loop: Header=BB30_14 Depth=1
	v_cmp_eq_u32_e32 vcc, 0, v0
	s_orn2_b64 s[76:77], vcc, exec
; %bb.478:                              ;   in Loop: Header=BB30_14 Depth=1
	s_or_b64 exec, exec, s[78:79]
	s_and_b64 exec, exec, s[76:77]
	s_cbranch_execz .LBB30_481
; %bb.479:                              ;   in Loop: Header=BB30_14 Depth=1
	buffer_load_dword v0, off, s[96:99], 0 offset:228 ; 4-byte Folded Reload
	s_waitcnt vmcnt(0)
	v_add_u32_e32 v0, s80, v0
	v_cmp_gt_i32_e32 vcc, s28, v0
	s_and_b64 s[8:9], vcc, s[8:9]
	s_and_b64 exec, exec, s[8:9]
	s_cbranch_execz .LBB30_481
; %bb.480:                              ;   in Loop: Header=BB30_14 Depth=1
	buffer_load_dword v12, off, s[96:99], 0 offset:232 ; 4-byte Folded Reload
	v_mad_u64_u32 v[18:19], s[8:9], v0, s29, v[66:67]
	buffer_load_dword v0, off, s[96:99], 0 offset:236 ; 4-byte Folded Reload
	v_lshl_add_u32 v18, v18, 7, v95
	v_ashrrev_i32_e32 v19, 31, v18
	v_lshlrev_b64 v[18:19], 3, v[18:19]
	v_add_co_u32_e32 v18, vcc, s10, v18
	s_waitcnt vmcnt(1)
	v_add_u32_e32 v17, 0, v12
	ds_read2_b32 v[12:13], v17 offset0:64 offset1:65
	s_waitcnt vmcnt(0)
	ds_read2st64_b32 v[20:21], v0 offset1:17
	ds_read_b32 v0, v17 offset:4608
	v_mov_b32_e32 v17, s11
	v_addc_co_u32_e32 v19, vcc, v17, v19, vcc
	s_waitcnt lgkmcnt(1)
	v_cvt_f32_f16_sdwa v23, v20 dst_sel:DWORD dst_unused:UNUSED_PAD src0_sel:WORD_1
	v_cvt_f32_f16_e32 v22, v20
	v_cvt_f32_f16_sdwa v27, v21 dst_sel:DWORD dst_unused:UNUSED_PAD src0_sel:WORD_1
	v_cvt_f32_f16_e32 v26, v21
	v_pk_fma_f32 v[22:23], v[12:13], v[22:23], 0 op_sel_hi:[0,1,0]
	s_waitcnt lgkmcnt(0)
	v_pk_fma_f32 v[20:21], v[0:1], v[26:27], v[22:23] op_sel_hi:[0,1,1]
	v_div_scale_f32 v0, s[8:9], v13, v13, v21
	v_rcp_f32_e32 v12, v0
	v_fma_f32 v17, -v0, v12, 1.0
	v_fmac_f32_e32 v12, v17, v12
	v_div_scale_f32 v17, vcc, v21, v13, v21
	v_mul_f32_e32 v22, v17, v12
	v_fma_f32 v23, -v0, v22, v17
	v_fmac_f32_e32 v22, v23, v12
	v_fma_f32 v0, -v0, v22, v17
	v_div_fmas_f32 v0, v0, v12, v22
	v_div_fixup_f32 v21, v0, v13, v21
	v_div_scale_f32 v0, s[8:9], v13, v13, v20
	v_rcp_f32_e32 v12, v0
	v_fma_f32 v17, -v0, v12, 1.0
	v_fmac_f32_e32 v12, v17, v12
	v_div_scale_f32 v17, vcc, v20, v13, v20
	v_mul_f32_e32 v22, v17, v12
	v_fma_f32 v23, -v0, v22, v17
	v_fmac_f32_e32 v22, v23, v12
	v_fma_f32 v0, -v0, v22, v17
	v_div_fmas_f32 v0, v0, v12, v22
	v_div_fixup_f32 v20, v0, v13, v20
	global_store_dwordx2 v[18:19], v[20:21], off
.LBB30_481:                             ;   in Loop: Header=BB30_14 Depth=1
	s_or_b64 exec, exec, s[74:75]
	s_barrier
	ds_write2_b32 v157, v2, v1 offset1:1
	ds_write2_b32 v157, v4, v3 offset0:8 offset1:9
	ds_write2_b32 v157, v6, v5 offset0:16 offset1:17
	;; [unrolled: 1-line block ×7, first 2 shown]
	s_waitcnt lgkmcnt(0)
	s_barrier
	s_and_saveexec_b64 s[74:75], s[0:1]
	s_cbranch_execz .LBB30_12
; %bb.482:                              ;   in Loop: Header=BB30_14 Depth=1
	v_add_u32_e32 v1, s80, v188
	v_or_b32_e32 v0, s84, v66
	v_cmp_gt_i32_e32 vcc, s28, v1
	v_cmp_gt_i32_e64 s[8:9], s82, v0
	s_and_b64 s[34:35], vcc, s[8:9]
	v_mov_b32_e32 v0, 0x47
	s_and_saveexec_b64 s[76:77], s[34:35]
	s_cbranch_execz .LBB30_484
; %bb.483:                              ;   in Loop: Header=BB30_14 Depth=1
	v_add_u32_e32 v6, 0, v158
	ds_read2_b32 v[2:3], v6 offset0:64 offset1:65
	ds_read2st64_b32 v[4:5], v159 offset1:17
	ds_read_b32 v6, v6 offset:4608
	v_mov_b32_e32 v7, s11
	v_mad_u64_u32 v[0:1], s[34:35], v1, s29, v[66:67]
	s_waitcnt lgkmcnt(1)
	v_cvt_f32_f16_sdwa v9, v4 dst_sel:DWORD dst_unused:UNUSED_PAD src0_sel:WORD_1
	v_cvt_f32_f16_e32 v8, v4
	v_cvt_f32_f16_sdwa v11, v5 dst_sel:DWORD dst_unused:UNUSED_PAD src0_sel:WORD_1
	v_cvt_f32_f16_e32 v10, v5
	v_lshl_add_u32 v0, v0, 7, v224
	v_pk_fma_f32 v[8:9], v[2:3], v[8:9], 0 op_sel_hi:[0,1,0]
	v_ashrrev_i32_e32 v1, 31, v0
	s_waitcnt lgkmcnt(0)
	v_pk_fma_f32 v[4:5], v[6:7], v[10:11], v[8:9] op_sel_hi:[0,1,1]
	v_div_scale_f32 v2, s[34:35], v3, v3, v5
	v_rcp_f32_e32 v6, v2
	v_lshlrev_b64 v[0:1], 3, v[0:1]
	v_add_co_u32_e32 v0, vcc, s10, v0
	v_addc_co_u32_e32 v1, vcc, v7, v1, vcc
	v_fma_f32 v7, -v2, v6, 1.0
	v_fmac_f32_e32 v6, v7, v6
	v_div_scale_f32 v7, vcc, v5, v3, v5
	v_mul_f32_e32 v8, v7, v6
	v_fma_f32 v9, -v2, v8, v7
	v_fmac_f32_e32 v8, v9, v6
	v_fma_f32 v2, -v2, v8, v7
	v_div_fmas_f32 v2, v2, v6, v8
	v_div_fixup_f32 v5, v2, v3, v5
	v_div_scale_f32 v2, s[34:35], v3, v3, v4
	v_rcp_f32_e32 v6, v2
	v_fma_f32 v7, -v2, v6, 1.0
	v_fmac_f32_e32 v6, v7, v6
	v_div_scale_f32 v7, vcc, v4, v3, v4
	v_mul_f32_e32 v8, v7, v6
	v_fma_f32 v9, -v2, v8, v7
	v_fmac_f32_e32 v8, v9, v6
	v_fma_f32 v2, -v2, v8, v7
	v_div_fmas_f32 v2, v2, v6, v8
	v_div_fixup_f32 v4, v2, v3, v4
	global_store_dwordx2 v[0:1], v[4:5], off
	v_mov_b32_e32 v0, 0
.LBB30_484:                             ;   in Loop: Header=BB30_14 Depth=1
	s_or_b64 exec, exec, s[76:77]
	v_cmp_gt_i32_e32 vcc, s53, v0
	s_mov_b64 s[76:77], -1
	s_and_saveexec_b64 s[78:79], vcc
; %bb.485:                              ;   in Loop: Header=BB30_14 Depth=1
	v_cmp_eq_u32_e32 vcc, 0, v0
	s_orn2_b64 s[76:77], vcc, exec
; %bb.486:                              ;   in Loop: Header=BB30_14 Depth=1
	s_or_b64 exec, exec, s[78:79]
	s_and_b64 exec, exec, s[76:77]
	s_cbranch_execz .LBB30_12
; %bb.487:                              ;   in Loop: Header=BB30_14 Depth=1
	v_add_u32_e32 v1, s80, v160
	v_cmp_gt_i32_e32 vcc, s28, v1
	s_and_b64 s[34:35], vcc, s[8:9]
	v_mov_b32_e32 v0, 0x47
	s_and_saveexec_b64 s[76:77], s[34:35]
	s_cbranch_execz .LBB30_489
; %bb.488:                              ;   in Loop: Header=BB30_14 Depth=1
	buffer_load_dword v0, off, s[96:99], 0  ; 4-byte Folded Reload
	v_mov_b32_e32 v7, s11
	s_waitcnt vmcnt(0)
	v_add_u32_e32 v6, 0, v0
	v_mad_u64_u32 v[0:1], s[34:35], v1, s29, v[66:67]
	buffer_load_dword v1, off, s[96:99], 0 offset:4 ; 4-byte Folded Reload
	ds_read2_b32 v[2:3], v6 offset0:64 offset1:65
	v_lshl_add_u32 v0, v0, 7, v224
	s_waitcnt vmcnt(0)
	ds_read2st64_b32 v[4:5], v1 offset1:17
	ds_read_b32 v6, v6 offset:4608
	v_ashrrev_i32_e32 v1, 31, v0
	v_lshlrev_b64 v[0:1], 3, v[0:1]
	v_add_co_u32_e32 v0, vcc, s10, v0
	s_waitcnt lgkmcnt(1)
	v_cvt_f32_f16_sdwa v9, v4 dst_sel:DWORD dst_unused:UNUSED_PAD src0_sel:WORD_1
	v_cvt_f32_f16_e32 v8, v4
	v_cvt_f32_f16_sdwa v11, v5 dst_sel:DWORD dst_unused:UNUSED_PAD src0_sel:WORD_1
	v_cvt_f32_f16_e32 v10, v5
	v_addc_co_u32_e32 v1, vcc, v7, v1, vcc
	v_pk_fma_f32 v[8:9], v[2:3], v[8:9], 0 op_sel_hi:[0,1,0]
	s_waitcnt lgkmcnt(0)
	v_pk_fma_f32 v[4:5], v[6:7], v[10:11], v[8:9] op_sel_hi:[0,1,1]
	v_div_scale_f32 v2, s[34:35], v3, v3, v5
	v_rcp_f32_e32 v6, v2
	v_fma_f32 v7, -v2, v6, 1.0
	v_fmac_f32_e32 v6, v7, v6
	v_div_scale_f32 v7, vcc, v5, v3, v5
	v_mul_f32_e32 v8, v7, v6
	v_fma_f32 v9, -v2, v8, v7
	v_fmac_f32_e32 v8, v9, v6
	v_fma_f32 v2, -v2, v8, v7
	v_div_fmas_f32 v2, v2, v6, v8
	v_div_fixup_f32 v5, v2, v3, v5
	v_div_scale_f32 v2, s[34:35], v3, v3, v4
	v_rcp_f32_e32 v6, v2
	v_fma_f32 v7, -v2, v6, 1.0
	v_fmac_f32_e32 v6, v7, v6
	v_div_scale_f32 v7, vcc, v4, v3, v4
	v_mul_f32_e32 v8, v7, v6
	v_fma_f32 v9, -v2, v8, v7
	v_fmac_f32_e32 v8, v9, v6
	v_fma_f32 v2, -v2, v8, v7
	v_div_fmas_f32 v2, v2, v6, v8
	v_div_fixup_f32 v4, v2, v3, v4
	global_store_dwordx2 v[0:1], v[4:5], off
	v_mov_b32_e32 v0, 0
.LBB30_489:                             ;   in Loop: Header=BB30_14 Depth=1
	s_or_b64 exec, exec, s[76:77]
	v_cmp_gt_i32_e32 vcc, s53, v0
	s_mov_b64 s[76:77], -1
	s_and_saveexec_b64 s[78:79], vcc
; %bb.490:                              ;   in Loop: Header=BB30_14 Depth=1
	v_cmp_eq_u32_e32 vcc, 0, v0
	s_orn2_b64 s[76:77], vcc, exec
; %bb.491:                              ;   in Loop: Header=BB30_14 Depth=1
	s_or_b64 exec, exec, s[78:79]
	s_and_b64 exec, exec, s[76:77]
	s_cbranch_execz .LBB30_12
; %bb.492:                              ;   in Loop: Header=BB30_14 Depth=1
	buffer_load_dword v0, off, s[96:99], 0 offset:8 ; 4-byte Folded Reload
	s_waitcnt vmcnt(0)
	v_add_u32_e32 v1, s80, v0
	v_cmp_gt_i32_e32 vcc, s28, v1
	s_and_b64 s[34:35], vcc, s[8:9]
	v_mov_b32_e32 v0, 0x47
	s_and_saveexec_b64 s[76:77], s[34:35]
	s_cbranch_execz .LBB30_494
; %bb.493:                              ;   in Loop: Header=BB30_14 Depth=1
	buffer_load_dword v0, off, s[96:99], 0 offset:72 ; 4-byte Folded Reload
	v_mov_b32_e32 v7, s11
	s_waitcnt vmcnt(0)
	v_add_u32_e32 v6, 0, v0
	v_mad_u64_u32 v[0:1], s[34:35], v1, s29, v[66:67]
	buffer_load_dword v1, off, s[96:99], 0 offset:76 ; 4-byte Folded Reload
	ds_read2_b32 v[2:3], v6 offset0:64 offset1:65
	v_lshl_add_u32 v0, v0, 7, v224
	s_waitcnt vmcnt(0)
	ds_read2st64_b32 v[4:5], v1 offset1:17
	ds_read_b32 v6, v6 offset:4608
	v_ashrrev_i32_e32 v1, 31, v0
	v_lshlrev_b64 v[0:1], 3, v[0:1]
	v_add_co_u32_e32 v0, vcc, s10, v0
	s_waitcnt lgkmcnt(1)
	v_cvt_f32_f16_sdwa v9, v4 dst_sel:DWORD dst_unused:UNUSED_PAD src0_sel:WORD_1
	v_cvt_f32_f16_e32 v8, v4
	v_cvt_f32_f16_sdwa v11, v5 dst_sel:DWORD dst_unused:UNUSED_PAD src0_sel:WORD_1
	v_cvt_f32_f16_e32 v10, v5
	v_addc_co_u32_e32 v1, vcc, v7, v1, vcc
	v_pk_fma_f32 v[8:9], v[2:3], v[8:9], 0 op_sel_hi:[0,1,0]
	s_waitcnt lgkmcnt(0)
	v_pk_fma_f32 v[4:5], v[6:7], v[10:11], v[8:9] op_sel_hi:[0,1,1]
	v_div_scale_f32 v2, s[34:35], v3, v3, v5
	v_rcp_f32_e32 v6, v2
	v_fma_f32 v7, -v2, v6, 1.0
	v_fmac_f32_e32 v6, v7, v6
	v_div_scale_f32 v7, vcc, v5, v3, v5
	v_mul_f32_e32 v8, v7, v6
	v_fma_f32 v9, -v2, v8, v7
	v_fmac_f32_e32 v8, v9, v6
	v_fma_f32 v2, -v2, v8, v7
	v_div_fmas_f32 v2, v2, v6, v8
	v_div_fixup_f32 v5, v2, v3, v5
	v_div_scale_f32 v2, s[34:35], v3, v3, v4
	v_rcp_f32_e32 v6, v2
	v_fma_f32 v7, -v2, v6, 1.0
	v_fmac_f32_e32 v6, v7, v6
	v_div_scale_f32 v7, vcc, v4, v3, v4
	v_mul_f32_e32 v8, v7, v6
	v_fma_f32 v9, -v2, v8, v7
	v_fmac_f32_e32 v8, v9, v6
	v_fma_f32 v2, -v2, v8, v7
	v_div_fmas_f32 v2, v2, v6, v8
	v_div_fixup_f32 v4, v2, v3, v4
	global_store_dwordx2 v[0:1], v[4:5], off
	v_mov_b32_e32 v0, 0
.LBB30_494:                             ;   in Loop: Header=BB30_14 Depth=1
	s_or_b64 exec, exec, s[76:77]
	v_cmp_gt_i32_e32 vcc, s53, v0
	s_mov_b64 s[76:77], -1
	s_and_saveexec_b64 s[78:79], vcc
; %bb.495:                              ;   in Loop: Header=BB30_14 Depth=1
	v_cmp_eq_u32_e32 vcc, 0, v0
	s_orn2_b64 s[76:77], vcc, exec
; %bb.496:                              ;   in Loop: Header=BB30_14 Depth=1
	s_or_b64 exec, exec, s[78:79]
	s_and_b64 exec, exec, s[76:77]
	s_cbranch_execz .LBB30_12
; %bb.497:                              ;   in Loop: Header=BB30_14 Depth=1
	buffer_load_dword v0, off, s[96:99], 0 offset:80 ; 4-byte Folded Reload
	s_waitcnt vmcnt(0)
	v_add_u32_e32 v1, s80, v0
	v_cmp_gt_i32_e32 vcc, s28, v1
	s_and_b64 s[34:35], vcc, s[8:9]
	v_mov_b32_e32 v0, 0x47
	s_and_saveexec_b64 s[76:77], s[34:35]
	s_cbranch_execz .LBB30_499
; %bb.498:                              ;   in Loop: Header=BB30_14 Depth=1
	buffer_load_dword v0, off, s[96:99], 0 offset:84 ; 4-byte Folded Reload
	v_mov_b32_e32 v7, s11
	s_waitcnt vmcnt(0)
	v_add_u32_e32 v6, 0, v0
	v_mad_u64_u32 v[0:1], s[34:35], v1, s29, v[66:67]
	buffer_load_dword v1, off, s[96:99], 0 offset:88 ; 4-byte Folded Reload
	ds_read2_b32 v[2:3], v6 offset0:64 offset1:65
	v_lshl_add_u32 v0, v0, 7, v224
	s_waitcnt vmcnt(0)
	ds_read2st64_b32 v[4:5], v1 offset1:17
	ds_read_b32 v6, v6 offset:4608
	v_ashrrev_i32_e32 v1, 31, v0
	v_lshlrev_b64 v[0:1], 3, v[0:1]
	v_add_co_u32_e32 v0, vcc, s10, v0
	s_waitcnt lgkmcnt(1)
	v_cvt_f32_f16_sdwa v9, v4 dst_sel:DWORD dst_unused:UNUSED_PAD src0_sel:WORD_1
	v_cvt_f32_f16_e32 v8, v4
	v_cvt_f32_f16_sdwa v11, v5 dst_sel:DWORD dst_unused:UNUSED_PAD src0_sel:WORD_1
	v_cvt_f32_f16_e32 v10, v5
	v_addc_co_u32_e32 v1, vcc, v7, v1, vcc
	v_pk_fma_f32 v[8:9], v[2:3], v[8:9], 0 op_sel_hi:[0,1,0]
	s_waitcnt lgkmcnt(0)
	v_pk_fma_f32 v[4:5], v[6:7], v[10:11], v[8:9] op_sel_hi:[0,1,1]
	v_div_scale_f32 v2, s[34:35], v3, v3, v5
	v_rcp_f32_e32 v6, v2
	v_fma_f32 v7, -v2, v6, 1.0
	v_fmac_f32_e32 v6, v7, v6
	v_div_scale_f32 v7, vcc, v5, v3, v5
	v_mul_f32_e32 v8, v7, v6
	v_fma_f32 v9, -v2, v8, v7
	v_fmac_f32_e32 v8, v9, v6
	v_fma_f32 v2, -v2, v8, v7
	v_div_fmas_f32 v2, v2, v6, v8
	v_div_fixup_f32 v5, v2, v3, v5
	v_div_scale_f32 v2, s[34:35], v3, v3, v4
	v_rcp_f32_e32 v6, v2
	v_fma_f32 v7, -v2, v6, 1.0
	v_fmac_f32_e32 v6, v7, v6
	v_div_scale_f32 v7, vcc, v4, v3, v4
	v_mul_f32_e32 v8, v7, v6
	v_fma_f32 v9, -v2, v8, v7
	v_fmac_f32_e32 v8, v9, v6
	v_fma_f32 v2, -v2, v8, v7
	v_div_fmas_f32 v2, v2, v6, v8
	v_div_fixup_f32 v4, v2, v3, v4
	global_store_dwordx2 v[0:1], v[4:5], off
	v_mov_b32_e32 v0, 0
.LBB30_499:                             ;   in Loop: Header=BB30_14 Depth=1
	s_or_b64 exec, exec, s[76:77]
	v_cmp_gt_i32_e32 vcc, s53, v0
	s_mov_b64 s[76:77], -1
	s_and_saveexec_b64 s[78:79], vcc
; %bb.500:                              ;   in Loop: Header=BB30_14 Depth=1
	v_cmp_eq_u32_e32 vcc, 0, v0
	s_orn2_b64 s[76:77], vcc, exec
; %bb.501:                              ;   in Loop: Header=BB30_14 Depth=1
	s_or_b64 exec, exec, s[78:79]
	s_and_b64 exec, exec, s[76:77]
	s_cbranch_execz .LBB30_12
; %bb.502:                              ;   in Loop: Header=BB30_14 Depth=1
	buffer_load_dword v0, off, s[96:99], 0 offset:92 ; 4-byte Folded Reload
	s_waitcnt vmcnt(0)
	v_add_u32_e32 v1, s80, v0
	v_cmp_gt_i32_e32 vcc, s28, v1
	s_and_b64 s[34:35], vcc, s[8:9]
	v_mov_b32_e32 v0, 0x47
	s_and_saveexec_b64 s[76:77], s[34:35]
	s_cbranch_execz .LBB30_504
; %bb.503:                              ;   in Loop: Header=BB30_14 Depth=1
	buffer_load_dword v0, off, s[96:99], 0 offset:96 ; 4-byte Folded Reload
	v_mov_b32_e32 v7, s11
	s_waitcnt vmcnt(0)
	v_add_u32_e32 v6, 0, v0
	v_mad_u64_u32 v[0:1], s[34:35], v1, s29, v[66:67]
	buffer_load_dword v1, off, s[96:99], 0 offset:100 ; 4-byte Folded Reload
	ds_read2_b32 v[2:3], v6 offset0:64 offset1:65
	v_lshl_add_u32 v0, v0, 7, v224
	s_waitcnt vmcnt(0)
	ds_read2st64_b32 v[4:5], v1 offset1:17
	ds_read_b32 v6, v6 offset:4608
	v_ashrrev_i32_e32 v1, 31, v0
	v_lshlrev_b64 v[0:1], 3, v[0:1]
	v_add_co_u32_e32 v0, vcc, s10, v0
	s_waitcnt lgkmcnt(1)
	v_cvt_f32_f16_sdwa v9, v4 dst_sel:DWORD dst_unused:UNUSED_PAD src0_sel:WORD_1
	v_cvt_f32_f16_e32 v8, v4
	v_cvt_f32_f16_sdwa v11, v5 dst_sel:DWORD dst_unused:UNUSED_PAD src0_sel:WORD_1
	v_cvt_f32_f16_e32 v10, v5
	v_addc_co_u32_e32 v1, vcc, v7, v1, vcc
	v_pk_fma_f32 v[8:9], v[2:3], v[8:9], 0 op_sel_hi:[0,1,0]
	s_waitcnt lgkmcnt(0)
	v_pk_fma_f32 v[4:5], v[6:7], v[10:11], v[8:9] op_sel_hi:[0,1,1]
	v_div_scale_f32 v2, s[34:35], v3, v3, v5
	v_rcp_f32_e32 v6, v2
	v_fma_f32 v7, -v2, v6, 1.0
	v_fmac_f32_e32 v6, v7, v6
	v_div_scale_f32 v7, vcc, v5, v3, v5
	v_mul_f32_e32 v8, v7, v6
	v_fma_f32 v9, -v2, v8, v7
	v_fmac_f32_e32 v8, v9, v6
	v_fma_f32 v2, -v2, v8, v7
	v_div_fmas_f32 v2, v2, v6, v8
	v_div_fixup_f32 v5, v2, v3, v5
	v_div_scale_f32 v2, s[34:35], v3, v3, v4
	v_rcp_f32_e32 v6, v2
	v_fma_f32 v7, -v2, v6, 1.0
	v_fmac_f32_e32 v6, v7, v6
	v_div_scale_f32 v7, vcc, v4, v3, v4
	v_mul_f32_e32 v8, v7, v6
	v_fma_f32 v9, -v2, v8, v7
	v_fmac_f32_e32 v8, v9, v6
	v_fma_f32 v2, -v2, v8, v7
	v_div_fmas_f32 v2, v2, v6, v8
	v_div_fixup_f32 v4, v2, v3, v4
	global_store_dwordx2 v[0:1], v[4:5], off
	v_mov_b32_e32 v0, 0
.LBB30_504:                             ;   in Loop: Header=BB30_14 Depth=1
	s_or_b64 exec, exec, s[76:77]
	v_cmp_gt_i32_e32 vcc, s53, v0
	s_mov_b64 s[76:77], -1
	s_and_saveexec_b64 s[78:79], vcc
; %bb.505:                              ;   in Loop: Header=BB30_14 Depth=1
	v_cmp_eq_u32_e32 vcc, 0, v0
	s_orn2_b64 s[76:77], vcc, exec
; %bb.506:                              ;   in Loop: Header=BB30_14 Depth=1
	s_or_b64 exec, exec, s[78:79]
	s_and_b64 exec, exec, s[76:77]
	s_cbranch_execz .LBB30_12
; %bb.507:                              ;   in Loop: Header=BB30_14 Depth=1
	buffer_load_dword v0, off, s[96:99], 0 offset:104 ; 4-byte Folded Reload
	s_waitcnt vmcnt(0)
	v_add_u32_e32 v1, s80, v0
	v_cmp_gt_i32_e32 vcc, s28, v1
	s_and_b64 s[34:35], vcc, s[8:9]
	v_mov_b32_e32 v0, 0x47
	s_and_saveexec_b64 s[76:77], s[34:35]
	s_cbranch_execz .LBB30_509
; %bb.508:                              ;   in Loop: Header=BB30_14 Depth=1
	buffer_load_dword v0, off, s[96:99], 0 offset:112 ; 4-byte Folded Reload
	v_mov_b32_e32 v7, s11
	s_waitcnt vmcnt(0)
	v_add_u32_e32 v6, 0, v0
	v_mad_u64_u32 v[0:1], s[34:35], v1, s29, v[66:67]
	buffer_load_dword v1, off, s[96:99], 0 offset:116 ; 4-byte Folded Reload
	ds_read2_b32 v[2:3], v6 offset0:64 offset1:65
	v_lshl_add_u32 v0, v0, 7, v224
	s_waitcnt vmcnt(0)
	ds_read2st64_b32 v[4:5], v1 offset1:17
	ds_read_b32 v6, v6 offset:4608
	v_ashrrev_i32_e32 v1, 31, v0
	v_lshlrev_b64 v[0:1], 3, v[0:1]
	v_add_co_u32_e32 v0, vcc, s10, v0
	s_waitcnt lgkmcnt(1)
	v_cvt_f32_f16_sdwa v9, v4 dst_sel:DWORD dst_unused:UNUSED_PAD src0_sel:WORD_1
	v_cvt_f32_f16_e32 v8, v4
	v_cvt_f32_f16_sdwa v11, v5 dst_sel:DWORD dst_unused:UNUSED_PAD src0_sel:WORD_1
	v_cvt_f32_f16_e32 v10, v5
	v_addc_co_u32_e32 v1, vcc, v7, v1, vcc
	v_pk_fma_f32 v[8:9], v[2:3], v[8:9], 0 op_sel_hi:[0,1,0]
	s_waitcnt lgkmcnt(0)
	v_pk_fma_f32 v[4:5], v[6:7], v[10:11], v[8:9] op_sel_hi:[0,1,1]
	v_div_scale_f32 v2, s[34:35], v3, v3, v5
	v_rcp_f32_e32 v6, v2
	v_fma_f32 v7, -v2, v6, 1.0
	v_fmac_f32_e32 v6, v7, v6
	v_div_scale_f32 v7, vcc, v5, v3, v5
	v_mul_f32_e32 v8, v7, v6
	v_fma_f32 v9, -v2, v8, v7
	v_fmac_f32_e32 v8, v9, v6
	v_fma_f32 v2, -v2, v8, v7
	v_div_fmas_f32 v2, v2, v6, v8
	v_div_fixup_f32 v5, v2, v3, v5
	v_div_scale_f32 v2, s[34:35], v3, v3, v4
	v_rcp_f32_e32 v6, v2
	v_fma_f32 v7, -v2, v6, 1.0
	v_fmac_f32_e32 v6, v7, v6
	v_div_scale_f32 v7, vcc, v4, v3, v4
	v_mul_f32_e32 v8, v7, v6
	v_fma_f32 v9, -v2, v8, v7
	v_fmac_f32_e32 v8, v9, v6
	v_fma_f32 v2, -v2, v8, v7
	v_div_fmas_f32 v2, v2, v6, v8
	v_div_fixup_f32 v4, v2, v3, v4
	global_store_dwordx2 v[0:1], v[4:5], off
	v_mov_b32_e32 v0, 0
.LBB30_509:                             ;   in Loop: Header=BB30_14 Depth=1
	s_or_b64 exec, exec, s[76:77]
	v_cmp_gt_i32_e32 vcc, s53, v0
	s_mov_b64 s[76:77], -1
	s_and_saveexec_b64 s[78:79], vcc
; %bb.510:                              ;   in Loop: Header=BB30_14 Depth=1
	v_cmp_eq_u32_e32 vcc, 0, v0
	s_orn2_b64 s[76:77], vcc, exec
; %bb.511:                              ;   in Loop: Header=BB30_14 Depth=1
	s_or_b64 exec, exec, s[78:79]
	s_and_b64 exec, exec, s[76:77]
	s_cbranch_execz .LBB30_12
; %bb.512:                              ;   in Loop: Header=BB30_14 Depth=1
	buffer_load_dword v0, off, s[96:99], 0 offset:120 ; 4-byte Folded Reload
	s_waitcnt vmcnt(0)
	v_add_u32_e32 v1, s80, v0
	v_cmp_gt_i32_e32 vcc, s28, v1
	s_and_b64 s[34:35], vcc, s[8:9]
	v_mov_b32_e32 v0, 0x47
	s_and_saveexec_b64 s[76:77], s[34:35]
	s_cbranch_execz .LBB30_514
; %bb.513:                              ;   in Loop: Header=BB30_14 Depth=1
	buffer_load_dword v0, off, s[96:99], 0 offset:124 ; 4-byte Folded Reload
	v_mov_b32_e32 v7, s11
	s_waitcnt vmcnt(0)
	v_add_u32_e32 v6, 0, v0
	v_mad_u64_u32 v[0:1], s[34:35], v1, s29, v[66:67]
	buffer_load_dword v1, off, s[96:99], 0 offset:128 ; 4-byte Folded Reload
	ds_read2_b32 v[2:3], v6 offset0:64 offset1:65
	v_lshl_add_u32 v0, v0, 7, v224
	s_waitcnt vmcnt(0)
	ds_read2st64_b32 v[4:5], v1 offset1:17
	ds_read_b32 v6, v6 offset:4608
	v_ashrrev_i32_e32 v1, 31, v0
	v_lshlrev_b64 v[0:1], 3, v[0:1]
	v_add_co_u32_e32 v0, vcc, s10, v0
	s_waitcnt lgkmcnt(1)
	v_cvt_f32_f16_sdwa v9, v4 dst_sel:DWORD dst_unused:UNUSED_PAD src0_sel:WORD_1
	v_cvt_f32_f16_e32 v8, v4
	v_cvt_f32_f16_sdwa v11, v5 dst_sel:DWORD dst_unused:UNUSED_PAD src0_sel:WORD_1
	v_cvt_f32_f16_e32 v10, v5
	v_addc_co_u32_e32 v1, vcc, v7, v1, vcc
	v_pk_fma_f32 v[8:9], v[2:3], v[8:9], 0 op_sel_hi:[0,1,0]
	s_waitcnt lgkmcnt(0)
	v_pk_fma_f32 v[4:5], v[6:7], v[10:11], v[8:9] op_sel_hi:[0,1,1]
	v_div_scale_f32 v2, s[34:35], v3, v3, v5
	v_rcp_f32_e32 v6, v2
	v_fma_f32 v7, -v2, v6, 1.0
	v_fmac_f32_e32 v6, v7, v6
	v_div_scale_f32 v7, vcc, v5, v3, v5
	v_mul_f32_e32 v8, v7, v6
	v_fma_f32 v9, -v2, v8, v7
	v_fmac_f32_e32 v8, v9, v6
	v_fma_f32 v2, -v2, v8, v7
	v_div_fmas_f32 v2, v2, v6, v8
	v_div_fixup_f32 v5, v2, v3, v5
	v_div_scale_f32 v2, s[34:35], v3, v3, v4
	v_rcp_f32_e32 v6, v2
	v_fma_f32 v7, -v2, v6, 1.0
	v_fmac_f32_e32 v6, v7, v6
	v_div_scale_f32 v7, vcc, v4, v3, v4
	v_mul_f32_e32 v8, v7, v6
	v_fma_f32 v9, -v2, v8, v7
	v_fmac_f32_e32 v8, v9, v6
	v_fma_f32 v2, -v2, v8, v7
	v_div_fmas_f32 v2, v2, v6, v8
	v_div_fixup_f32 v4, v2, v3, v4
	global_store_dwordx2 v[0:1], v[4:5], off
	v_mov_b32_e32 v0, 0
.LBB30_514:                             ;   in Loop: Header=BB30_14 Depth=1
	s_or_b64 exec, exec, s[76:77]
	v_cmp_gt_i32_e32 vcc, s53, v0
	s_mov_b64 s[76:77], -1
	s_and_saveexec_b64 s[78:79], vcc
; %bb.515:                              ;   in Loop: Header=BB30_14 Depth=1
	v_cmp_eq_u32_e32 vcc, 0, v0
	s_orn2_b64 s[76:77], vcc, exec
; %bb.516:                              ;   in Loop: Header=BB30_14 Depth=1
	s_or_b64 exec, exec, s[78:79]
	s_and_b64 exec, exec, s[76:77]
	s_cbranch_execz .LBB30_12
; %bb.517:                              ;   in Loop: Header=BB30_14 Depth=1
	buffer_load_dword v0, off, s[96:99], 0 offset:132 ; 4-byte Folded Reload
	s_waitcnt vmcnt(0)
	v_add_u32_e32 v1, s80, v0
	v_cmp_gt_i32_e32 vcc, s28, v1
	s_and_b64 s[34:35], vcc, s[8:9]
	v_mov_b32_e32 v0, 0x47
	s_and_saveexec_b64 s[76:77], s[34:35]
	s_cbranch_execz .LBB30_519
; %bb.518:                              ;   in Loop: Header=BB30_14 Depth=1
	buffer_load_dword v0, off, s[96:99], 0 offset:136 ; 4-byte Folded Reload
	v_mov_b32_e32 v7, s11
	s_waitcnt vmcnt(0)
	v_add_u32_e32 v6, 0, v0
	v_mad_u64_u32 v[0:1], s[34:35], v1, s29, v[66:67]
	buffer_load_dword v1, off, s[96:99], 0 offset:140 ; 4-byte Folded Reload
	ds_read2_b32 v[2:3], v6 offset0:64 offset1:65
	v_lshl_add_u32 v0, v0, 7, v224
	s_waitcnt vmcnt(0)
	ds_read2st64_b32 v[4:5], v1 offset1:17
	ds_read_b32 v6, v6 offset:4608
	v_ashrrev_i32_e32 v1, 31, v0
	v_lshlrev_b64 v[0:1], 3, v[0:1]
	v_add_co_u32_e32 v0, vcc, s10, v0
	s_waitcnt lgkmcnt(1)
	v_cvt_f32_f16_sdwa v9, v4 dst_sel:DWORD dst_unused:UNUSED_PAD src0_sel:WORD_1
	v_cvt_f32_f16_e32 v8, v4
	v_cvt_f32_f16_sdwa v11, v5 dst_sel:DWORD dst_unused:UNUSED_PAD src0_sel:WORD_1
	v_cvt_f32_f16_e32 v10, v5
	v_addc_co_u32_e32 v1, vcc, v7, v1, vcc
	v_pk_fma_f32 v[8:9], v[2:3], v[8:9], 0 op_sel_hi:[0,1,0]
	s_waitcnt lgkmcnt(0)
	v_pk_fma_f32 v[4:5], v[6:7], v[10:11], v[8:9] op_sel_hi:[0,1,1]
	v_div_scale_f32 v2, s[34:35], v3, v3, v5
	v_rcp_f32_e32 v6, v2
	v_fma_f32 v7, -v2, v6, 1.0
	v_fmac_f32_e32 v6, v7, v6
	v_div_scale_f32 v7, vcc, v5, v3, v5
	v_mul_f32_e32 v8, v7, v6
	v_fma_f32 v9, -v2, v8, v7
	v_fmac_f32_e32 v8, v9, v6
	v_fma_f32 v2, -v2, v8, v7
	v_div_fmas_f32 v2, v2, v6, v8
	v_div_fixup_f32 v5, v2, v3, v5
	v_div_scale_f32 v2, s[34:35], v3, v3, v4
	v_rcp_f32_e32 v6, v2
	v_fma_f32 v7, -v2, v6, 1.0
	v_fmac_f32_e32 v6, v7, v6
	v_div_scale_f32 v7, vcc, v4, v3, v4
	v_mul_f32_e32 v8, v7, v6
	v_fma_f32 v9, -v2, v8, v7
	v_fmac_f32_e32 v8, v9, v6
	v_fma_f32 v2, -v2, v8, v7
	v_div_fmas_f32 v2, v2, v6, v8
	v_div_fixup_f32 v4, v2, v3, v4
	global_store_dwordx2 v[0:1], v[4:5], off
	v_mov_b32_e32 v0, 0
.LBB30_519:                             ;   in Loop: Header=BB30_14 Depth=1
	s_or_b64 exec, exec, s[76:77]
	v_cmp_gt_i32_e32 vcc, s53, v0
	s_mov_b64 s[76:77], -1
	s_and_saveexec_b64 s[78:79], vcc
; %bb.520:                              ;   in Loop: Header=BB30_14 Depth=1
	v_cmp_eq_u32_e32 vcc, 0, v0
	s_orn2_b64 s[76:77], vcc, exec
; %bb.521:                              ;   in Loop: Header=BB30_14 Depth=1
	s_or_b64 exec, exec, s[78:79]
	s_and_b64 exec, exec, s[76:77]
	s_cbranch_execz .LBB30_12
; %bb.522:                              ;   in Loop: Header=BB30_14 Depth=1
	buffer_load_dword v0, off, s[96:99], 0 offset:144 ; 4-byte Folded Reload
	s_waitcnt vmcnt(0)
	v_add_u32_e32 v1, s80, v0
	v_cmp_gt_i32_e32 vcc, s28, v1
	s_and_b64 s[34:35], vcc, s[8:9]
	v_mov_b32_e32 v0, 0x47
	s_and_saveexec_b64 s[76:77], s[34:35]
	s_cbranch_execz .LBB30_524
; %bb.523:                              ;   in Loop: Header=BB30_14 Depth=1
	buffer_load_dword v0, off, s[96:99], 0 offset:148 ; 4-byte Folded Reload
	v_mov_b32_e32 v7, s11
	s_waitcnt vmcnt(0)
	v_add_u32_e32 v6, 0, v0
	v_mad_u64_u32 v[0:1], s[34:35], v1, s29, v[66:67]
	buffer_load_dword v1, off, s[96:99], 0 offset:152 ; 4-byte Folded Reload
	ds_read2_b32 v[2:3], v6 offset0:64 offset1:65
	v_lshl_add_u32 v0, v0, 7, v224
	s_waitcnt vmcnt(0)
	ds_read2st64_b32 v[4:5], v1 offset1:17
	ds_read_b32 v6, v6 offset:4608
	v_ashrrev_i32_e32 v1, 31, v0
	v_lshlrev_b64 v[0:1], 3, v[0:1]
	v_add_co_u32_e32 v0, vcc, s10, v0
	s_waitcnt lgkmcnt(1)
	v_cvt_f32_f16_sdwa v9, v4 dst_sel:DWORD dst_unused:UNUSED_PAD src0_sel:WORD_1
	v_cvt_f32_f16_e32 v8, v4
	v_cvt_f32_f16_sdwa v11, v5 dst_sel:DWORD dst_unused:UNUSED_PAD src0_sel:WORD_1
	v_cvt_f32_f16_e32 v10, v5
	v_addc_co_u32_e32 v1, vcc, v7, v1, vcc
	v_pk_fma_f32 v[8:9], v[2:3], v[8:9], 0 op_sel_hi:[0,1,0]
	s_waitcnt lgkmcnt(0)
	v_pk_fma_f32 v[4:5], v[6:7], v[10:11], v[8:9] op_sel_hi:[0,1,1]
	v_div_scale_f32 v2, s[34:35], v3, v3, v5
	v_rcp_f32_e32 v6, v2
	v_fma_f32 v7, -v2, v6, 1.0
	v_fmac_f32_e32 v6, v7, v6
	v_div_scale_f32 v7, vcc, v5, v3, v5
	v_mul_f32_e32 v8, v7, v6
	v_fma_f32 v9, -v2, v8, v7
	v_fmac_f32_e32 v8, v9, v6
	v_fma_f32 v2, -v2, v8, v7
	v_div_fmas_f32 v2, v2, v6, v8
	v_div_fixup_f32 v5, v2, v3, v5
	v_div_scale_f32 v2, s[34:35], v3, v3, v4
	v_rcp_f32_e32 v6, v2
	v_fma_f32 v7, -v2, v6, 1.0
	v_fmac_f32_e32 v6, v7, v6
	v_div_scale_f32 v7, vcc, v4, v3, v4
	v_mul_f32_e32 v8, v7, v6
	v_fma_f32 v9, -v2, v8, v7
	v_fmac_f32_e32 v8, v9, v6
	v_fma_f32 v2, -v2, v8, v7
	v_div_fmas_f32 v2, v2, v6, v8
	v_div_fixup_f32 v4, v2, v3, v4
	global_store_dwordx2 v[0:1], v[4:5], off
	v_mov_b32_e32 v0, 0
.LBB30_524:                             ;   in Loop: Header=BB30_14 Depth=1
	s_or_b64 exec, exec, s[76:77]
	v_cmp_gt_i32_e32 vcc, s53, v0
	s_mov_b64 s[76:77], -1
	s_and_saveexec_b64 s[78:79], vcc
; %bb.525:                              ;   in Loop: Header=BB30_14 Depth=1
	v_cmp_eq_u32_e32 vcc, 0, v0
	s_orn2_b64 s[76:77], vcc, exec
; %bb.526:                              ;   in Loop: Header=BB30_14 Depth=1
	s_or_b64 exec, exec, s[78:79]
	s_and_b64 exec, exec, s[76:77]
	s_cbranch_execz .LBB30_12
; %bb.527:                              ;   in Loop: Header=BB30_14 Depth=1
	buffer_load_dword v0, off, s[96:99], 0 offset:156 ; 4-byte Folded Reload
	s_waitcnt vmcnt(0)
	v_add_u32_e32 v1, s80, v0
	v_cmp_gt_i32_e32 vcc, s28, v1
	s_and_b64 s[34:35], vcc, s[8:9]
	v_mov_b32_e32 v0, 0x47
	s_and_saveexec_b64 s[76:77], s[34:35]
	s_cbranch_execz .LBB30_529
; %bb.528:                              ;   in Loop: Header=BB30_14 Depth=1
	buffer_load_dword v0, off, s[96:99], 0 offset:160 ; 4-byte Folded Reload
	v_mov_b32_e32 v7, s11
	s_waitcnt vmcnt(0)
	v_add_u32_e32 v6, 0, v0
	v_mad_u64_u32 v[0:1], s[34:35], v1, s29, v[66:67]
	buffer_load_dword v1, off, s[96:99], 0 offset:164 ; 4-byte Folded Reload
	ds_read2_b32 v[2:3], v6 offset0:64 offset1:65
	v_lshl_add_u32 v0, v0, 7, v224
	s_waitcnt vmcnt(0)
	ds_read2st64_b32 v[4:5], v1 offset1:17
	ds_read_b32 v6, v6 offset:4608
	v_ashrrev_i32_e32 v1, 31, v0
	v_lshlrev_b64 v[0:1], 3, v[0:1]
	v_add_co_u32_e32 v0, vcc, s10, v0
	s_waitcnt lgkmcnt(1)
	v_cvt_f32_f16_sdwa v9, v4 dst_sel:DWORD dst_unused:UNUSED_PAD src0_sel:WORD_1
	v_cvt_f32_f16_e32 v8, v4
	v_cvt_f32_f16_sdwa v11, v5 dst_sel:DWORD dst_unused:UNUSED_PAD src0_sel:WORD_1
	v_cvt_f32_f16_e32 v10, v5
	v_addc_co_u32_e32 v1, vcc, v7, v1, vcc
	v_pk_fma_f32 v[8:9], v[2:3], v[8:9], 0 op_sel_hi:[0,1,0]
	s_waitcnt lgkmcnt(0)
	v_pk_fma_f32 v[4:5], v[6:7], v[10:11], v[8:9] op_sel_hi:[0,1,1]
	v_div_scale_f32 v2, s[34:35], v3, v3, v5
	v_rcp_f32_e32 v6, v2
	v_fma_f32 v7, -v2, v6, 1.0
	v_fmac_f32_e32 v6, v7, v6
	v_div_scale_f32 v7, vcc, v5, v3, v5
	v_mul_f32_e32 v8, v7, v6
	v_fma_f32 v9, -v2, v8, v7
	v_fmac_f32_e32 v8, v9, v6
	v_fma_f32 v2, -v2, v8, v7
	v_div_fmas_f32 v2, v2, v6, v8
	v_div_fixup_f32 v5, v2, v3, v5
	v_div_scale_f32 v2, s[34:35], v3, v3, v4
	v_rcp_f32_e32 v6, v2
	v_fma_f32 v7, -v2, v6, 1.0
	v_fmac_f32_e32 v6, v7, v6
	v_div_scale_f32 v7, vcc, v4, v3, v4
	v_mul_f32_e32 v8, v7, v6
	v_fma_f32 v9, -v2, v8, v7
	v_fmac_f32_e32 v8, v9, v6
	v_fma_f32 v2, -v2, v8, v7
	v_div_fmas_f32 v2, v2, v6, v8
	v_div_fixup_f32 v4, v2, v3, v4
	global_store_dwordx2 v[0:1], v[4:5], off
	v_mov_b32_e32 v0, 0
.LBB30_529:                             ;   in Loop: Header=BB30_14 Depth=1
	s_or_b64 exec, exec, s[76:77]
	v_cmp_gt_i32_e32 vcc, s53, v0
	s_mov_b64 s[76:77], -1
	s_and_saveexec_b64 s[78:79], vcc
; %bb.530:                              ;   in Loop: Header=BB30_14 Depth=1
	v_cmp_eq_u32_e32 vcc, 0, v0
	s_orn2_b64 s[76:77], vcc, exec
; %bb.531:                              ;   in Loop: Header=BB30_14 Depth=1
	s_or_b64 exec, exec, s[78:79]
	s_and_b64 exec, exec, s[76:77]
	s_cbranch_execz .LBB30_12
; %bb.532:                              ;   in Loop: Header=BB30_14 Depth=1
	buffer_load_dword v0, off, s[96:99], 0 offset:168 ; 4-byte Folded Reload
	s_waitcnt vmcnt(0)
	v_add_u32_e32 v1, s80, v0
	v_cmp_gt_i32_e32 vcc, s28, v1
	s_and_b64 s[34:35], vcc, s[8:9]
	v_mov_b32_e32 v0, 0x47
	s_and_saveexec_b64 s[76:77], s[34:35]
	s_cbranch_execz .LBB30_534
; %bb.533:                              ;   in Loop: Header=BB30_14 Depth=1
	buffer_load_dword v0, off, s[96:99], 0 offset:172 ; 4-byte Folded Reload
	v_mov_b32_e32 v7, s11
	s_waitcnt vmcnt(0)
	v_add_u32_e32 v6, 0, v0
	v_mad_u64_u32 v[0:1], s[34:35], v1, s29, v[66:67]
	buffer_load_dword v1, off, s[96:99], 0 offset:176 ; 4-byte Folded Reload
	ds_read2_b32 v[2:3], v6 offset0:64 offset1:65
	v_lshl_add_u32 v0, v0, 7, v224
	s_waitcnt vmcnt(0)
	ds_read2st64_b32 v[4:5], v1 offset1:17
	ds_read_b32 v6, v6 offset:4608
	v_ashrrev_i32_e32 v1, 31, v0
	v_lshlrev_b64 v[0:1], 3, v[0:1]
	v_add_co_u32_e32 v0, vcc, s10, v0
	s_waitcnt lgkmcnt(1)
	v_cvt_f32_f16_sdwa v9, v4 dst_sel:DWORD dst_unused:UNUSED_PAD src0_sel:WORD_1
	v_cvt_f32_f16_e32 v8, v4
	v_cvt_f32_f16_sdwa v11, v5 dst_sel:DWORD dst_unused:UNUSED_PAD src0_sel:WORD_1
	v_cvt_f32_f16_e32 v10, v5
	v_addc_co_u32_e32 v1, vcc, v7, v1, vcc
	v_pk_fma_f32 v[8:9], v[2:3], v[8:9], 0 op_sel_hi:[0,1,0]
	s_waitcnt lgkmcnt(0)
	v_pk_fma_f32 v[4:5], v[6:7], v[10:11], v[8:9] op_sel_hi:[0,1,1]
	v_div_scale_f32 v2, s[34:35], v3, v3, v5
	v_rcp_f32_e32 v6, v2
	v_fma_f32 v7, -v2, v6, 1.0
	v_fmac_f32_e32 v6, v7, v6
	v_div_scale_f32 v7, vcc, v5, v3, v5
	v_mul_f32_e32 v8, v7, v6
	v_fma_f32 v9, -v2, v8, v7
	v_fmac_f32_e32 v8, v9, v6
	v_fma_f32 v2, -v2, v8, v7
	v_div_fmas_f32 v2, v2, v6, v8
	v_div_fixup_f32 v5, v2, v3, v5
	v_div_scale_f32 v2, s[34:35], v3, v3, v4
	v_rcp_f32_e32 v6, v2
	v_fma_f32 v7, -v2, v6, 1.0
	v_fmac_f32_e32 v6, v7, v6
	v_div_scale_f32 v7, vcc, v4, v3, v4
	v_mul_f32_e32 v8, v7, v6
	v_fma_f32 v9, -v2, v8, v7
	v_fmac_f32_e32 v8, v9, v6
	v_fma_f32 v2, -v2, v8, v7
	v_div_fmas_f32 v2, v2, v6, v8
	v_div_fixup_f32 v4, v2, v3, v4
	global_store_dwordx2 v[0:1], v[4:5], off
	v_mov_b32_e32 v0, 0
.LBB30_534:                             ;   in Loop: Header=BB30_14 Depth=1
	s_or_b64 exec, exec, s[76:77]
	v_cmp_gt_i32_e32 vcc, s53, v0
	s_mov_b64 s[76:77], -1
	s_and_saveexec_b64 s[78:79], vcc
; %bb.535:                              ;   in Loop: Header=BB30_14 Depth=1
	v_cmp_eq_u32_e32 vcc, 0, v0
	s_orn2_b64 s[76:77], vcc, exec
; %bb.536:                              ;   in Loop: Header=BB30_14 Depth=1
	s_or_b64 exec, exec, s[78:79]
	s_and_b64 exec, exec, s[76:77]
	s_cbranch_execz .LBB30_12
; %bb.537:                              ;   in Loop: Header=BB30_14 Depth=1
	buffer_load_dword v0, off, s[96:99], 0 offset:180 ; 4-byte Folded Reload
	s_waitcnt vmcnt(0)
	v_add_u32_e32 v1, s80, v0
	v_cmp_gt_i32_e32 vcc, s28, v1
	s_and_b64 s[34:35], vcc, s[8:9]
	v_mov_b32_e32 v0, 0x47
	s_and_saveexec_b64 s[76:77], s[34:35]
	s_cbranch_execz .LBB30_539
; %bb.538:                              ;   in Loop: Header=BB30_14 Depth=1
	buffer_load_dword v0, off, s[96:99], 0 offset:184 ; 4-byte Folded Reload
	v_mov_b32_e32 v7, s11
	s_waitcnt vmcnt(0)
	v_add_u32_e32 v6, 0, v0
	v_mad_u64_u32 v[0:1], s[34:35], v1, s29, v[66:67]
	buffer_load_dword v1, off, s[96:99], 0 offset:188 ; 4-byte Folded Reload
	ds_read2_b32 v[2:3], v6 offset0:64 offset1:65
	v_lshl_add_u32 v0, v0, 7, v224
	s_waitcnt vmcnt(0)
	ds_read2st64_b32 v[4:5], v1 offset1:17
	ds_read_b32 v6, v6 offset:4608
	v_ashrrev_i32_e32 v1, 31, v0
	v_lshlrev_b64 v[0:1], 3, v[0:1]
	v_add_co_u32_e32 v0, vcc, s10, v0
	s_waitcnt lgkmcnt(1)
	v_cvt_f32_f16_sdwa v9, v4 dst_sel:DWORD dst_unused:UNUSED_PAD src0_sel:WORD_1
	v_cvt_f32_f16_e32 v8, v4
	v_cvt_f32_f16_sdwa v11, v5 dst_sel:DWORD dst_unused:UNUSED_PAD src0_sel:WORD_1
	v_cvt_f32_f16_e32 v10, v5
	v_addc_co_u32_e32 v1, vcc, v7, v1, vcc
	v_pk_fma_f32 v[8:9], v[2:3], v[8:9], 0 op_sel_hi:[0,1,0]
	s_waitcnt lgkmcnt(0)
	v_pk_fma_f32 v[4:5], v[6:7], v[10:11], v[8:9] op_sel_hi:[0,1,1]
	v_div_scale_f32 v2, s[34:35], v3, v3, v5
	v_rcp_f32_e32 v6, v2
	v_fma_f32 v7, -v2, v6, 1.0
	v_fmac_f32_e32 v6, v7, v6
	v_div_scale_f32 v7, vcc, v5, v3, v5
	v_mul_f32_e32 v8, v7, v6
	v_fma_f32 v9, -v2, v8, v7
	v_fmac_f32_e32 v8, v9, v6
	v_fma_f32 v2, -v2, v8, v7
	v_div_fmas_f32 v2, v2, v6, v8
	v_div_fixup_f32 v5, v2, v3, v5
	v_div_scale_f32 v2, s[34:35], v3, v3, v4
	v_rcp_f32_e32 v6, v2
	v_fma_f32 v7, -v2, v6, 1.0
	v_fmac_f32_e32 v6, v7, v6
	v_div_scale_f32 v7, vcc, v4, v3, v4
	v_mul_f32_e32 v8, v7, v6
	v_fma_f32 v9, -v2, v8, v7
	v_fmac_f32_e32 v8, v9, v6
	v_fma_f32 v2, -v2, v8, v7
	v_div_fmas_f32 v2, v2, v6, v8
	v_div_fixup_f32 v4, v2, v3, v4
	global_store_dwordx2 v[0:1], v[4:5], off
	v_mov_b32_e32 v0, 0
.LBB30_539:                             ;   in Loop: Header=BB30_14 Depth=1
	s_or_b64 exec, exec, s[76:77]
	v_cmp_gt_i32_e32 vcc, s53, v0
	s_mov_b64 s[76:77], -1
	s_and_saveexec_b64 s[78:79], vcc
; %bb.540:                              ;   in Loop: Header=BB30_14 Depth=1
	v_cmp_eq_u32_e32 vcc, 0, v0
	s_orn2_b64 s[76:77], vcc, exec
; %bb.541:                              ;   in Loop: Header=BB30_14 Depth=1
	s_or_b64 exec, exec, s[78:79]
	s_and_b64 exec, exec, s[76:77]
	s_cbranch_execz .LBB30_12
; %bb.542:                              ;   in Loop: Header=BB30_14 Depth=1
	buffer_load_dword v0, off, s[96:99], 0 offset:192 ; 4-byte Folded Reload
	s_waitcnt vmcnt(0)
	v_add_u32_e32 v1, s80, v0
	v_cmp_gt_i32_e32 vcc, s28, v1
	s_and_b64 s[34:35], vcc, s[8:9]
	v_mov_b32_e32 v0, 0x47
	s_and_saveexec_b64 s[76:77], s[34:35]
	s_cbranch_execz .LBB30_544
; %bb.543:                              ;   in Loop: Header=BB30_14 Depth=1
	buffer_load_dword v0, off, s[96:99], 0 offset:196 ; 4-byte Folded Reload
	v_mov_b32_e32 v7, s11
	s_waitcnt vmcnt(0)
	v_add_u32_e32 v6, 0, v0
	v_mad_u64_u32 v[0:1], s[34:35], v1, s29, v[66:67]
	buffer_load_dword v1, off, s[96:99], 0 offset:200 ; 4-byte Folded Reload
	ds_read2_b32 v[2:3], v6 offset0:64 offset1:65
	v_lshl_add_u32 v0, v0, 7, v224
	s_waitcnt vmcnt(0)
	ds_read2st64_b32 v[4:5], v1 offset1:17
	ds_read_b32 v6, v6 offset:4608
	v_ashrrev_i32_e32 v1, 31, v0
	v_lshlrev_b64 v[0:1], 3, v[0:1]
	v_add_co_u32_e32 v0, vcc, s10, v0
	s_waitcnt lgkmcnt(1)
	v_cvt_f32_f16_sdwa v9, v4 dst_sel:DWORD dst_unused:UNUSED_PAD src0_sel:WORD_1
	v_cvt_f32_f16_e32 v8, v4
	v_cvt_f32_f16_sdwa v11, v5 dst_sel:DWORD dst_unused:UNUSED_PAD src0_sel:WORD_1
	v_cvt_f32_f16_e32 v10, v5
	v_addc_co_u32_e32 v1, vcc, v7, v1, vcc
	v_pk_fma_f32 v[8:9], v[2:3], v[8:9], 0 op_sel_hi:[0,1,0]
	s_waitcnt lgkmcnt(0)
	v_pk_fma_f32 v[4:5], v[6:7], v[10:11], v[8:9] op_sel_hi:[0,1,1]
	v_div_scale_f32 v2, s[34:35], v3, v3, v5
	v_rcp_f32_e32 v6, v2
	v_fma_f32 v7, -v2, v6, 1.0
	v_fmac_f32_e32 v6, v7, v6
	v_div_scale_f32 v7, vcc, v5, v3, v5
	v_mul_f32_e32 v8, v7, v6
	v_fma_f32 v9, -v2, v8, v7
	v_fmac_f32_e32 v8, v9, v6
	v_fma_f32 v2, -v2, v8, v7
	v_div_fmas_f32 v2, v2, v6, v8
	v_div_fixup_f32 v5, v2, v3, v5
	v_div_scale_f32 v2, s[34:35], v3, v3, v4
	v_rcp_f32_e32 v6, v2
	v_fma_f32 v7, -v2, v6, 1.0
	v_fmac_f32_e32 v6, v7, v6
	v_div_scale_f32 v7, vcc, v4, v3, v4
	v_mul_f32_e32 v8, v7, v6
	v_fma_f32 v9, -v2, v8, v7
	v_fmac_f32_e32 v8, v9, v6
	v_fma_f32 v2, -v2, v8, v7
	v_div_fmas_f32 v2, v2, v6, v8
	v_div_fixup_f32 v4, v2, v3, v4
	global_store_dwordx2 v[0:1], v[4:5], off
	v_mov_b32_e32 v0, 0
.LBB30_544:                             ;   in Loop: Header=BB30_14 Depth=1
	s_or_b64 exec, exec, s[76:77]
	v_cmp_gt_i32_e32 vcc, s53, v0
	s_mov_b64 s[76:77], -1
	s_and_saveexec_b64 s[78:79], vcc
; %bb.545:                              ;   in Loop: Header=BB30_14 Depth=1
	v_cmp_eq_u32_e32 vcc, 0, v0
	s_orn2_b64 s[76:77], vcc, exec
; %bb.546:                              ;   in Loop: Header=BB30_14 Depth=1
	s_or_b64 exec, exec, s[78:79]
	s_and_b64 exec, exec, s[76:77]
	s_cbranch_execz .LBB30_12
; %bb.547:                              ;   in Loop: Header=BB30_14 Depth=1
	buffer_load_dword v0, off, s[96:99], 0 offset:204 ; 4-byte Folded Reload
	s_waitcnt vmcnt(0)
	v_add_u32_e32 v1, s80, v0
	v_cmp_gt_i32_e32 vcc, s28, v1
	s_and_b64 s[34:35], vcc, s[8:9]
	v_mov_b32_e32 v0, 0x47
	s_and_saveexec_b64 s[76:77], s[34:35]
	s_cbranch_execz .LBB30_549
; %bb.548:                              ;   in Loop: Header=BB30_14 Depth=1
	buffer_load_dword v0, off, s[96:99], 0 offset:208 ; 4-byte Folded Reload
	v_mov_b32_e32 v7, s11
	s_waitcnt vmcnt(0)
	v_add_u32_e32 v6, 0, v0
	v_mad_u64_u32 v[0:1], s[34:35], v1, s29, v[66:67]
	buffer_load_dword v1, off, s[96:99], 0 offset:212 ; 4-byte Folded Reload
	ds_read2_b32 v[2:3], v6 offset0:64 offset1:65
	v_lshl_add_u32 v0, v0, 7, v224
	s_waitcnt vmcnt(0)
	ds_read2st64_b32 v[4:5], v1 offset1:17
	ds_read_b32 v6, v6 offset:4608
	v_ashrrev_i32_e32 v1, 31, v0
	v_lshlrev_b64 v[0:1], 3, v[0:1]
	v_add_co_u32_e32 v0, vcc, s10, v0
	s_waitcnt lgkmcnt(1)
	v_cvt_f32_f16_sdwa v9, v4 dst_sel:DWORD dst_unused:UNUSED_PAD src0_sel:WORD_1
	v_cvt_f32_f16_e32 v8, v4
	v_cvt_f32_f16_sdwa v11, v5 dst_sel:DWORD dst_unused:UNUSED_PAD src0_sel:WORD_1
	v_cvt_f32_f16_e32 v10, v5
	v_addc_co_u32_e32 v1, vcc, v7, v1, vcc
	v_pk_fma_f32 v[8:9], v[2:3], v[8:9], 0 op_sel_hi:[0,1,0]
	s_waitcnt lgkmcnt(0)
	v_pk_fma_f32 v[4:5], v[6:7], v[10:11], v[8:9] op_sel_hi:[0,1,1]
	v_div_scale_f32 v2, s[34:35], v3, v3, v5
	v_rcp_f32_e32 v6, v2
	v_fma_f32 v7, -v2, v6, 1.0
	v_fmac_f32_e32 v6, v7, v6
	v_div_scale_f32 v7, vcc, v5, v3, v5
	v_mul_f32_e32 v8, v7, v6
	v_fma_f32 v9, -v2, v8, v7
	v_fmac_f32_e32 v8, v9, v6
	v_fma_f32 v2, -v2, v8, v7
	v_div_fmas_f32 v2, v2, v6, v8
	v_div_fixup_f32 v5, v2, v3, v5
	v_div_scale_f32 v2, s[34:35], v3, v3, v4
	v_rcp_f32_e32 v6, v2
	v_fma_f32 v7, -v2, v6, 1.0
	v_fmac_f32_e32 v6, v7, v6
	v_div_scale_f32 v7, vcc, v4, v3, v4
	v_mul_f32_e32 v8, v7, v6
	v_fma_f32 v9, -v2, v8, v7
	v_fmac_f32_e32 v8, v9, v6
	v_fma_f32 v2, -v2, v8, v7
	v_div_fmas_f32 v2, v2, v6, v8
	v_div_fixup_f32 v4, v2, v3, v4
	global_store_dwordx2 v[0:1], v[4:5], off
	v_mov_b32_e32 v0, 0
.LBB30_549:                             ;   in Loop: Header=BB30_14 Depth=1
	s_or_b64 exec, exec, s[76:77]
	v_cmp_gt_i32_e32 vcc, s53, v0
	s_mov_b64 s[76:77], -1
	s_and_saveexec_b64 s[78:79], vcc
; %bb.550:                              ;   in Loop: Header=BB30_14 Depth=1
	v_cmp_eq_u32_e32 vcc, 0, v0
	s_orn2_b64 s[76:77], vcc, exec
; %bb.551:                              ;   in Loop: Header=BB30_14 Depth=1
	s_or_b64 exec, exec, s[78:79]
	s_and_b64 exec, exec, s[76:77]
	s_cbranch_execz .LBB30_12
; %bb.552:                              ;   in Loop: Header=BB30_14 Depth=1
	buffer_load_dword v0, off, s[96:99], 0 offset:216 ; 4-byte Folded Reload
	s_waitcnt vmcnt(0)
	v_add_u32_e32 v1, s80, v0
	v_cmp_gt_i32_e32 vcc, s28, v1
	s_and_b64 s[34:35], vcc, s[8:9]
	v_mov_b32_e32 v0, 0x47
	s_and_saveexec_b64 s[76:77], s[34:35]
	s_cbranch_execz .LBB30_554
; %bb.553:                              ;   in Loop: Header=BB30_14 Depth=1
	buffer_load_dword v0, off, s[96:99], 0 offset:220 ; 4-byte Folded Reload
	v_mov_b32_e32 v7, s11
	s_waitcnt vmcnt(0)
	v_add_u32_e32 v6, 0, v0
	v_mad_u64_u32 v[0:1], s[34:35], v1, s29, v[66:67]
	buffer_load_dword v1, off, s[96:99], 0 offset:224 ; 4-byte Folded Reload
	ds_read2_b32 v[2:3], v6 offset0:64 offset1:65
	v_lshl_add_u32 v0, v0, 7, v224
	s_waitcnt vmcnt(0)
	ds_read2st64_b32 v[4:5], v1 offset1:17
	ds_read_b32 v6, v6 offset:4608
	v_ashrrev_i32_e32 v1, 31, v0
	v_lshlrev_b64 v[0:1], 3, v[0:1]
	v_add_co_u32_e32 v0, vcc, s10, v0
	s_waitcnt lgkmcnt(1)
	v_cvt_f32_f16_sdwa v9, v4 dst_sel:DWORD dst_unused:UNUSED_PAD src0_sel:WORD_1
	v_cvt_f32_f16_e32 v8, v4
	v_cvt_f32_f16_sdwa v11, v5 dst_sel:DWORD dst_unused:UNUSED_PAD src0_sel:WORD_1
	v_cvt_f32_f16_e32 v10, v5
	v_addc_co_u32_e32 v1, vcc, v7, v1, vcc
	v_pk_fma_f32 v[8:9], v[2:3], v[8:9], 0 op_sel_hi:[0,1,0]
	s_waitcnt lgkmcnt(0)
	v_pk_fma_f32 v[4:5], v[6:7], v[10:11], v[8:9] op_sel_hi:[0,1,1]
	v_div_scale_f32 v2, s[34:35], v3, v3, v5
	v_rcp_f32_e32 v6, v2
	v_fma_f32 v7, -v2, v6, 1.0
	v_fmac_f32_e32 v6, v7, v6
	v_div_scale_f32 v7, vcc, v5, v3, v5
	v_mul_f32_e32 v8, v7, v6
	v_fma_f32 v9, -v2, v8, v7
	v_fmac_f32_e32 v8, v9, v6
	v_fma_f32 v2, -v2, v8, v7
	v_div_fmas_f32 v2, v2, v6, v8
	v_div_fixup_f32 v5, v2, v3, v5
	v_div_scale_f32 v2, s[34:35], v3, v3, v4
	v_rcp_f32_e32 v6, v2
	v_fma_f32 v7, -v2, v6, 1.0
	v_fmac_f32_e32 v6, v7, v6
	v_div_scale_f32 v7, vcc, v4, v3, v4
	v_mul_f32_e32 v8, v7, v6
	v_fma_f32 v9, -v2, v8, v7
	v_fmac_f32_e32 v8, v9, v6
	v_fma_f32 v2, -v2, v8, v7
	v_div_fmas_f32 v2, v2, v6, v8
	v_div_fixup_f32 v4, v2, v3, v4
	global_store_dwordx2 v[0:1], v[4:5], off
	v_mov_b32_e32 v0, 0
.LBB30_554:                             ;   in Loop: Header=BB30_14 Depth=1
	s_or_b64 exec, exec, s[76:77]
	v_cmp_gt_i32_e32 vcc, s53, v0
	s_mov_b64 s[76:77], -1
	s_and_saveexec_b64 s[78:79], vcc
; %bb.555:                              ;   in Loop: Header=BB30_14 Depth=1
	v_cmp_eq_u32_e32 vcc, 0, v0
	s_orn2_b64 s[76:77], vcc, exec
; %bb.556:                              ;   in Loop: Header=BB30_14 Depth=1
	s_or_b64 exec, exec, s[78:79]
	s_and_b64 exec, exec, s[76:77]
	s_cbranch_execz .LBB30_12
; %bb.557:                              ;   in Loop: Header=BB30_14 Depth=1
	buffer_load_dword v0, off, s[96:99], 0 offset:228 ; 4-byte Folded Reload
	s_waitcnt vmcnt(0)
	v_add_u32_e32 v0, s80, v0
	v_cmp_gt_i32_e32 vcc, s28, v0
	s_and_b64 s[8:9], vcc, s[8:9]
	s_and_b64 exec, exec, s[8:9]
	s_cbranch_execz .LBB30_12
; %bb.558:                              ;   in Loop: Header=BB30_14 Depth=1
	buffer_load_dword v1, off, s[96:99], 0 offset:232 ; 4-byte Folded Reload
	v_mov_b32_e32 v7, s11
	s_waitcnt vmcnt(0)
	v_add_u32_e32 v6, 0, v1
	v_mad_u64_u32 v[0:1], s[8:9], v0, s29, v[66:67]
	buffer_load_dword v1, off, s[96:99], 0 offset:236 ; 4-byte Folded Reload
	v_lshl_add_u32 v0, v0, 7, v224
	s_waitcnt vmcnt(0)
	ds_read2st64_b32 v[2:3], v1 offset1:17
	ds_read2_b32 v[4:5], v6 offset0:64 offset1:65
	ds_read_b32 v6, v6 offset:4608
	v_ashrrev_i32_e32 v1, 31, v0
	v_lshlrev_b64 v[0:1], 3, v[0:1]
	s_waitcnt lgkmcnt(2)
	v_cvt_f32_f16_sdwa v9, v2 dst_sel:DWORD dst_unused:UNUSED_PAD src0_sel:WORD_1
	v_cvt_f32_f16_e32 v8, v2
	v_cvt_f32_f16_sdwa v11, v3 dst_sel:DWORD dst_unused:UNUSED_PAD src0_sel:WORD_1
	v_cvt_f32_f16_e32 v10, v3
	v_add_co_u32_e32 v0, vcc, s10, v0
	s_waitcnt lgkmcnt(1)
	v_pk_fma_f32 v[2:3], v[4:5], v[8:9], 0 op_sel_hi:[0,1,0]
	s_waitcnt lgkmcnt(0)
	v_pk_fma_f32 v[2:3], v[6:7], v[10:11], v[2:3] op_sel_hi:[0,1,1]
	v_div_scale_f32 v4, s[8:9], v5, v5, v3
	v_rcp_f32_e32 v6, v4
	v_addc_co_u32_e32 v1, vcc, v7, v1, vcc
	v_fma_f32 v7, -v4, v6, 1.0
	v_fmac_f32_e32 v6, v7, v6
	v_div_scale_f32 v7, vcc, v3, v5, v3
	v_mul_f32_e32 v8, v7, v6
	v_fma_f32 v9, -v4, v8, v7
	v_fmac_f32_e32 v8, v9, v6
	v_fma_f32 v4, -v4, v8, v7
	v_div_scale_f32 v7, s[8:9], v5, v5, v2
	v_rcp_f32_e32 v9, v7
	v_div_fmas_f32 v4, v4, v6, v8
	v_div_fixup_f32 v3, v4, v5, v3
	v_fma_f32 v4, -v7, v9, 1.0
	v_fmac_f32_e32 v9, v4, v9
	v_div_scale_f32 v4, vcc, v2, v5, v2
	v_mul_f32_e32 v6, v4, v9
	v_fma_f32 v8, -v7, v6, v4
	v_fmac_f32_e32 v6, v8, v9
	v_fma_f32 v4, -v7, v6, v4
	v_div_fmas_f32 v4, v4, v9, v6
	v_div_fixup_f32 v2, v4, v5, v2
	global_store_dwordx2 v[0:1], v[2:3], off
	s_branch .LBB30_12
.LBB30_559:
	buffer_load_dword v4, off, s[96:99], 0 offset:108 ; 4-byte Folded Reload
	v_readlane_b32 s54, v255, 9
	v_readlane_b32 s34, v255, 11
	v_readlane_b32 s55, v255, 10
	v_readlane_b32 s35, v255, 16
	v_readlane_b32 s31, v255, 29
	v_readlane_b32 s10, v255, 17
	v_lshlrev_b32_e32 v245, 3, v79
	v_and_b32_e32 v246, 1, v79
	v_add_u32_e32 v62, 56, v79
	v_add_u32_e32 v63, 48, v79
	v_add_u32_e32 v64, 40, v79
	v_add_u32_e32 v65, 32, v79
	v_add_u32_e32 v66, 24, v79
	v_add_u32_e32 v67, 16, v79
	v_add_u32_e32 v69, 8, v79
	v_readlane_b32 s11, v255, 18
	s_andn2_b64 vcc, exec, s[8:9]
	s_cbranch_vccnz .LBB30_10
.LBB30_560:
	v_readlane_b32 s6, v255, 3
	s_abs_i32 s0, s6
	v_cvt_f32_u32_e32 v0, s0
	s_sub_i32 s3, 0, s0
	s_abs_i32 s2, s56
	s_xor_b32 s1, s56, s6
	v_rcp_iflag_f32_e32 v0, v0
	s_ashr_i32 s1, s1, 31
	v_readlane_b32 s8, v255, 2
	v_readlane_b32 s9, v255, 1
	v_mul_f32_e32 v0, 0x4f7ffffe, v0
	v_cvt_u32_f32_e32 v0, v0
	v_mov_b32_e32 v32, s65
	v_readfirstlane_b32 s4, v0
	s_mul_i32 s3, s3, s4
	s_mul_hi_u32 s3, s4, s3
	s_add_i32 s4, s4, s3
	s_mul_hi_u32 s3, s2, s4
	s_mul_i32 s4, s3, s0
	s_sub_i32 s2, s2, s4
	s_add_i32 s5, s3, 1
	s_sub_i32 s4, s2, s0
	s_cmp_ge_u32 s2, s0
	s_cselect_b32 s3, s5, s3
	s_cselect_b32 s2, s4, s2
	s_add_i32 s4, s3, 1
	s_cmp_ge_u32 s2, s0
	s_cselect_b32 s0, s4, s3
	s_abs_i32 s2, s8
	v_cvt_f32_u32_e32 v0, s2
	s_xor_b32 s0, s0, s1
	s_sub_i32 s4, s0, s1
	s_sub_i32 s3, 0, s2
	v_rcp_iflag_f32_e32 v0, v0
	s_mul_i32 s0, s4, s6
	s_sub_i32 s0, s56, s0
	s_abs_i32 s5, s0
	v_mul_f32_e32 v0, 0x4f7ffffe, v0
	v_cvt_u32_f32_e32 v0, v0
	s_xor_b32 s1, s0, s8
	s_ashr_i32 s1, s1, 31
	v_readfirstlane_b32 s6, v0
	s_mul_i32 s3, s3, s6
	s_mul_hi_u32 s3, s6, s3
	s_add_i32 s6, s6, s3
	s_mul_hi_u32 s3, s5, s6
	s_mul_i32 s6, s3, s2
	s_sub_i32 s5, s5, s6
	s_add_i32 s7, s3, 1
	s_sub_i32 s6, s5, s2
	s_cmp_ge_u32 s5, s2
	s_cselect_b32 s3, s7, s3
	s_cselect_b32 s5, s6, s5
	s_add_i32 s6, s3, 1
	s_cmp_ge_u32 s5, s2
	s_cselect_b32 s2, s6, s3
	s_abs_i32 s3, s9
	v_cvt_f32_u32_e32 v0, s3
	s_xor_b32 s2, s2, s1
	s_sub_i32 s6, 0, s3
	s_sub_i32 s5, s2, s1
	v_rcp_iflag_f32_e32 v0, v0
	s_mul_i32 s1, s5, s8
	s_sub_i32 s1, s0, s1
	s_abs_i32 s2, s1
	v_mul_f32_e32 v0, 0x4f7ffffe, v0
	v_cvt_u32_f32_e32 v0, v0
	s_xor_b32 s0, s1, s9
	s_ashr_i32 s0, s0, 31
	v_readfirstlane_b32 s7, v0
	s_mul_i32 s6, s6, s7
	s_mul_hi_u32 s6, s7, s6
	s_add_i32 s7, s7, s6
	s_mul_hi_u32 s6, s2, s7
	s_mul_i32 s7, s6, s3
	s_sub_i32 s2, s2, s7
	s_add_i32 s8, s6, 1
	s_sub_i32 s7, s2, s3
	s_cmp_ge_u32 s2, s3
	s_cselect_b32 s6, s8, s6
	s_cselect_b32 s2, s7, s2
	s_add_i32 s7, s6, 1
	s_cmp_ge_u32 s2, s3
	s_cselect_b32 s2, s7, s6
	s_xor_b32 s2, s2, s0
	s_sub_i32 s0, s2, s0
	s_mul_i32 s2, s0, s9
	s_sub_i32 s1, s1, s2
	s_ashr_i32 s2, s1, 31
	v_readlane_b32 s3, v255, 8
	s_abs_i32 s1, s1
	s_xor_b32 s2, s2, s3
	s_mul_hi_u32 s3, s1, s52
	s_mul_i32 s6, s3, s61
	s_sub_i32 s1, s1, s6
	s_add_i32 s6, s3, 1
	s_sub_i32 s7, s1, s61
	s_cmp_ge_u32 s1, s61
	s_cselect_b32 s3, s6, s3
	s_cselect_b32 s1, s7, s1
	s_add_i32 s6, s3, 1
	s_cmp_ge_u32 s1, s61
	s_cselect_b32 s1, s6, s3
	s_abs_i32 s6, s10
	v_cvt_f32_u32_e32 v0, s6
	s_xor_b32 s1, s1, s2
	s_sub_i32 s1, s1, s2
	s_cmp_eq_u64 s[22:23], 0
	v_rcp_iflag_f32_e32 v0, v0
	v_mul_f32_e32 v0, 0x4f7ffffe, v0
	v_cvt_u32_f32_e32 v0, v0
	v_readfirstlane_b32 s9, v0
	s_cbranch_scc1 .LBB30_562
; %bb.561:
	v_readlane_b32 s2, v255, 0
	s_mul_i32 s2, s4, s2
	s_add_i32 s2, s1, s2
	s_ashr_i32 s3, s2, 31
	s_lshl_b64 s[2:3], s[2:3], 2
	s_add_u32 s2, s22, s2
	s_addc_u32 s3, s23, s3
	v_mov_b32_e32 v0, 0
	global_load_dword v0, v0, s[2:3]
	s_waitcnt vmcnt(0)
	v_ashrrev_i32_e32 v1, 31, v0
	v_lshrrev_b32_e32 v1, 26, v1
	v_add_u32_e32 v0, v0, v1
	v_ashrrev_i32_e32 v0, 6, v0
	v_min_i32_e32 v32, s65, v0
.LBB30_562:
	v_readlane_b32 s10, v255, 4
	v_readlane_b32 s11, v255, 5
	s_mul_i32 s2, s5, s82
	s_lshl_b32 s0, s0, 2
	s_mul_i32 s3, s4, s11
	s_add_i32 s2, s0, s2
	s_ashr_i32 s7, s3, 31
	s_add_u32 s3, s12, s3
	s_mul_i32 s2, s2, s10
	s_addc_u32 s8, s13, s7
	s_ashr_i32 s10, s2, 31
	s_add_u32 s7, s3, s2
	s_addc_u32 s8, s8, s10
	s_lshl_b32 s12, s1, 4
	v_or_b32_e32 v1, s0, v87
	v_add_u32_e32 v0, s12, v94
	v_cmp_gt_i32_e64 s[0:1], s82, v1
	v_cmp_le_i32_e32 vcc, s28, v0
	s_xor_b64 s[0:1], s[0:1], -1
	s_waitcnt vmcnt(0)
	v_and_b32_e32 v68, 0x3ff, v4
	s_or_b64 s[2:3], vcc, s[0:1]
	s_and_saveexec_b64 s[10:11], s[2:3]
	s_xor_b64 s[2:3], exec, s[10:11]
	s_cbranch_execz .LBB30_564
; %bb.563:
	s_movk_i32 s10, 0x84
	v_mad_u32_u24 v0, v79, s10, v68
	v_lshl_add_u32 v0, v0, 2, 0
	v_mov_b32_e32 v1, 0
	ds_write2st64_b32 v0, v1, v1 offset1:1
                                        ; implicit-def: $vgpr0
.LBB30_564:
	s_andn2_saveexec_b64 s[2:3], s[2:3]
	s_cbranch_execz .LBB30_566
; %bb.565:
	v_mul_lo_u32 v0, v0, s33
	v_mul_lo_u32 v1, v87, s31
	v_add3_u32 v0, v0, v1, v68
	v_ashrrev_i32_e32 v1, 31, v0
	v_lshlrev_b64 v[0:1], 3, v[0:1]
	v_mov_b32_e32 v2, s8
	v_add_co_u32_e32 v0, vcc, s7, v0
	v_addc_co_u32_e32 v1, vcc, v2, v1, vcc
	global_load_dwordx2 v[2:3], v[0:1], off
	global_load_dwordx2 v[4:5], v[0:1], off offset:512
	s_movk_i32 s10, 0x84
	s_waitcnt vmcnt(1)
	v_cvt_f16_f32_e32 v0, v2
	v_cvt_f16_f32_e32 v1, v3
	s_waitcnt vmcnt(0)
	v_cvt_f16_f32_e32 v2, v4
	v_cvt_f16_f32_e32 v3, v5
	v_mad_u32_u24 v4, v79, s10, v68
	v_pack_b32_f16 v0, v0, v1
	v_lshl_add_u32 v4, v4, 2, 0
	v_pack_b32_f16 v1, v2, v3
	v_pk_mul_f16 v0, v85, v0
	v_pk_mul_f16 v1, v85, v1
	ds_write2st64_b32 v4, v0, v1 offset1:1
.LBB30_566:
	s_or_b64 exec, exec, s[2:3]
	v_lshrrev_b32_e32 v0, 2, v69
	v_add_u32_e32 v0, s12, v0
	v_cmp_le_i32_e32 vcc, s28, v0
	s_or_b64 s[2:3], vcc, s[0:1]
	s_and_saveexec_b64 s[10:11], s[2:3]
	s_xor_b64 s[2:3], exec, s[10:11]
	s_cbranch_execz .LBB30_568
; %bb.567:
	s_movk_i32 s10, 0x84
	v_mad_u32_u24 v0, v69, s10, v68
	v_lshl_add_u32 v0, v0, 2, 0
	v_mov_b32_e32 v1, 0
	ds_write2st64_b32 v0, v1, v1 offset1:1
                                        ; implicit-def: $vgpr0
                                        ; implicit-def: $vgpr69
.LBB30_568:
	s_andn2_saveexec_b64 s[2:3], s[2:3]
	s_cbranch_execz .LBB30_570
; %bb.569:
	v_mul_lo_u32 v0, v0, s33
	v_mul_lo_u32 v1, v87, s31
	v_add3_u32 v0, v0, v1, v68
	v_ashrrev_i32_e32 v1, 31, v0
	v_lshlrev_b64 v[0:1], 3, v[0:1]
	v_mov_b32_e32 v2, s8
	v_add_co_u32_e32 v0, vcc, s7, v0
	v_addc_co_u32_e32 v1, vcc, v2, v1, vcc
	global_load_dwordx2 v[2:3], v[0:1], off
	global_load_dwordx2 v[4:5], v[0:1], off offset:512
	s_movk_i32 s10, 0x84
	s_waitcnt vmcnt(1)
	v_cvt_f16_f32_e32 v0, v2
	v_cvt_f16_f32_e32 v1, v3
	s_waitcnt vmcnt(0)
	v_cvt_f16_f32_e32 v2, v4
	v_cvt_f16_f32_e32 v3, v5
	v_mad_u32_u24 v4, v69, s10, v68
	v_pack_b32_f16 v0, v0, v1
	v_lshl_add_u32 v4, v4, 2, 0
	v_pack_b32_f16 v1, v2, v3
	v_pk_mul_f16 v0, v85, v0
	v_pk_mul_f16 v1, v85, v1
	ds_write2st64_b32 v4, v0, v1 offset1:1
.LBB30_570:
	s_or_b64 exec, exec, s[2:3]
	v_lshrrev_b32_e32 v0, 2, v67
	v_add_u32_e32 v0, s12, v0
	v_cmp_le_i32_e32 vcc, s28, v0
	s_or_b64 s[2:3], vcc, s[0:1]
	s_and_saveexec_b64 s[10:11], s[2:3]
	s_xor_b64 s[2:3], exec, s[10:11]
	s_cbranch_execz .LBB30_572
; %bb.571:
	s_movk_i32 s10, 0x84
	v_mad_u32_u24 v0, v67, s10, v68
	v_lshl_add_u32 v0, v0, 2, 0
	v_mov_b32_e32 v1, 0
	ds_write2st64_b32 v0, v1, v1 offset1:1
                                        ; implicit-def: $vgpr0
                                        ; implicit-def: $vgpr67
.LBB30_572:
	s_andn2_saveexec_b64 s[2:3], s[2:3]
	s_cbranch_execz .LBB30_574
; %bb.573:
	v_mul_lo_u32 v0, v0, s33
	v_mul_lo_u32 v1, v87, s31
	v_add3_u32 v0, v0, v1, v68
	v_ashrrev_i32_e32 v1, 31, v0
	v_lshlrev_b64 v[0:1], 3, v[0:1]
	v_mov_b32_e32 v2, s8
	v_add_co_u32_e32 v0, vcc, s7, v0
	v_addc_co_u32_e32 v1, vcc, v2, v1, vcc
	global_load_dwordx2 v[2:3], v[0:1], off
	global_load_dwordx2 v[4:5], v[0:1], off offset:512
	s_movk_i32 s10, 0x84
	s_waitcnt vmcnt(1)
	v_cvt_f16_f32_e32 v0, v2
	v_cvt_f16_f32_e32 v1, v3
	s_waitcnt vmcnt(0)
	v_cvt_f16_f32_e32 v2, v4
	v_cvt_f16_f32_e32 v3, v5
	v_mad_u32_u24 v4, v67, s10, v68
	v_pack_b32_f16 v0, v0, v1
	v_lshl_add_u32 v4, v4, 2, 0
	v_pack_b32_f16 v1, v2, v3
	v_pk_mul_f16 v0, v85, v0
	v_pk_mul_f16 v1, v85, v1
	ds_write2st64_b32 v4, v0, v1 offset1:1
.LBB30_574:
	s_or_b64 exec, exec, s[2:3]
	v_lshrrev_b32_e32 v0, 2, v66
	v_add_u32_e32 v0, s12, v0
	v_cmp_le_i32_e32 vcc, s28, v0
	s_or_b64 s[2:3], vcc, s[0:1]
	s_and_saveexec_b64 s[10:11], s[2:3]
	s_xor_b64 s[2:3], exec, s[10:11]
	s_cbranch_execz .LBB30_576
; %bb.575:
	s_movk_i32 s10, 0x84
	v_mad_u32_u24 v0, v66, s10, v68
	v_lshl_add_u32 v0, v0, 2, 0
	v_mov_b32_e32 v1, 0
	ds_write2st64_b32 v0, v1, v1 offset1:1
                                        ; implicit-def: $vgpr0
                                        ; implicit-def: $vgpr66
.LBB30_576:
	s_andn2_saveexec_b64 s[2:3], s[2:3]
	s_cbranch_execz .LBB30_578
; %bb.577:
	v_mul_lo_u32 v0, v0, s33
	v_mul_lo_u32 v1, v87, s31
	v_add3_u32 v0, v0, v1, v68
	v_ashrrev_i32_e32 v1, 31, v0
	v_lshlrev_b64 v[0:1], 3, v[0:1]
	v_mov_b32_e32 v2, s8
	v_add_co_u32_e32 v0, vcc, s7, v0
	v_addc_co_u32_e32 v1, vcc, v2, v1, vcc
	global_load_dwordx2 v[2:3], v[0:1], off
	global_load_dwordx2 v[4:5], v[0:1], off offset:512
	s_movk_i32 s10, 0x84
	s_waitcnt vmcnt(1)
	v_cvt_f16_f32_e32 v0, v2
	v_cvt_f16_f32_e32 v1, v3
	s_waitcnt vmcnt(0)
	v_cvt_f16_f32_e32 v2, v4
	v_cvt_f16_f32_e32 v3, v5
	v_mad_u32_u24 v4, v66, s10, v68
	v_pack_b32_f16 v0, v0, v1
	v_lshl_add_u32 v4, v4, 2, 0
	v_pack_b32_f16 v1, v2, v3
	v_pk_mul_f16 v0, v85, v0
	v_pk_mul_f16 v1, v85, v1
	ds_write2st64_b32 v4, v0, v1 offset1:1
.LBB30_578:
	s_or_b64 exec, exec, s[2:3]
	v_lshrrev_b32_e32 v0, 2, v65
	v_add_u32_e32 v0, s12, v0
	v_cmp_le_i32_e32 vcc, s28, v0
	s_or_b64 s[2:3], vcc, s[0:1]
	s_and_saveexec_b64 s[10:11], s[2:3]
	s_xor_b64 s[2:3], exec, s[10:11]
	s_cbranch_execz .LBB30_580
; %bb.579:
	s_movk_i32 s10, 0x84
	v_mad_u32_u24 v0, v65, s10, v68
	v_lshl_add_u32 v0, v0, 2, 0
	v_mov_b32_e32 v1, 0
	ds_write2st64_b32 v0, v1, v1 offset1:1
                                        ; implicit-def: $vgpr0
                                        ; implicit-def: $vgpr65
.LBB30_580:
	s_andn2_saveexec_b64 s[2:3], s[2:3]
	s_cbranch_execz .LBB30_582
; %bb.581:
	v_mul_lo_u32 v0, v0, s33
	v_mul_lo_u32 v1, v87, s31
	v_add3_u32 v0, v0, v1, v68
	v_ashrrev_i32_e32 v1, 31, v0
	v_lshlrev_b64 v[0:1], 3, v[0:1]
	v_mov_b32_e32 v2, s8
	v_add_co_u32_e32 v0, vcc, s7, v0
	v_addc_co_u32_e32 v1, vcc, v2, v1, vcc
	global_load_dwordx2 v[2:3], v[0:1], off
	global_load_dwordx2 v[4:5], v[0:1], off offset:512
	s_movk_i32 s10, 0x84
	s_waitcnt vmcnt(1)
	v_cvt_f16_f32_e32 v0, v2
	v_cvt_f16_f32_e32 v1, v3
	s_waitcnt vmcnt(0)
	v_cvt_f16_f32_e32 v2, v4
	v_cvt_f16_f32_e32 v3, v5
	v_mad_u32_u24 v4, v65, s10, v68
	v_pack_b32_f16 v0, v0, v1
	v_lshl_add_u32 v4, v4, 2, 0
	v_pack_b32_f16 v1, v2, v3
	v_pk_mul_f16 v0, v85, v0
	v_pk_mul_f16 v1, v85, v1
	ds_write2st64_b32 v4, v0, v1 offset1:1
.LBB30_582:
	s_or_b64 exec, exec, s[2:3]
	v_lshrrev_b32_e32 v0, 2, v64
	v_add_u32_e32 v0, s12, v0
	v_cmp_le_i32_e32 vcc, s28, v0
	s_sub_i32 s10, 0, s6
	s_or_b64 s[2:3], vcc, s[0:1]
	s_and_saveexec_b64 s[20:21], s[2:3]
	s_xor_b64 s[2:3], exec, s[20:21]
	s_cbranch_execz .LBB30_584
; %bb.583:
	s_movk_i32 s11, 0x84
	v_mad_u32_u24 v0, v64, s11, v68
	v_lshl_add_u32 v0, v0, 2, 0
	v_mov_b32_e32 v1, 0
	ds_write2st64_b32 v0, v1, v1 offset1:1
                                        ; implicit-def: $vgpr0
                                        ; implicit-def: $vgpr64
.LBB30_584:
	s_or_saveexec_b64 s[2:3], s[2:3]
	s_mul_i32 s10, s10, s9
	s_xor_b64 exec, exec, s[2:3]
	s_cbranch_execz .LBB30_586
; %bb.585:
	v_mul_lo_u32 v0, v0, s33
	v_mul_lo_u32 v1, v87, s31
	v_add3_u32 v0, v0, v1, v68
	v_ashrrev_i32_e32 v1, 31, v0
	v_lshlrev_b64 v[0:1], 3, v[0:1]
	v_mov_b32_e32 v2, s8
	v_add_co_u32_e32 v0, vcc, s7, v0
	v_addc_co_u32_e32 v1, vcc, v2, v1, vcc
	global_load_dwordx2 v[2:3], v[0:1], off
	global_load_dwordx2 v[4:5], v[0:1], off offset:512
	s_movk_i32 s11, 0x84
	s_waitcnt vmcnt(1)
	v_cvt_f16_f32_e32 v0, v2
	v_cvt_f16_f32_e32 v1, v3
	s_waitcnt vmcnt(0)
	v_cvt_f16_f32_e32 v2, v4
	v_cvt_f16_f32_e32 v3, v5
	v_mad_u32_u24 v4, v64, s11, v68
	v_pack_b32_f16 v0, v0, v1
	v_lshl_add_u32 v4, v4, 2, 0
	v_pack_b32_f16 v1, v2, v3
	v_pk_mul_f16 v0, v85, v0
	v_pk_mul_f16 v1, v85, v1
	ds_write2st64_b32 v4, v0, v1 offset1:1
.LBB30_586:
	s_or_b64 exec, exec, s[2:3]
	v_lshrrev_b32_e32 v0, 2, v63
	v_add_u32_e32 v0, s12, v0
	v_cmp_le_i32_e32 vcc, s28, v0
	s_mul_hi_u32 s11, s9, s10
	s_or_b64 s[2:3], vcc, s[0:1]
	s_and_saveexec_b64 s[20:21], s[2:3]
	s_xor_b64 s[2:3], exec, s[20:21]
	s_cbranch_execz .LBB30_588
; %bb.587:
	s_movk_i32 s10, 0x84
	v_mad_u32_u24 v0, v63, s10, v68
	v_lshl_add_u32 v0, v0, 2, 0
	v_mov_b32_e32 v1, 0
	ds_write2st64_b32 v0, v1, v1 offset1:1
                                        ; implicit-def: $vgpr0
                                        ; implicit-def: $vgpr63
.LBB30_588:
	s_or_saveexec_b64 s[2:3], s[2:3]
	s_abs_i32 s10, s4
	s_add_i32 s9, s9, s11
	s_xor_b64 exec, exec, s[2:3]
	s_cbranch_execz .LBB30_590
; %bb.589:
	v_mul_lo_u32 v0, v0, s33
	v_mul_lo_u32 v1, v87, s31
	v_add3_u32 v0, v0, v1, v68
	v_ashrrev_i32_e32 v1, 31, v0
	v_lshlrev_b64 v[0:1], 3, v[0:1]
	v_mov_b32_e32 v2, s8
	v_add_co_u32_e32 v0, vcc, s7, v0
	v_addc_co_u32_e32 v1, vcc, v2, v1, vcc
	global_load_dwordx2 v[2:3], v[0:1], off
	global_load_dwordx2 v[4:5], v[0:1], off offset:512
	s_movk_i32 s11, 0x84
	s_waitcnt vmcnt(1)
	v_cvt_f16_f32_e32 v0, v2
	v_cvt_f16_f32_e32 v1, v3
	s_waitcnt vmcnt(0)
	v_cvt_f16_f32_e32 v2, v4
	v_cvt_f16_f32_e32 v3, v5
	v_mad_u32_u24 v4, v63, s11, v68
	v_pack_b32_f16 v0, v0, v1
	v_lshl_add_u32 v4, v4, 2, 0
	v_pack_b32_f16 v1, v2, v3
	v_pk_mul_f16 v0, v85, v0
	v_pk_mul_f16 v1, v85, v1
	ds_write2st64_b32 v4, v0, v1 offset1:1
.LBB30_590:
	s_or_b64 exec, exec, s[2:3]
	v_lshrrev_b32_e32 v0, 2, v62
	v_add_u32_e32 v0, s12, v0
	v_cmp_le_i32_e32 vcc, s28, v0
	s_mul_hi_u32 s2, s10, s9
	s_or_b64 s[0:1], vcc, s[0:1]
	s_and_saveexec_b64 s[20:21], s[0:1]
	s_xor_b64 s[0:1], exec, s[20:21]
	s_cbranch_execz .LBB30_592
; %bb.591:
	s_movk_i32 s3, 0x84
	v_mad_u32_u24 v0, v62, s3, v68
	v_lshl_add_u32 v0, v0, 2, 0
	v_mov_b32_e32 v1, 0
	ds_write2st64_b32 v0, v1, v1 offset1:1
                                        ; implicit-def: $vgpr0
                                        ; implicit-def: $vgpr87
                                        ; implicit-def: $vgpr85
                                        ; implicit-def: $vgpr62
.LBB30_592:
	s_or_saveexec_b64 s[0:1], s[0:1]
	s_ashr_i32 s3, s4, 31
	s_xor_b64 exec, exec, s[0:1]
	s_cbranch_execz .LBB30_594
; %bb.593:
	v_mul_lo_u32 v0, v0, s33
	v_mul_lo_u32 v1, v87, s31
	v_add3_u32 v0, v0, v1, v68
	v_ashrrev_i32_e32 v1, 31, v0
	v_lshlrev_b64 v[0:1], 3, v[0:1]
	v_mov_b32_e32 v2, s8
	v_add_co_u32_e32 v0, vcc, s7, v0
	v_addc_co_u32_e32 v1, vcc, v2, v1, vcc
	global_load_dwordx2 v[2:3], v[0:1], off
	global_load_dwordx2 v[4:5], v[0:1], off offset:512
	s_movk_i32 s7, 0x84
	s_waitcnt vmcnt(1)
	v_cvt_f16_f32_e32 v0, v2
	v_cvt_f16_f32_e32 v1, v3
	s_waitcnt vmcnt(0)
	v_cvt_f16_f32_e32 v2, v4
	v_cvt_f16_f32_e32 v3, v5
	v_mad_u32_u24 v4, v62, s7, v68
	v_pack_b32_f16 v0, v0, v1
	v_lshl_add_u32 v4, v4, 2, 0
	v_pack_b32_f16 v1, v2, v3
	v_pk_mul_f16 v0, v85, v0
	v_pk_mul_f16 v1, v85, v1
	ds_write2st64_b32 v4, v0, v1 offset1:1
.LBB30_594:
	s_or_b64 exec, exec, s[0:1]
	s_mul_i32 s0, s4, s37
	s_mul_hi_u32 s1, s4, s36
	s_add_i32 s0, s1, s0
	s_mul_i32 s1, s3, s36
	v_readlane_b32 s8, v255, 6
	s_add_i32 s0, s0, s1
	s_mul_i32 s1, s4, s36
	v_readlane_b32 s9, v255, 7
	s_add_u32 s1, s14, s1
	s_mul_i32 s7, s5, s9
	s_addc_u32 s0, s15, s0
	s_ashr_i32 s9, s7, 31
	s_add_u32 s8, s1, s7
	s_mul_i32 s2, s2, s6
	s_addc_u32 s9, s0, s9
	s_sub_i32 s0, s10, s2
	s_sub_i32 s1, s0, s6
	s_cmp_ge_u32 s0, s6
	s_cselect_b32 s0, s1, s0
	s_sub_i32 s1, s0, s6
	s_cmp_ge_u32 s0, s6
	s_cselect_b32 s0, s1, s0
	s_xor_b32 s0, s0, s3
	s_sub_i32 s0, s0, s3
	s_ashr_i32 s1, s0, 31
	s_mul_i32 s2, s0, s51
	s_mul_hi_u32 s6, s0, s50
	s_add_i32 s2, s6, s2
	s_mul_i32 s1, s1, s50
	s_add_i32 s2, s2, s1
	s_mul_i32 s0, s0, s50
	s_add_u32 s10, s18, s0
	s_mul_i32 s0, s4, s49
	s_mul_hi_u32 s1, s4, s48
	s_addc_u32 s11, s19, s2
	s_add_i32 s0, s1, s0
	s_mul_i32 s3, s3, s48
	s_add_i32 s0, s0, s3
	s_mul_i32 s4, s4, s48
	s_add_u32 s1, s16, s4
	s_mul_i32 s5, s5, s39
	s_addc_u32 s0, s17, s0
	s_ashr_i32 s2, s5, 31
	s_add_u32 s6, s1, s5
	v_lshrrev_b32_e32 v1, 3, v68
	s_addc_u32 s7, s0, s2
	v_and_b32_e32 v34, 0x1ff0, v245
	s_movk_i32 s0, 0x210
	v_and_b32_e32 v69, 15, v68
	v_and_b32_e32 v70, 0x7e, v1
	v_mad_u32_u24 v0, v34, s0, 0
	v_mul_u32_u24_e32 v111, 0x210, v69
	v_lshlrev_b32_e32 v110, 2, v70
	v_add3_u32 v0, v0, v111, v110
	s_waitcnt lgkmcnt(0)
	s_barrier
	ds_read2_b64 v[28:31], v0 offset1:4
	ds_read2_b64 v[24:27], v0 offset0:8 offset1:12
	ds_read2_b64 v[20:23], v0 offset0:16 offset1:20
	ds_read2_b64 v[16:19], v0 offset0:24 offset1:28
	ds_read2_b64 v[12:15], v0 offset0:32 offset1:36
	ds_read2_b64 v[8:11], v0 offset0:40 offset1:44
	ds_read2_b64 v[4:7], v0 offset0:48 offset1:52
	ds_read2_b64 v[0:3], v0 offset0:56 offset1:60
	v_add_u32_e32 v118, -1, v32
	v_lshrrev_b32_e32 v32, 5, v68
	v_lshl_add_u32 v32, v79, 1, v32
	v_add_u32_e32 v33, s12, v32
	v_mul_hi_u32 v35, s46, v33
	v_add_u32_e32 v35, v33, v35
	v_lshrrev_b32_e32 v35, s47, v35
	v_cmp_lt_i32_e32 vcc, s78, v118
	v_mul_lo_u32 v35, v35, s28
	v_sub_u32_e32 v33, v33, v35
	s_waitcnt lgkmcnt(0)
	s_barrier
	s_cbranch_vccnz .LBB30_597
; %bb.595:
	v_lshlrev_b32_e32 v35, 1, v68
	v_mad_i64_i32 v[46:47], s[2:3], v33, s44, 0
	v_and_b32_e32 v42, 62, v35
	v_lshlrev_b32_e32 v35, 2, v68
	v_mul_lo_u32 v48, s42, v32
	s_lshl_b32 s2, s42, 4
	v_and_b32_e32 v44, 0x7c, v35
	v_mov_b32_e32 v35, 0x2100
	v_add_u32_e32 v50, s2, v48
	v_mad_u32_u24 v113, v32, s0, v35
	v_mov_b32_e32 v35, 0x4200
	v_add_u32_e32 v52, s2, v50
	v_lshlrev_b32_e32 v71, 4, v79
	v_mov_b32_e32 v43, 0
	v_mad_u32_u24 v114, v32, s0, v35
	v_mov_b32_e32 v35, 0x6300
	v_add_u32_e32 v54, s2, v52
	v_and_b32_e32 v81, 16, v71
	s_mov_b32 s4, 0
	s_ashr_i32 s1, s42, 31
	v_mul_u32_u24_e32 v112, 0x210, v32
	v_mov_b32_e32 v45, v43
	v_ashrrev_i32_e32 v49, 31, v48
	v_add_u32_e32 v75, 16, v32
	v_ashrrev_i32_e32 v51, 31, v50
	v_add_u32_e32 v76, 32, v32
	;; [unrolled: 2-line block ×3, first 2 shown]
	v_mad_u32_u24 v115, v32, s0, v35
	v_ashrrev_i32_e32 v55, 31, v54
	v_mul_u32_u24_e32 v116, 0x210, v81
	s_mov_b64 s[2:3], 0
	s_mov_b32 s5, 0xfeffffff
	s_branch .LBB30_598
.LBB30_596:
                                        ; implicit-def: $sgpr60_sgpr61
	s_load_dwordx2 s[46:47], s[4:5], 0x5c
	s_branch .LBB30_7
.LBB30_597:
	s_mov_b64 s[2:3], -1
                                        ; implicit-def: $sgpr4
                                        ; implicit-def: $sgpr5
                                        ; implicit-def: $vgpr42
                                        ; implicit-def: $vgpr46_vgpr47
                                        ; implicit-def: $vgpr112
                                        ; implicit-def: $vgpr44
                                        ; implicit-def: $vgpr48_vgpr49
                                        ; implicit-def: $vgpr75
                                        ; implicit-def: $vgpr113
                                        ; implicit-def: $vgpr50_vgpr51
                                        ; implicit-def: $vgpr76
                                        ; implicit-def: $vgpr114
                                        ; implicit-def: $vgpr52_vgpr53
                                        ; implicit-def: $vgpr78
                                        ; implicit-def: $vgpr115
                                        ; implicit-def: $vgpr54_vgpr55
                                        ; implicit-def: $vgpr71
                                        ; implicit-def: $vgpr81
                                        ; implicit-def: $vgpr116
                                        ; implicit-def: $sgpr0_sgpr1
.LBB30_598:
	v_mul_lo_u32 v40, s30, v32
	v_mul_u32_u24_e32 v117, 0x90, v32
	s_andn2_b64 vcc, exec, s[2:3]
	v_mov_b32_e32 v119, s4
	v_mov_b32_e32 v80, s4
	;; [unrolled: 1-line block ×3, first 2 shown]
	v_lshrrev_b32_e32 v74, 2, v68
	v_and_or_b32 v104, v68, 12, v34
	v_mbcnt_lo_u32_b32 v100, -1, 0
	v_ashrrev_i32_e32 v41, 31, v40
	v_and_b32_e32 v67, 8, v245
	v_lshlrev_b32_e32 v66, 1, v69
	v_mov_b32_e32 v120, s4
	v_mov_b32_e32 v97, s4
	;; [unrolled: 1-line block ×31, first 2 shown]
	s_cbranch_vccnz .LBB30_634
; %bb.599:
	v_lshlrev_b32_e32 v34, 1, v68
	v_mad_i64_i32 v[46:47], s[0:1], v33, s44, 0
	v_and_b32_e32 v42, 62, v34
	v_lshlrev_b64 v[34:35], 1, v[46:47]
	v_mov_b32_e32 v33, s11
	v_add_co_u32_e32 v34, vcc, s10, v34
	v_lshlrev_b32_e32 v37, 1, v42
	v_addc_co_u32_e32 v33, vcc, v33, v35, vcc
	v_add_co_u32_e32 v123, vcc, v34, v37
	v_lshlrev_b32_e32 v34, 2, v68
	v_and_b32_e32 v44, 0x7c, v34
	v_add_u32_e32 v36, 0, v117
	v_addc_co_u32_e32 v124, vcc, 0, v33, vcc
	v_mul_u32_u24_e32 v33, 0x180, v32
	v_lshlrev_b32_e32 v34, 2, v44
	s_movk_i32 s0, 0x210
	v_add3_u32 v125, v36, v33, v34
	v_mul_lo_u32 v48, s42, v32
	v_mov_b32_e32 v33, 0x2100
	s_lshl_b32 s3, s42, 4
	v_mad_u32_u24 v113, v32, s0, v33
	v_add_u32_e32 v50, s3, v48
	v_mov_b32_e32 v33, 0x4200
	v_mad_u32_u24 v114, v32, s0, v33
	v_add_u32_e32 v52, s3, v50
	v_mov_b32_e32 v33, 0x6300
	v_lshlrev_b32_e32 v71, 4, v79
	v_mad_u32_u24 v115, v32, s0, v33
	v_add_u32_e32 v54, s3, v52
	v_and_b32_e32 v81, 16, v71
	v_and_b32_e32 v39, 0xfc, v74
	v_lshrrev_b32_e32 v33, 2, v104
	s_movk_i32 s3, 0x90
	v_mul_u32_u24_e32 v112, 0x210, v32
	v_add_u32_e32 v75, 16, v32
	v_add_u32_e32 v76, 32, v32
	;; [unrolled: 1-line block ×4, first 2 shown]
	v_mad_u32_u24 v33, v33, s3, 0
	v_add_u16_e32 v34, v39, v81
	v_lshl_add_u32 v32, v32, 1, v33
	v_lshrrev_b16_e32 v34, 1, v34
	v_add_u32_e32 v129, 64, v32
	v_add_u32_e32 v130, 0x44, v32
	v_mbcnt_hi_u32_b32 v32, -1, v100
	v_lshl_add_u32 v56, v34, 2, v33
	v_and_b32_e32 v33, 64, v32
	v_add_u32_e32 v33, 64, v33
	v_xor_b32_e32 v34, 32, v32
	v_cmp_lt_i32_e32 vcc, v34, v33
	v_cndmask_b32_e32 v34, v32, v34, vcc
	v_lshlrev_b32_e32 v131, 2, v34
	v_xor_b32_e32 v34, 16, v32
	v_cmp_lt_i32_e32 vcc, v34, v33
	v_cndmask_b32_e32 v32, v32, v34, vcc
	s_lshl_b32 s3, s30, 4
	v_lshlrev_b32_e32 v132, 2, v32
	v_add_u32_e32 v32, s3, v40
	v_add_u32_e32 v34, s3, v32
	;; [unrolled: 1-line block ×4, first 2 shown]
	v_mul_u32_u24_e32 v57, 0x108, v39
	s_movk_i32 s3, 0x420
	v_or_b32_e32 v57, v57, v69
	v_mul_u32_u24_e32 v58, 0x210, v39
	v_or_b32_e32 v59, 3, v74
	v_mul_u32_u24_e32 v60, 0x420, v67
	v_mad_u32_u24 v61, v67, s3, 0
	v_mul_u32_u24_e32 v59, 0x210, v59
	v_lshlrev_b32_e32 v57, 1, v57
	v_add3_u32 v134, v61, v58, v66
	v_add3_u32 v58, 0, 32, v60
	v_add_u32_e32 v133, v61, v57
	v_add3_u32 v135, v61, v59, v66
	v_add_u32_e32 v138, v58, v57
	v_mad_u32_u24 v61, v39, s0, v58
	v_add3_u32 v141, v58, v59, v66
	v_add3_u32 v58, 0, 64, v60
	s_add_i32 s4, 0, 0x60
	v_add_u32_e32 v143, v58, v57
	v_mad_u32_u24 v60, v39, s0, v58
	v_add3_u32 v146, v58, v59, v66
	v_mov_b32_e32 v58, s4
	s_movk_i32 s2, 0x4200
	v_mad_u32_u24 v58, v67, s3, v58
	s_add_i32 s4, 0, 0x80
	v_add3_u32 v144, v60, v66, s2
	v_add_u32_e32 v148, v58, v57
	v_mad_u32_u24 v60, v39, s0, v58
	v_add3_u32 v151, v58, v59, v66
	v_mov_b32_e32 v58, s4
	v_mad_u32_u24 v58, v67, s3, v58
	s_add_i32 s4, 0, 0xa0
	v_add3_u32 v149, v60, v66, s2
	v_add_u32_e32 v153, v58, v57
	v_mad_u32_u24 v60, v39, s0, v58
	v_add3_u32 v156, v58, v59, v66
	v_mov_b32_e32 v58, s4
	;; [unrolled: 7-line block ×12, first 2 shown]
	v_mad_u32_u24 v58, v67, s3, v58
	v_mov_b32_e32 v43, 0
	v_add3_u32 v38, 0, v111, v110
	v_mul_u32_u24_e32 v116, 0x210, v81
	v_ashrrev_i32_e32 v33, 31, v32
	v_ashrrev_i32_e32 v35, 31, v34
	;; [unrolled: 1-line block ×3, first 2 shown]
	v_add_u32_e32 v208, v58, v57
	v_mad_u32_u24 v39, v39, s0, v58
	s_ashr_i32 s1, s42, 31
	v_mov_b32_e32 v45, v43
	v_ashrrev_i32_e32 v49, 31, v48
	v_add_u32_e32 v126, 0x2100, v125
	v_ashrrev_i32_e32 v51, 31, v50
	v_add_u32_e32 v127, 0x4200, v125
	;; [unrolled: 2-line block ×4, first 2 shown]
	v_add_u32_e32 v137, 32, v134
	v_add3_u32 v139, v61, v66, s2
	v_add_u32_e32 v140, 0x4200, v138
	v_add_u32_e32 v142, 64, v134
	;; [unrolled: 1-line block ×26, first 2 shown]
	v_add3_u32 v204, v60, v66, s2
	v_add_u32_e32 v205, 0x4200, v203
	v_add_u32_e32 v207, 0x1e0, v134
	v_add3_u32 v209, v39, v66, s2
	v_add_u32_e32 v210, 0x4200, v208
	v_add3_u32 v211, v58, v59, v66
	s_mov_b32 s41, s40
	s_lshl_b32 s2, s78, 6
	v_mov_b32_e32 v80, 0xfeffffff
	v_lshlrev_b32_e32 v212, 2, v44
	v_add_u32_e32 v213, v38, v116
	s_mov_b32 s0, 0x3f200000
	s_mov_b32 s12, 0x3fb8aa3b
	;; [unrolled: 1-line block ×4, first 2 shown]
	v_mov_b32_e32 v214, 0xbd5c1c4e
	v_mov_b32_e32 v215, 0x3e088382
	;; [unrolled: 1-line block ×3, first 2 shown]
	s_brev_b32 s15, -2
	v_add_u32_e32 v217, 0x8400, v56
	s_mov_b32 s16, 0xc1a00000
	v_lshlrev_b64 v[56:57], 2, v[40:41]
	v_lshlrev_b64 v[58:59], 2, v[32:33]
	;; [unrolled: 1-line block ×4, first 2 shown]
	s_mov_b32 s17, 0x5040100
	v_mov_b32_e32 v218, 0x7f800000
	v_mov_b32_e32 v64, v43
	;; [unrolled: 1-line block ×34, first 2 shown]
.LBB30_600:                             ; =>This Inner Loop Header: Depth=1
	s_ashr_i32 s3, s2, 31
	s_lshl_b64 s[4:5], s[2:3], 1
	v_mov_b32_e32 v33, s5
	v_add_co_u32_e32 v32, vcc, s4, v123
	s_mul_hi_i32 s5, s2, s42
	s_mul_i32 s4, s2, s42
	s_lshl_b64 s[4:5], s[4:5], 2
	v_addc_co_u32_e32 v33, vcc, v124, v33, vcc
	s_add_u32 s3, s8, s4
	global_load_dword v219, v[32:33], off
	s_addc_u32 s4, s9, s5
	v_lshlrev_b64 v[32:33], 2, v[48:49]
	v_mov_b32_e32 v34, s4
	v_add_co_u32_e32 v32, vcc, s3, v32
	v_addc_co_u32_e32 v33, vcc, v34, v33, vcc
	v_add_co_u32_e32 v32, vcc, v32, v212
	v_addc_co_u32_e32 v33, vcc, 0, v33, vcc
	v_lshlrev_b64 v[34:35], 2, v[50:51]
	v_mov_b32_e32 v36, s4
	v_add_co_u32_e32 v34, vcc, s3, v34
	v_addc_co_u32_e32 v35, vcc, v36, v35, vcc
	v_add_co_u32_e32 v36, vcc, v34, v212
	v_addc_co_u32_e32 v37, vcc, 0, v35, vcc
	;; [unrolled: 6-line block ×4, first 2 shown]
	global_load_dwordx4 v[32:35], v[32:33], off
	s_nop 0
	global_load_dwordx4 v[36:39], v[36:37], off
	s_nop 0
	;; [unrolled: 2-line block ×3, first 2 shown]
	global_load_dwordx4 v[224:227], v[224:225], off
	s_waitcnt vmcnt(4)
	ds_write_b32 v122, v219 offset:33792
	s_waitcnt vmcnt(3)
	ds_write_b128 v125, v[32:35]
	s_waitcnt vmcnt(2)
	ds_write_b128 v126, v[36:39]
	;; [unrolled: 2-line block ×4, first 2 shown]
	v_add_u32_e32 v219, 0x4000, v213
	s_waitcnt lgkmcnt(0)
	s_barrier
	ds_read2_b64 v[32:35], v213 offset1:4
	ds_read2_b64 v[220:223], v219 offset0:64 offset1:68
	s_waitcnt lgkmcnt(1)
	v_mfma_f32_16x16x16f16 v[36:39], v[32:33], v[28:29], 0
	s_waitcnt lgkmcnt(0)
	v_mfma_f32_16x16x16f16 v[224:227], v[220:221], v[28:29], 0
	v_mfma_f32_16x16x16f16 v[32:35], v[34:35], v[30:31], v[36:39]
	;; [unrolled: 1-line block ×3, first 2 shown]
	ds_read2_b64 v[220:223], v213 offset0:8 offset1:12
	s_waitcnt lgkmcnt(0)
	v_mfma_f32_16x16x16f16 v[32:35], v[220:221], v[24:25], v[32:35]
	s_nop 5
	ds_read2_b64 v[224:227], v219 offset0:72 offset1:76
	v_mfma_f32_16x16x16f16 v[32:35], v[222:223], v[26:27], v[32:35]
	ds_read2_b64 v[220:223], v213 offset0:16 offset1:20
	s_waitcnt lgkmcnt(0)
	v_mfma_f32_16x16x16f16 v[32:35], v[220:221], v[20:21], v[32:35]
	v_mfma_f32_16x16x16f16 v[32:35], v[222:223], v[22:23], v[32:35]
	ds_read2_b64 v[220:223], v213 offset0:24 offset1:28
	s_waitcnt lgkmcnt(0)
	v_mfma_f32_16x16x16f16 v[32:35], v[220:221], v[16:17], v[32:35]
	v_mfma_f32_16x16x16f16 v[36:39], v[224:225], v[24:25], v[36:39]
	;; [unrolled: 1-line block ×3, first 2 shown]
	ds_read2_b64 v[220:223], v213 offset0:32 offset1:36
	v_mfma_f32_16x16x16f16 v[36:39], v[226:227], v[26:27], v[36:39]
	ds_read2_b64 v[224:227], v219 offset0:80 offset1:84
	s_waitcnt lgkmcnt(1)
	v_mfma_f32_16x16x16f16 v[32:35], v[220:221], v[12:13], v[32:35]
	s_waitcnt lgkmcnt(0)
	v_mfma_f32_16x16x16f16 v[36:39], v[224:225], v[20:21], v[36:39]
	v_mfma_f32_16x16x16f16 v[32:35], v[222:223], v[14:15], v[32:35]
	ds_read2_b64 v[220:223], v213 offset0:40 offset1:44
	v_mfma_f32_16x16x16f16 v[36:39], v[226:227], v[22:23], v[36:39]
	ds_read2_b64 v[224:227], v219 offset0:88 offset1:92
	s_waitcnt lgkmcnt(1)
	v_mfma_f32_16x16x16f16 v[32:35], v[220:221], v[8:9], v[32:35]
	s_waitcnt lgkmcnt(0)
	v_mfma_f32_16x16x16f16 v[36:39], v[224:225], v[16:17], v[36:39]
	v_mfma_f32_16x16x16f16 v[32:35], v[222:223], v[10:11], v[32:35]
	;; [unrolled: 8-line block ×4, first 2 shown]
	ds_read2_b64 v[220:223], v219 offset0:112 offset1:116
	v_mfma_f32_16x16x16f16 v[36:39], v[226:227], v[10:11], v[36:39]
	s_nop 7
	s_nop 0
	v_cmp_nlt_f32_e64 s[4:5], |v32|, s0
	s_waitcnt lgkmcnt(0)
	v_mfma_f32_16x16x16f16 v[36:39], v[220:221], v[4:5], v[36:39]
	v_mfma_f32_16x16x16f16 v[36:39], v[222:223], v[6:7], v[36:39]
	ds_read2_b64 v[220:223], v219 offset0:120 offset1:124
	s_waitcnt lgkmcnt(0)
	s_barrier
	s_waitcnt lgkmcnt(0)
                                        ; implicit-def: $vgpr219
	v_mfma_f32_16x16x16f16 v[36:39], v[220:221], v[0:1], v[36:39]
	v_mfma_f32_16x16x16f16 v[36:39], v[222:223], v[2:3], v[36:39]
	s_and_saveexec_b64 s[18:19], s[4:5]
	s_xor_b64 s[4:5], exec, s[18:19]
	s_cbranch_execz .LBB30_602
; %bb.601:                              ;   in Loop: Header=BB30_600 Depth=1
	v_add_f32_e64 v219, |v32|, |v32|
	v_mul_f32_e32 v220, 0x3fb8aa3b, v219
	v_rndne_f32_e32 v221, v220
	v_sub_f32_e32 v222, v220, v221
	v_fma_f32 v220, v219, s12, -v220
	v_fmac_f32_e32 v220, 0x32a5705f, v219
	v_add_f32_e32 v220, v222, v220
	v_cvt_i32_f32_e32 v221, v221
	v_exp_f32_e32 v220, v220
	v_cmp_ngt_f32_e32 vcc, s13, v219
	v_ldexp_f32 v220, v220, v221
	v_cndmask_b32_e32 v220, 0, v220, vcc
	v_cmp_nlt_f32_e32 vcc, s14, v219
	v_cndmask_b32_e32 v219, v218, v220, vcc
	v_add_f32_e32 v219, 1.0, v219
	v_rcp_f32_e32 v219, v219
	v_fma_f32 v219, v219, -2.0, 1.0
.LBB30_602:                             ;   in Loop: Header=BB30_600 Depth=1
	s_andn2_saveexec_b64 s[4:5], s[4:5]
; %bb.603:                              ;   in Loop: Header=BB30_600 Depth=1
	v_mul_f32_e32 v219, v32, v32
	v_mov_b32_e32 v220, 0x3ca908c9
	v_fmac_f32_e32 v220, 0xbbbac73d, v219
	v_fma_f32 v220, v219, v220, v214
	v_fma_f32 v220, v219, v220, v215
	v_fma_f32 v220, v219, v220, v216
	v_mul_f32_e64 v220, |v32|, v220
	v_fma_f32 v219, v219, v220, |v32|
; %bb.604:                              ;   in Loop: Header=BB30_600 Depth=1
	s_or_b64 exec, exec, s[4:5]
	v_cmp_nlt_f32_e64 s[4:5], |v33|, s0
                                        ; implicit-def: $vgpr220
	s_and_saveexec_b64 s[18:19], s[4:5]
	s_xor_b64 s[4:5], exec, s[18:19]
	s_cbranch_execz .LBB30_606
; %bb.605:                              ;   in Loop: Header=BB30_600 Depth=1
	v_add_f32_e64 v220, |v33|, |v33|
	v_mul_f32_e32 v221, 0x3fb8aa3b, v220
	v_rndne_f32_e32 v222, v221
	v_sub_f32_e32 v223, v221, v222
	v_fma_f32 v221, v220, s12, -v221
	v_fmac_f32_e32 v221, 0x32a5705f, v220
	v_add_f32_e32 v221, v223, v221
	v_cvt_i32_f32_e32 v222, v222
	v_exp_f32_e32 v221, v221
	v_cmp_ngt_f32_e32 vcc, s13, v220
	v_ldexp_f32 v221, v221, v222
	v_cndmask_b32_e32 v221, 0, v221, vcc
	v_cmp_nlt_f32_e32 vcc, s14, v220
	v_cndmask_b32_e32 v220, v218, v221, vcc
	v_add_f32_e32 v220, 1.0, v220
	v_rcp_f32_e32 v220, v220
	v_fma_f32 v220, v220, -2.0, 1.0
.LBB30_606:                             ;   in Loop: Header=BB30_600 Depth=1
	s_andn2_saveexec_b64 s[4:5], s[4:5]
; %bb.607:                              ;   in Loop: Header=BB30_600 Depth=1
	v_mul_f32_e32 v220, v33, v33
	v_mov_b32_e32 v221, 0x3ca908c9
	v_fmac_f32_e32 v221, 0xbbbac73d, v220
	v_fma_f32 v221, v220, v221, v214
	v_fma_f32 v221, v220, v221, v215
	;; [unrolled: 1-line block ×3, first 2 shown]
	v_mul_f32_e64 v221, |v33|, v221
	v_fma_f32 v220, v220, v221, |v33|
; %bb.608:                              ;   in Loop: Header=BB30_600 Depth=1
	s_or_b64 exec, exec, s[4:5]
	v_cmp_nlt_f32_e64 s[4:5], |v34|, s0
                                        ; implicit-def: $vgpr221
	s_and_saveexec_b64 s[18:19], s[4:5]
	s_xor_b64 s[4:5], exec, s[18:19]
	s_cbranch_execz .LBB30_610
; %bb.609:                              ;   in Loop: Header=BB30_600 Depth=1
	v_add_f32_e64 v221, |v34|, |v34|
	v_mul_f32_e32 v222, 0x3fb8aa3b, v221
	v_rndne_f32_e32 v223, v222
	v_sub_f32_e32 v224, v222, v223
	v_fma_f32 v222, v221, s12, -v222
	v_fmac_f32_e32 v222, 0x32a5705f, v221
	v_add_f32_e32 v222, v224, v222
	v_cvt_i32_f32_e32 v223, v223
	v_exp_f32_e32 v222, v222
	v_cmp_ngt_f32_e32 vcc, s13, v221
	v_ldexp_f32 v222, v222, v223
	v_cndmask_b32_e32 v222, 0, v222, vcc
	v_cmp_nlt_f32_e32 vcc, s14, v221
	v_cndmask_b32_e32 v221, v218, v222, vcc
	v_add_f32_e32 v221, 1.0, v221
	v_rcp_f32_e32 v221, v221
	v_fma_f32 v221, v221, -2.0, 1.0
.LBB30_610:                             ;   in Loop: Header=BB30_600 Depth=1
	s_andn2_saveexec_b64 s[4:5], s[4:5]
; %bb.611:                              ;   in Loop: Header=BB30_600 Depth=1
	v_mul_f32_e32 v221, v34, v34
	v_mov_b32_e32 v222, 0x3ca908c9
	v_fmac_f32_e32 v222, 0xbbbac73d, v221
	v_fma_f32 v222, v221, v222, v214
	v_fma_f32 v222, v221, v222, v215
	;; [unrolled: 1-line block ×3, first 2 shown]
	v_mul_f32_e64 v222, |v34|, v222
	v_fma_f32 v221, v221, v222, |v34|
; %bb.612:                              ;   in Loop: Header=BB30_600 Depth=1
	s_or_b64 exec, exec, s[4:5]
	v_cmp_nlt_f32_e64 s[4:5], |v35|, s0
                                        ; implicit-def: $vgpr222
	s_and_saveexec_b64 s[18:19], s[4:5]
	s_xor_b64 s[4:5], exec, s[18:19]
	s_cbranch_execz .LBB30_614
; %bb.613:                              ;   in Loop: Header=BB30_600 Depth=1
	v_add_f32_e64 v222, |v35|, |v35|
	v_mul_f32_e32 v223, 0x3fb8aa3b, v222
	v_rndne_f32_e32 v224, v223
	v_sub_f32_e32 v225, v223, v224
	v_fma_f32 v223, v222, s12, -v223
	v_fmac_f32_e32 v223, 0x32a5705f, v222
	v_add_f32_e32 v223, v225, v223
	v_cvt_i32_f32_e32 v224, v224
	v_exp_f32_e32 v223, v223
	v_cmp_ngt_f32_e32 vcc, s13, v222
	v_ldexp_f32 v223, v223, v224
	v_cndmask_b32_e32 v223, 0, v223, vcc
	v_cmp_nlt_f32_e32 vcc, s14, v222
	v_cndmask_b32_e32 v222, v218, v223, vcc
	v_add_f32_e32 v222, 1.0, v222
	v_rcp_f32_e32 v222, v222
	v_fma_f32 v222, v222, -2.0, 1.0
.LBB30_614:                             ;   in Loop: Header=BB30_600 Depth=1
	s_andn2_saveexec_b64 s[4:5], s[4:5]
; %bb.615:                              ;   in Loop: Header=BB30_600 Depth=1
	v_mul_f32_e32 v222, v35, v35
	v_mov_b32_e32 v223, 0x3ca908c9
	v_fmac_f32_e32 v223, 0xbbbac73d, v222
	v_fma_f32 v223, v222, v223, v214
	v_fma_f32 v223, v222, v223, v215
	;; [unrolled: 1-line block ×3, first 2 shown]
	v_mul_f32_e64 v223, |v35|, v223
	v_fma_f32 v222, v222, v223, |v35|
; %bb.616:                              ;   in Loop: Header=BB30_600 Depth=1
	s_or_b64 exec, exec, s[4:5]
	v_cmp_nlt_f32_e64 s[4:5], |v36|, s0
                                        ; implicit-def: $vgpr223
	s_and_saveexec_b64 s[18:19], s[4:5]
	s_xor_b64 s[4:5], exec, s[18:19]
	s_cbranch_execz .LBB30_618
; %bb.617:                              ;   in Loop: Header=BB30_600 Depth=1
	v_add_f32_e64 v223, |v36|, |v36|
	v_mul_f32_e32 v224, 0x3fb8aa3b, v223
	v_rndne_f32_e32 v225, v224
	v_sub_f32_e32 v226, v224, v225
	v_fma_f32 v224, v223, s12, -v224
	v_fmac_f32_e32 v224, 0x32a5705f, v223
	v_add_f32_e32 v224, v226, v224
	v_cvt_i32_f32_e32 v225, v225
	v_exp_f32_e32 v224, v224
	v_cmp_ngt_f32_e32 vcc, s13, v223
	v_ldexp_f32 v224, v224, v225
	v_cndmask_b32_e32 v224, 0, v224, vcc
	v_cmp_nlt_f32_e32 vcc, s14, v223
	v_cndmask_b32_e32 v223, v218, v224, vcc
	v_add_f32_e32 v223, 1.0, v223
	v_rcp_f32_e32 v223, v223
	v_fma_f32 v223, v223, -2.0, 1.0
.LBB30_618:                             ;   in Loop: Header=BB30_600 Depth=1
	s_andn2_saveexec_b64 s[4:5], s[4:5]
; %bb.619:                              ;   in Loop: Header=BB30_600 Depth=1
	v_mul_f32_e32 v223, v36, v36
	v_mov_b32_e32 v224, 0x3ca908c9
	v_fmac_f32_e32 v224, 0xbbbac73d, v223
	v_fma_f32 v224, v223, v224, v214
	v_fma_f32 v224, v223, v224, v215
	;; [unrolled: 1-line block ×3, first 2 shown]
	v_mul_f32_e64 v224, |v36|, v224
	v_fma_f32 v223, v223, v224, |v36|
; %bb.620:                              ;   in Loop: Header=BB30_600 Depth=1
	s_or_b64 exec, exec, s[4:5]
	v_cmp_nlt_f32_e64 s[4:5], |v37|, s0
                                        ; implicit-def: $vgpr224
	s_and_saveexec_b64 s[18:19], s[4:5]
	s_xor_b64 s[4:5], exec, s[18:19]
	s_cbranch_execz .LBB30_622
; %bb.621:                              ;   in Loop: Header=BB30_600 Depth=1
	v_add_f32_e64 v224, |v37|, |v37|
	v_mul_f32_e32 v225, 0x3fb8aa3b, v224
	v_rndne_f32_e32 v226, v225
	v_sub_f32_e32 v227, v225, v226
	v_fma_f32 v225, v224, s12, -v225
	v_fmac_f32_e32 v225, 0x32a5705f, v224
	v_add_f32_e32 v225, v227, v225
	v_cvt_i32_f32_e32 v226, v226
	v_exp_f32_e32 v225, v225
	v_cmp_ngt_f32_e32 vcc, s13, v224
	v_ldexp_f32 v225, v225, v226
	v_cndmask_b32_e32 v225, 0, v225, vcc
	v_cmp_nlt_f32_e32 vcc, s14, v224
	v_cndmask_b32_e32 v224, v218, v225, vcc
	v_add_f32_e32 v224, 1.0, v224
	v_rcp_f32_e32 v224, v224
	v_fma_f32 v224, v224, -2.0, 1.0
.LBB30_622:                             ;   in Loop: Header=BB30_600 Depth=1
	s_andn2_saveexec_b64 s[4:5], s[4:5]
; %bb.623:                              ;   in Loop: Header=BB30_600 Depth=1
	v_mul_f32_e32 v224, v37, v37
	v_mov_b32_e32 v225, 0x3ca908c9
	v_fmac_f32_e32 v225, 0xbbbac73d, v224
	v_fma_f32 v225, v224, v225, v214
	v_fma_f32 v225, v224, v225, v215
	v_fma_f32 v225, v224, v225, v216
	v_mul_f32_e64 v225, |v37|, v225
	v_fma_f32 v224, v224, v225, |v37|
; %bb.624:                              ;   in Loop: Header=BB30_600 Depth=1
	s_or_b64 exec, exec, s[4:5]
	v_cmp_nlt_f32_e64 s[4:5], |v38|, s0
                                        ; implicit-def: $vgpr225
	s_and_saveexec_b64 s[18:19], s[4:5]
	s_xor_b64 s[4:5], exec, s[18:19]
	s_cbranch_execz .LBB30_626
; %bb.625:                              ;   in Loop: Header=BB30_600 Depth=1
	v_add_f32_e64 v225, |v38|, |v38|
	v_mul_f32_e32 v226, 0x3fb8aa3b, v225
	v_rndne_f32_e32 v227, v226
	v_sub_f32_e32 v228, v226, v227
	v_fma_f32 v226, v225, s12, -v226
	v_fmac_f32_e32 v226, 0x32a5705f, v225
	v_add_f32_e32 v226, v228, v226
	v_cvt_i32_f32_e32 v227, v227
	v_exp_f32_e32 v226, v226
	v_cmp_ngt_f32_e32 vcc, s13, v225
	v_ldexp_f32 v226, v226, v227
	v_cndmask_b32_e32 v226, 0, v226, vcc
	v_cmp_nlt_f32_e32 vcc, s14, v225
	v_cndmask_b32_e32 v225, v218, v226, vcc
	v_add_f32_e32 v225, 1.0, v225
	v_rcp_f32_e32 v225, v225
	v_fma_f32 v225, v225, -2.0, 1.0
.LBB30_626:                             ;   in Loop: Header=BB30_600 Depth=1
	s_andn2_saveexec_b64 s[4:5], s[4:5]
; %bb.627:                              ;   in Loop: Header=BB30_600 Depth=1
	v_mul_f32_e32 v225, v38, v38
	v_mov_b32_e32 v226, 0x3ca908c9
	v_fmac_f32_e32 v226, 0xbbbac73d, v225
	v_fma_f32 v226, v225, v226, v214
	v_fma_f32 v226, v225, v226, v215
	;; [unrolled: 1-line block ×3, first 2 shown]
	v_mul_f32_e64 v226, |v38|, v226
	v_fma_f32 v225, v225, v226, |v38|
; %bb.628:                              ;   in Loop: Header=BB30_600 Depth=1
	s_or_b64 exec, exec, s[4:5]
	v_cmp_nlt_f32_e64 s[4:5], |v39|, s0
                                        ; implicit-def: $vgpr226
	s_and_saveexec_b64 s[18:19], s[4:5]
	s_xor_b64 s[4:5], exec, s[18:19]
	s_cbranch_execz .LBB30_630
; %bb.629:                              ;   in Loop: Header=BB30_600 Depth=1
	v_add_f32_e64 v226, |v39|, |v39|
	v_mul_f32_e32 v227, 0x3fb8aa3b, v226
	v_rndne_f32_e32 v228, v227
	v_sub_f32_e32 v229, v227, v228
	v_fma_f32 v227, v226, s12, -v227
	v_fmac_f32_e32 v227, 0x32a5705f, v226
	v_add_f32_e32 v227, v229, v227
	v_cvt_i32_f32_e32 v228, v228
	v_exp_f32_e32 v227, v227
	v_cmp_ngt_f32_e32 vcc, s13, v226
	v_ldexp_f32 v227, v227, v228
	v_cndmask_b32_e32 v227, 0, v227, vcc
	v_cmp_nlt_f32_e32 vcc, s14, v226
	v_cndmask_b32_e32 v226, v218, v227, vcc
	v_add_f32_e32 v226, 1.0, v226
	v_rcp_f32_e32 v226, v226
	v_fma_f32 v226, v226, -2.0, 1.0
.LBB30_630:                             ;   in Loop: Header=BB30_600 Depth=1
	s_andn2_saveexec_b64 s[4:5], s[4:5]
; %bb.631:                              ;   in Loop: Header=BB30_600 Depth=1
	v_mul_f32_e32 v226, v39, v39
	v_mov_b32_e32 v227, 0x3ca908c9
	v_fmac_f32_e32 v227, 0xbbbac73d, v226
	v_fma_f32 v227, v226, v227, v214
	v_fma_f32 v227, v226, v227, v215
	v_fma_f32 v227, v226, v227, v216
	v_mul_f32_e64 v227, |v39|, v227
	v_fma_f32 v226, v226, v227, |v39|
; %bb.632:                              ;   in Loop: Header=BB30_600 Depth=1
	s_or_b64 exec, exec, s[4:5]
	v_bfi_b32 v39, s15, v226, v39
	ds_read2_b32 v[226:227], v217 offset1:1
	v_bfi_b32 v37, s15, v224, v37
	v_bfi_b32 v38, s15, v225, v38
	ds_read_b32 v224, v129 offset:33792
	ds_read_b32 v225, v130 offset:33792
	v_bfi_b32 v36, s15, v223, v36
	v_bfi_b32 v35, s15, v222, v35
	s_waitcnt lgkmcnt(2)
	v_cvt_f32_f16_e32 v222, v226
	v_cvt_f32_f16_sdwa v223, v226 dst_sel:DWORD dst_unused:UNUSED_PAD src0_sel:WORD_1
	v_bfi_b32 v34, s15, v221, v34
	v_bfi_b32 v33, s15, v220, v33
	;; [unrolled: 1-line block ×3, first 2 shown]
	s_waitcnt lgkmcnt(0)
	v_cvt_f32_f16_sdwa v221, v225 dst_sel:DWORD dst_unused:UNUSED_PAD src0_sel:WORD_1
	v_cvt_f32_f16_e32 v220, v225
	v_pk_fma_f32 v[32:33], v[32:33], s[40:41], v[222:223]
	v_add_f32_e32 v219, 0x40051340, v32
	v_add_f32_e32 v222, 0x40051340, v33
	v_max3_f32 v219, v80, v219, v222
	v_cvt_f32_f16_e32 v222, v227
	v_cvt_f32_f16_sdwa v223, v227 dst_sel:DWORD dst_unused:UNUSED_PAD src0_sel:WORD_1
	v_pk_fma_f32 v[38:39], v[38:39], s[40:41], v[220:221]
	v_cvt_f32_f16_sdwa v221, v224 dst_sel:DWORD dst_unused:UNUSED_PAD src0_sel:WORD_1
	v_cvt_f32_f16_e32 v220, v224
	v_pk_fma_f32 v[34:35], v[34:35], s[40:41], v[222:223]
	v_add_f32_e32 v222, 0x40051340, v34
	v_add_f32_e32 v223, 0x40051340, v35
	v_pk_fma_f32 v[220:221], v[36:37], s[40:41], v[220:221]
	v_add_f32_e32 v36, 0x40051340, v220
	v_add_f32_e32 v37, 0x40051340, v221
	v_max3_f32 v219, v219, v222, v223
	v_add_f32_e32 v225, 0x40051340, v38
	v_add_f32_e32 v224, 0x40051340, v39
	v_max3_f32 v36, v219, v36, v37
	v_max3_f32 v36, v36, v225, v224
	ds_bpermute_b32 v37, v131, v36
	s_mul_hi_i32 s5, s2, s30
	s_mul_i32 s4, s2, s30
	s_lshl_b64 s[4:5], s[4:5], 2
	s_add_u32 s3, s6, s4
	s_waitcnt lgkmcnt(0)
	v_max_f32_e32 v37, v37, v37
	v_max_f32_e32 v36, v36, v37
	ds_bpermute_b32 v37, v132, v36
	s_addc_u32 s4, s7, s5
	s_add_i32 s78, s78, 1
	s_add_i32 s2, s2, 64
	s_waitcnt lgkmcnt(0)
	v_max_f32_e32 v37, v37, v37
	v_max_f32_e32 v36, v36, v37
	v_pk_add_f32 v[32:33], v[32:33], v[36:37] op_sel_hi:[1,0] neg_lo:[0,1] neg_hi:[0,1]
	v_mul_f32_e32 v37, 0x3fb8aa3b, v33
	v_fma_f32 v219, v33, s12, -v37
	v_rndne_f32_e32 v222, v37
	v_fmac_f32_e32 v219, 0x32a5705f, v33
	v_sub_f32_e32 v37, v37, v222
	v_add_f32_e32 v37, v37, v219
	v_exp_f32_e32 v37, v37
	v_cvt_i32_f32_e32 v219, v222
	v_cmp_ngt_f32_e32 vcc, s13, v33
	v_ldexp_f32 v37, v37, v219
	v_mul_f32_e32 v219, 0x3fb8aa3b, v32
	v_fma_f32 v222, v32, s12, -v219
	v_rndne_f32_e32 v223, v219
	v_fmac_f32_e32 v222, 0x32a5705f, v32
	v_sub_f32_e32 v219, v219, v223
	v_add_f32_e32 v219, v219, v222
	v_exp_f32_e32 v219, v219
	v_cvt_i32_f32_e32 v222, v223
	v_cndmask_b32_e32 v37, 0, v37, vcc
	v_cmp_nlt_f32_e32 vcc, s14, v33
	v_cndmask_b32_e32 v37, v218, v37, vcc
	v_pk_add_f32 v[34:35], v[34:35], v[36:37] op_sel_hi:[1,0] neg_lo:[0,1] neg_hi:[0,1]
	v_ldexp_f32 v33, v219, v222
	v_mul_f32_e32 v219, 0x3fb8aa3b, v35
	v_fma_f32 v222, v35, s12, -v219
	v_rndne_f32_e32 v223, v219
	v_fmac_f32_e32 v222, 0x32a5705f, v35
	v_sub_f32_e32 v219, v219, v223
	v_add_f32_e32 v219, v219, v222
	v_exp_f32_e32 v219, v219
	v_cvt_i32_f32_e32 v222, v223
	v_cmp_ngt_f32_e32 vcc, s13, v32
	v_cndmask_b32_e32 v33, 0, v33, vcc
	v_cmp_nlt_f32_e32 vcc, s14, v32
	v_cndmask_b32_e32 v226, v218, v33, vcc
	v_mul_f32_e32 v33, 0x3fb8aa3b, v34
	v_ldexp_f32 v32, v219, v222
	v_fma_f32 v219, v34, s12, -v33
	v_rndne_f32_e32 v222, v33
	v_fmac_f32_e32 v219, 0x32a5705f, v34
	v_sub_f32_e32 v33, v33, v222
	v_add_f32_e32 v33, v33, v219
	v_exp_f32_e32 v33, v33
	v_cvt_i32_f32_e32 v219, v222
	v_cmp_ngt_f32_e32 vcc, s13, v35
	v_cndmask_b32_e32 v32, 0, v32, vcc
	v_cmp_nlt_f32_e32 vcc, s14, v35
	v_cndmask_b32_e32 v236, v218, v32, vcc
	v_ldexp_f32 v35, v33, v219
	v_pk_add_f32 v[32:33], v[220:221], v[36:37] op_sel_hi:[1,0] neg_lo:[0,1] neg_hi:[0,1]
	v_mul_f32_e32 v219, 0x3fb8aa3b, v33
	v_fma_f32 v220, v33, s12, -v219
	v_rndne_f32_e32 v221, v219
	v_fmac_f32_e32 v220, 0x32a5705f, v33
	v_sub_f32_e32 v219, v219, v221
	v_add_f32_e32 v219, v219, v220
	v_exp_f32_e32 v219, v219
	v_cvt_i32_f32_e32 v220, v221
	v_cmp_ngt_f32_e32 vcc, s13, v34
	v_cndmask_b32_e32 v35, 0, v35, vcc
	v_cmp_nlt_f32_e32 vcc, s14, v34
	v_cndmask_b32_e32 v237, v218, v35, vcc
	v_mul_f32_e32 v35, 0x3fb8aa3b, v32
	v_ldexp_f32 v34, v219, v220
	v_fma_f32 v219, v32, s12, -v35
	v_rndne_f32_e32 v220, v35
	v_fmac_f32_e32 v219, 0x32a5705f, v32
	v_sub_f32_e32 v35, v35, v220
	v_add_f32_e32 v35, v35, v219
	v_exp_f32_e32 v35, v35
	v_cvt_i32_f32_e32 v219, v220
	v_cmp_ngt_f32_e32 vcc, s13, v33
	v_cndmask_b32_e32 v34, 0, v34, vcc
	v_cmp_nlt_f32_e32 vcc, s14, v33
	v_pk_add_f32 v[38:39], v[38:39], v[36:37] op_sel_hi:[1,0] neg_lo:[0,1] neg_hi:[0,1]
	v_cndmask_b32_e32 v238, v218, v34, vcc
	v_mul_f32_e32 v34, 0x3fb8aa3b, v39
	v_ldexp_f32 v33, v35, v219
	v_fma_f32 v35, v39, s12, -v34
	v_rndne_f32_e32 v219, v34
	v_fmac_f32_e32 v35, 0x32a5705f, v39
	v_sub_f32_e32 v34, v34, v219
	v_add_f32_e32 v34, v34, v35
	v_exp_f32_e32 v34, v34
	v_cvt_i32_f32_e32 v35, v219
	v_cmp_ngt_f32_e32 vcc, s13, v32
	v_cndmask_b32_e32 v33, 0, v33, vcc
	v_cmp_nlt_f32_e32 vcc, s14, v32
	v_cndmask_b32_e32 v227, v218, v33, vcc
	v_mov_b32_e32 v32, s4
	v_add_co_u32_e32 v33, vcc, s3, v56
	v_ldexp_f32 v219, v34, v35
	v_addc_co_u32_e32 v34, vcc, v32, v57, vcc
	v_add_co_u32_e32 v32, vcc, v33, v212
	v_addc_co_u32_e32 v33, vcc, 0, v34, vcc
	v_mov_b32_e32 v34, s4
	v_add_co_u32_e32 v35, vcc, s3, v58
	v_addc_co_u32_e32 v34, vcc, v34, v59, vcc
	v_add_co_u32_e32 v220, vcc, v35, v212
	v_addc_co_u32_e32 v221, vcc, 0, v34, vcc
	v_mov_b32_e32 v34, s4
	v_add_co_u32_e32 v35, vcc, s3, v60
	;; [unrolled: 5-line block ×3, first 2 shown]
	v_addc_co_u32_e32 v34, vcc, v34, v63, vcc
	v_add_co_u32_e32 v232, vcc, v35, v212
	v_addc_co_u32_e32 v233, vcc, 0, v34, vcc
	global_load_dwordx4 v[32:35], v[32:33], off
	s_nop 0
	global_load_dwordx4 v[222:225], v[220:221], off
	s_nop 0
	;; [unrolled: 2-line block ×3, first 2 shown]
	global_load_dwordx4 v[232:235], v[232:233], off
	v_mul_f32_e32 v239, 0x3fb8aa3b, v38
	v_fma_f32 v240, v38, s12, -v239
	v_rndne_f32_e32 v220, v239
	v_fmac_f32_e32 v240, 0x32a5705f, v38
	v_sub_f32_e32 v221, v239, v220
	v_add_f32_e32 v221, v221, v240
	v_exp_f32_e32 v221, v221
	v_cvt_i32_f32_e32 v220, v220
	v_cmp_ngt_f32_e32 vcc, s13, v39
	v_cndmask_b32_e32 v219, 0, v219, vcc
	v_cmp_nlt_f32_e32 vcc, s14, v39
	v_cndmask_b32_e32 v239, v218, v219, vcc
	v_ldexp_f32 v39, v221, v220
	v_cmp_ngt_f32_e32 vcc, s13, v38
	v_cndmask_b32_e32 v39, 0, v39, vcc
	v_cmp_nlt_f32_e32 vcc, s14, v38
	v_cndmask_b32_e32 v240, v218, v39, vcc
	v_sub_f32_e32 v39, v80, v36
	v_mul_f32_e32 v80, 0x3fb8aa3b, v39
	v_fma_f32 v219, v39, s12, -v80
	v_rndne_f32_e32 v220, v80
	v_fmac_f32_e32 v219, 0x32a5705f, v39
	v_sub_f32_e32 v80, v80, v220
	v_add_f32_e32 v80, v80, v219
	v_exp_f32_e32 v80, v80
	v_cvt_i32_f32_e32 v219, v220
	v_cmp_ngt_f32_e32 vcc, s13, v39
	v_add_f32_e32 v38, v226, v37
	v_add_f32_e32 v38, v237, v38
	v_ldexp_f32 v80, v80, v219
	v_cndmask_b32_e32 v80, 0, v80, vcc
	v_cmp_nlt_f32_e32 vcc, s14, v39
	v_cndmask_b32_e32 v80, v218, v80, vcc
	v_cmp_le_f32_e32 vcc, s16, v39
	v_add_f32_e32 v38, v236, v38
	v_cndmask_b32_e32 v39, 0, v80, vcc
	v_add_f32_e32 v38, v227, v38
	v_cvt_f16_f32_e32 v219, v39
	v_add_f32_e32 v38, v238, v38
	v_add_f32_e32 v38, v240, v38
	;; [unrolled: 1-line block ×3, first 2 shown]
	v_fmac_f32_e32 v80, v64, v39
	v_pk_mul_f16 v220, v219, v97 op_sel_hi:[0,1]
	v_pk_mul_f16 v97, v219, v98 op_sel_hi:[0,1]
	;; [unrolled: 1-line block ×8, first 2 shown]
	v_cvt_f16_f32_e32 v38, v226
	v_cvt_f16_f32_e32 v39, v37
	;; [unrolled: 1-line block ×4, first 2 shown]
	v_pk_mul_f16 v241, v219, v120 op_sel_hi:[0,1]
	v_pk_mul_f16 v242, v219, v119 op_sel_hi:[0,1]
	;; [unrolled: 1-line block ×17, first 2 shown]
	v_pack_b32_f16 v38, v38, v39
	v_pack_b32_f16 v39, v89, v64
	s_waitcnt vmcnt(3)
	ds_write_b128 v125, v[32:35]
	s_waitcnt vmcnt(2)
	ds_write_b128 v126, v[222:225]
	;; [unrolled: 2-line block ×4, first 2 shown]
	s_waitcnt lgkmcnt(0)
	s_barrier
	ds_read_u16 v35, v134 offset:1056
	ds_read_u16 v109, v135
	ds_read_u16 v88, v135 offset:32
	ds_read_u16 v89, v135 offset:64
	;; [unrolled: 1-line block ×4, first 2 shown]
	s_waitcnt lgkmcnt(4)
	v_perm_b32 v231, v109, v35, s17
	ds_read_u16 v35, v134 offset:528
	ds_read_u16 v229, v133 offset:16896
	ds_read_u16 v230, v133
	ds_read_u16 v228, v133 offset:32
	ds_read_u16 v226, v133 offset:64
	;; [unrolled: 1-line block ×7, first 2 shown]
	s_waitcnt lgkmcnt(7)
	v_perm_b32 v230, v35, v230, s17
	v_cvt_f32_f16_e32 v32, v241
	v_cvt_f32_f16_sdwa v33, v241 dst_sel:DWORD dst_unused:UNUSED_PAD src0_sel:WORD_1
	v_cvt_f32_f16_e32 v34, v242
	v_cvt_f32_f16_sdwa v35, v242 dst_sel:DWORD dst_unused:UNUSED_PAD src0_sel:WORD_1
	v_cvt_f16_f32_e32 v64, v238
	v_cvt_f16_f32_e32 v227, v227
	v_mfma_f32_16x16x16f16 v[32:35], v[230:231], v[38:39], v[32:35]
	ds_read_u16 v230, v136 offset:1056
	ds_read_u16 v234, v137 offset:528
	;; [unrolled: 1-line block ×5, first 2 shown]
	v_cvt_f16_f32_e32 v232, v239
	v_cvt_f16_f32_e32 v233, v240
	v_pack_b32_f16 v64, v227, v64
	s_waitcnt lgkmcnt(3)
	v_perm_b32 v228, v234, v228, s17
	s_waitcnt lgkmcnt(0)
	v_perm_b32 v231, v231, v230, s17
	v_perm_b32 v230, v236, v229, s17
	v_cvt_f16_f32_e32 v32, v32
	v_cvt_f16_f32_e32 v33, v33
	;; [unrolled: 1-line block ×4, first 2 shown]
	v_cvt_f32_f16_e32 v32, v32
	v_cvt_f32_f16_e32 v33, v33
	;; [unrolled: 1-line block ×4, first 2 shown]
	v_pk_mul_f16 v236, v219, v65 op_sel_hi:[0,1]
	v_pack_b32_f16 v65, v233, v232
	v_perm_b32 v229, v88, v235, s17
	v_cvt_f32_f16_e32 v232, v220
	v_mfma_f32_16x16x16f16 v[32:35], v[230:231], v[64:65], v[32:35]
	v_cvt_f32_f16_e32 v230, v221
	v_cvt_f32_f16_sdwa v231, v221 dst_sel:DWORD dst_unused:UNUSED_PAD src0_sel:WORD_1
	v_cvt_f32_f16_sdwa v233, v220 dst_sel:DWORD dst_unused:UNUSED_PAD src0_sel:WORD_1
	v_pk_mul_f16 v92, v219, v92 op_sel_hi:[0,1]
	v_pk_mul_f16 v90, v219, v90 op_sel_hi:[0,1]
	;; [unrolled: 1-line block ×4, first 2 shown]
	v_mfma_f32_16x16x16f16 v[228:231], v[228:229], v[38:39], v[230:233]
	v_pk_mul_f16 v234, v219, v73 op_sel_hi:[0,1]
	v_pk_mul_f16 v219, v219, v72 op_sel_hi:[0,1]
	s_nop 0
	v_cvt_f16_f32_e32 v88, v32
	ds_read_u16 v237, v135 offset:416
	ds_read_u16 v238, v135 offset:448
	ds_read_u16 v239, v135 offset:480
	v_cvt_f16_f32_e32 v240, v35
	v_cmp_lt_i32_e32 vcc, s78, v118
	s_and_b64 vcc, exec, vcc
	s_nop 0
	v_cvt_f16_f32_e32 v32, v228
	v_cvt_f16_f32_e32 v72, v229
	;; [unrolled: 1-line block ×4, first 2 shown]
	v_cvt_f32_f16_e32 v228, v32
	v_cvt_f32_f16_e32 v229, v72
	;; [unrolled: 1-line block ×3, first 2 shown]
	ds_read_u16 v32, v138 offset:16896
	ds_read_u16 v72, v139 offset:528
	;; [unrolled: 1-line block ×8, first 2 shown]
	s_waitcnt lgkmcnt(4)
	v_perm_b32 v73, v221, v73, s17
	v_perm_b32 v72, v72, v32, s17
	v_cvt_f32_f16_e32 v231, v220
	v_cvt_f16_f32_e32 v220, v33
	v_cvt_f16_f32_e32 v221, v34
	v_mfma_f32_16x16x16f16 v[32:35], v[72:73], v[64:65], v[228:231]
	s_waitcnt lgkmcnt(2)
	v_perm_b32 v73, v89, v232, s17
	v_perm_b32 v72, v227, v226, s17
	s_nop 3
	v_cvt_f32_f16_e32 v228, v120
	v_cvt_f32_f16_sdwa v229, v120 dst_sel:DWORD dst_unused:UNUSED_PAD src0_sel:WORD_1
	v_cvt_f32_f16_e32 v230, v119
	v_cvt_f32_f16_sdwa v231, v119 dst_sel:DWORD dst_unused:UNUSED_PAD src0_sel:WORD_1
	v_pack_b32_f16 v120, v88, v220
	v_cvt_f16_f32_e32 v88, v32
	v_mfma_f32_16x16x16f16 v[226:229], v[72:73], v[38:39], v[228:231]
	v_pack_b32_f16 v119, v221, v240
	s_nop 7
	s_nop 1
	v_cvt_f16_f32_e32 v32, v226
	v_cvt_f16_f32_e32 v72, v227
	;; [unrolled: 1-line block ×4, first 2 shown]
	v_cvt_f32_f16_e32 v226, v32
	v_cvt_f32_f16_e32 v227, v72
	ds_read_u16 v32, v145 offset:1056
	ds_read_u16 v72, v146 offset:16896
	;; [unrolled: 1-line block ×8, first 2 shown]
	v_cvt_f32_f16_e32 v228, v73
	s_waitcnt lgkmcnt(6)
	v_perm_b32 v73, v72, v32, s17
	v_perm_b32 v72, v235, v233, s17
	v_cvt_f32_f16_e32 v229, v89
	v_cvt_f16_f32_e32 v89, v33
	v_cvt_f16_f32_e32 v233, v34
	;; [unrolled: 1-line block ×3, first 2 shown]
	v_mfma_f32_16x16x16f16 v[32:35], v[72:73], v[64:65], v[226:229]
	s_waitcnt lgkmcnt(4)
	v_perm_b32 v73, v91, v221, s17
	v_perm_b32 v72, v220, v224, s17
	s_nop 3
	v_cvt_f32_f16_e32 v226, v121
	v_cvt_f32_f16_sdwa v227, v121 dst_sel:DWORD dst_unused:UNUSED_PAD src0_sel:WORD_1
	v_cvt_f32_f16_e32 v228, v97
	v_cvt_f32_f16_sdwa v229, v97 dst_sel:DWORD dst_unused:UNUSED_PAD src0_sel:WORD_1
	v_pack_b32_f16 v121, v88, v89
	v_cvt_f16_f32_e32 v88, v32
	v_mfma_f32_16x16x16f16 v[226:229], v[72:73], v[38:39], v[226:229]
	v_pack_b32_f16 v97, v233, v235
	v_cvt_f16_f32_e32 v91, v34
	v_cvt_f16_f32_e32 v220, v35
	s_nop 7
	v_cvt_f16_f32_e32 v72, v227
	v_cvt_f16_f32_e32 v73, v228
	;; [unrolled: 1-line block ×4, first 2 shown]
	v_cvt_f32_f16_e32 v227, v72
	v_cvt_f32_f16_e32 v228, v73
	s_waitcnt lgkmcnt(0)
	v_perm_b32 v73, v240, v232, s17
	v_perm_b32 v72, v231, v230, s17
	v_cvt_f32_f16_e32 v226, v32
	v_cvt_f32_f16_e32 v229, v89
	v_cvt_f16_f32_e32 v89, v33
	s_nop 0
	v_mfma_f32_16x16x16f16 v[32:35], v[72:73], v[64:65], v[226:229]
	ds_read_u16 v72, v152 offset:528
	ds_read_u16 v73, v152 offset:1056
	ds_read_u16 v221, v153 offset:16896
	ds_read_u16 v224, v154 offset:528
	ds_read_u16 v230, v155 offset:1056
	ds_read_u16 v231, v156 offset:16896
	ds_read_u16 v232, v157 offset:528
	ds_read_u16 v233, v157 offset:1056
	s_waitcnt lgkmcnt(6)
	v_perm_b32 v73, v107, v73, s17
	v_perm_b32 v72, v72, v109, s17
	v_cvt_f32_f16_e32 v226, v105
	v_cvt_f32_f16_sdwa v227, v105 dst_sel:DWORD dst_unused:UNUSED_PAD src0_sel:WORD_1
	v_cvt_f32_f16_e32 v228, v103
	v_cvt_f32_f16_sdwa v229, v103 dst_sel:DWORD dst_unused:UNUSED_PAD src0_sel:WORD_1
	v_pack_b32_f16 v105, v88, v89
	v_cvt_f16_f32_e32 v88, v32
	v_mfma_f32_16x16x16f16 v[226:229], v[72:73], v[38:39], v[226:229]
	v_pack_b32_f16 v103, v91, v220
	v_cvt_f16_f32_e32 v91, v34
	v_cvt_f16_f32_e32 v107, v35
	v_cvt_f32_f16_e32 v220, v108
	s_nop 6
	v_cvt_f16_f32_e32 v72, v227
	v_cvt_f16_f32_e32 v73, v228
	;; [unrolled: 1-line block ×4, first 2 shown]
	v_cvt_f32_f16_e32 v227, v72
	v_cvt_f32_f16_e32 v228, v73
	s_waitcnt lgkmcnt(2)
	v_perm_b32 v73, v231, v230, s17
	v_perm_b32 v72, v224, v221, s17
	v_cvt_f32_f16_e32 v226, v32
	v_cvt_f32_f16_e32 v229, v89
	v_cvt_f16_f32_e32 v89, v33
	v_cvt_f32_f16_sdwa v221, v108 dst_sel:DWORD dst_unused:UNUSED_PAD src0_sel:WORD_1
	v_mfma_f32_16x16x16f16 v[32:35], v[72:73], v[64:65], v[226:229]
	ds_read_u16 v72, v135 offset:160
	ds_read_u16 v109, v135 offset:192
	;; [unrolled: 1-line block ×8, first 2 shown]
	s_waitcnt lgkmcnt(7)
	v_perm_b32 v73, v72, v233, s17
	v_perm_b32 v72, v232, v222, s17
	v_cvt_f32_f16_e32 v226, v101
	v_cvt_f32_f16_sdwa v227, v101 dst_sel:DWORD dst_unused:UNUSED_PAD src0_sel:WORD_1
	v_cvt_f32_f16_e32 v228, v98
	v_cvt_f32_f16_sdwa v229, v98 dst_sel:DWORD dst_unused:UNUSED_PAD src0_sel:WORD_1
	v_pack_b32_f16 v101, v88, v89
	v_cvt_f16_f32_e32 v88, v32
	v_mfma_f32_16x16x16f16 v[226:229], v[72:73], v[38:39], v[226:229]
	v_pack_b32_f16 v98, v91, v107
	v_cvt_f16_f32_e32 v243, v35
	v_cvt_f32_f16_e32 v222, v106
	s_nop 7
	v_cvt_f16_f32_e32 v32, v226
	v_cvt_f16_f32_e32 v72, v227
	;; [unrolled: 1-line block ×4, first 2 shown]
	v_cvt_f32_f16_e32 v226, v32
	v_cvt_f32_f16_e32 v227, v72
	;; [unrolled: 1-line block ×3, first 2 shown]
	ds_read_u16 v32, v158 offset:16896
	ds_read_u16 v72, v159 offset:528
	;; [unrolled: 1-line block ×8, first 2 shown]
	s_waitcnt lgkmcnt(4)
	v_perm_b32 v73, v91, v73, s17
	v_perm_b32 v72, v72, v32, s17
	v_cvt_f32_f16_e32 v229, v89
	v_cvt_f16_f32_e32 v89, v33
	v_cvt_f16_f32_e32 v91, v34
	v_mfma_f32_16x16x16f16 v[32:35], v[72:73], v[64:65], v[226:229]
	s_waitcnt lgkmcnt(2)
	v_perm_b32 v73, v109, v232, s17
	v_perm_b32 v72, v107, v223, s17
	v_cvt_f32_f16_sdwa v223, v106 dst_sel:DWORD dst_unused:UNUSED_PAD src0_sel:WORD_1
	v_pack_b32_f16 v108, v88, v89
	v_pack_b32_f16 v106, v91, v243
	s_nop 4
	v_cvt_f16_f32_e32 v88, v32
	v_mfma_f32_16x16x16f16 v[220:223], v[72:73], v[38:39], v[220:223]
	v_cvt_f16_f32_e32 v229, v34
	v_cvt_f16_f32_e32 v232, v35
	s_nop 7
	s_nop 0
	v_cvt_f16_f32_e32 v32, v220
	v_cvt_f16_f32_e32 v72, v221
	;; [unrolled: 1-line block ×4, first 2 shown]
	v_cvt_f32_f16_e32 v220, v32
	v_cvt_f32_f16_e32 v221, v72
	ds_read_u16 v32, v165 offset:1056
	ds_read_u16 v72, v166 offset:16896
	;; [unrolled: 1-line block ×8, first 2 shown]
	v_cvt_f32_f16_e32 v222, v73
	s_waitcnt lgkmcnt(6)
	v_perm_b32 v73, v72, v32, s17
	v_perm_b32 v72, v242, v233, s17
	v_cvt_f32_f16_e32 v223, v89
	v_cvt_f16_f32_e32 v89, v33
	s_nop 0
	v_mfma_f32_16x16x16f16 v[32:35], v[72:73], v[64:65], v[220:223]
	s_waitcnt lgkmcnt(4)
	v_perm_b32 v73, v224, v107, s17
	v_perm_b32 v72, v91, v225, s17
	s_nop 3
	v_cvt_f32_f16_e32 v220, v102
	v_cvt_f32_f16_sdwa v221, v102 dst_sel:DWORD dst_unused:UNUSED_PAD src0_sel:WORD_1
	v_cvt_f32_f16_e32 v222, v99
	v_cvt_f32_f16_sdwa v223, v99 dst_sel:DWORD dst_unused:UNUSED_PAD src0_sel:WORD_1
	v_pack_b32_f16 v102, v88, v89
	v_cvt_f16_f32_e32 v88, v32
	v_mfma_f32_16x16x16f16 v[220:223], v[72:73], v[38:39], v[220:223]
	v_cvt_f16_f32_e32 v91, v34
	v_cvt_f16_f32_e32 v107, v35
	v_pack_b32_f16 v99, v229, v232
	v_pack_b32_f16 v107, v91, v107
	s_nop 6
	v_cvt_f16_f32_e32 v72, v221
	v_cvt_f16_f32_e32 v73, v222
	;; [unrolled: 1-line block ×4, first 2 shown]
	v_cvt_f32_f16_e32 v221, v72
	v_cvt_f32_f16_e32 v222, v73
	s_waitcnt lgkmcnt(0)
	v_perm_b32 v73, v228, v227, s17
	v_perm_b32 v72, v226, v109, s17
	v_cvt_f32_f16_e32 v220, v32
	v_cvt_f32_f16_e32 v223, v89
	v_cvt_f16_f32_e32 v89, v33
	s_nop 0
	v_mfma_f32_16x16x16f16 v[32:35], v[72:73], v[64:65], v[220:223]
	s_nop 6
	v_cvt_f32_f16_e32 v220, v96
	v_cvt_f32_f16_sdwa v221, v96 dst_sel:DWORD dst_unused:UNUSED_PAD src0_sel:WORD_1
	ds_read_u16 v72, v172 offset:528
	ds_read_u16 v73, v172 offset:1056
	;; [unrolled: 1-line block ×8, first 2 shown]
	s_waitcnt lgkmcnt(6)
	v_perm_b32 v73, v230, v73, s17
	ds_read_u16 v109, v133 offset:256
	ds_read_u16 v229, v133 offset:288
	;; [unrolled: 1-line block ×8, first 2 shown]
	s_waitcnt lgkmcnt(7)
	v_perm_b32 v72, v72, v109, s17
	v_cvt_f32_f16_e32 v222, v95
	v_cvt_f32_f16_sdwa v223, v95 dst_sel:DWORD dst_unused:UNUSED_PAD src0_sel:WORD_1
	v_pack_b32_f16 v109, v88, v89
	v_cvt_f16_f32_e32 v88, v32
	v_mfma_f32_16x16x16f16 v[220:223], v[72:73], v[38:39], v[220:223]
	v_cvt_f16_f32_e32 v91, v34
	v_cvt_f16_f32_e32 v95, v35
	v_pack_b32_f16 v95, v91, v95
	s_nop 7
	v_cvt_f16_f32_e32 v72, v221
	v_cvt_f16_f32_e32 v73, v222
	;; [unrolled: 1-line block ×4, first 2 shown]
	v_cvt_f32_f16_e32 v221, v72
	v_cvt_f32_f16_e32 v222, v73
	v_perm_b32 v73, v226, v225, s17
	v_perm_b32 v72, v224, v96, s17
	v_cvt_f32_f16_e32 v220, v32
	v_cvt_f32_f16_e32 v223, v89
	v_cvt_f16_f32_e32 v89, v33
	v_pack_b32_f16 v96, v88, v89
	v_mfma_f32_16x16x16f16 v[32:35], v[72:73], v[64:65], v[220:223]
	v_perm_b32 v73, v231, v228, s17
	s_waitcnt lgkmcnt(6)
	v_perm_b32 v72, v227, v229, s17
	s_nop 3
	v_cvt_f32_f16_e32 v220, v94
	v_cvt_f32_f16_sdwa v221, v94 dst_sel:DWORD dst_unused:UNUSED_PAD src0_sel:WORD_1
	v_cvt_f32_f16_e32 v222, v93
	v_cvt_f32_f16_sdwa v223, v93 dst_sel:DWORD dst_unused:UNUSED_PAD src0_sel:WORD_1
	v_cvt_f16_f32_e32 v88, v32
	v_cvt_f16_f32_e32 v226, v35
	v_mfma_f32_16x16x16f16 v[220:223], v[72:73], v[38:39], v[220:223]
	s_nop 7
	s_nop 2
	v_cvt_f16_f32_e32 v32, v220
	v_cvt_f16_f32_e32 v72, v221
	;; [unrolled: 1-line block ×4, first 2 shown]
	v_cvt_f32_f16_e32 v220, v32
	v_cvt_f32_f16_e32 v221, v72
	;; [unrolled: 1-line block ×3, first 2 shown]
	ds_read_u16 v32, v178 offset:16896
	ds_read_u16 v72, v179 offset:528
	;; [unrolled: 1-line block ×8, first 2 shown]
	s_waitcnt lgkmcnt(4)
	v_perm_b32 v73, v91, v73, s17
	v_perm_b32 v72, v72, v32, s17
	v_cvt_f32_f16_e32 v223, v89
	v_cvt_f16_f32_e32 v89, v33
	v_cvt_f16_f32_e32 v91, v34
	v_mfma_f32_16x16x16f16 v[32:35], v[72:73], v[64:65], v[220:223]
	s_waitcnt lgkmcnt(2)
	v_perm_b32 v73, v235, v94, s17
	v_perm_b32 v72, v93, v230, s17
	v_pack_b32_f16 v94, v88, v89
	v_pack_b32_f16 v93, v91, v226
	s_nop 1
	v_cvt_f32_f16_e32 v220, v92
	v_cvt_f32_f16_sdwa v221, v92 dst_sel:DWORD dst_unused:UNUSED_PAD src0_sel:WORD_1
	v_cvt_f32_f16_e32 v222, v90
	v_cvt_f32_f16_sdwa v223, v90 dst_sel:DWORD dst_unused:UNUSED_PAD src0_sel:WORD_1
	v_cvt_f16_f32_e32 v92, v32
	v_cvt_f16_f32_e32 v228, v35
	v_mfma_f32_16x16x16f16 v[88:91], v[72:73], v[38:39], v[220:223]
	s_nop 7
	s_nop 2
	v_cvt_f16_f32_e32 v32, v88
	v_cvt_f16_f32_e32 v72, v89
	;; [unrolled: 1-line block ×4, first 2 shown]
	v_cvt_f32_f16_e32 v88, v32
	v_cvt_f32_f16_e32 v89, v72
	ds_read_u16 v32, v185 offset:1056
	ds_read_u16 v72, v186 offset:16896
	;; [unrolled: 1-line block ×8, first 2 shown]
	v_cvt_f32_f16_e32 v90, v73
	s_waitcnt lgkmcnt(6)
	v_perm_b32 v73, v72, v32, s17
	v_perm_b32 v72, v225, v224, s17
	v_cvt_f32_f16_e32 v91, v91
	v_cvt_f16_f32_e32 v224, v33
	v_cvt_f16_f32_e32 v225, v34
	v_mfma_f32_16x16x16f16 v[32:35], v[72:73], v[64:65], v[88:91]
	s_waitcnt lgkmcnt(4)
	v_perm_b32 v73, v240, v221, s17
	v_perm_b32 v72, v220, v232, s17
	v_cvt_f32_f16_e32 v220, v87
	v_cvt_f32_f16_sdwa v221, v87 dst_sel:DWORD dst_unused:UNUSED_PAD src0_sel:WORD_1
	s_nop 1
	v_cvt_f32_f16_e32 v88, v85
	v_cvt_f32_f16_sdwa v89, v85 dst_sel:DWORD dst_unused:UNUSED_PAD src0_sel:WORD_1
	v_cvt_f32_f16_e32 v90, v84
	v_cvt_f32_f16_sdwa v91, v84 dst_sel:DWORD dst_unused:UNUSED_PAD src0_sel:WORD_1
	v_pack_b32_f16 v85, v92, v224
	v_cvt_f16_f32_e32 v92, v32
	v_mfma_f32_16x16x16f16 v[88:91], v[72:73], v[38:39], v[88:91]
	v_pack_b32_f16 v84, v225, v228
	v_cvt_f16_f32_e32 v224, v33
	v_cvt_f16_f32_e32 v225, v34
	v_pack_b32_f16 v92, v92, v224
	s_nop 6
	v_cvt_f16_f32_e32 v72, v89
	v_cvt_f16_f32_e32 v73, v90
	;; [unrolled: 1-line block ×4, first 2 shown]
	v_cvt_f32_f16_e32 v89, v72
	v_cvt_f32_f16_e32 v90, v73
	s_waitcnt lgkmcnt(0)
	v_perm_b32 v73, v227, v226, s17
	v_perm_b32 v72, v223, v222, s17
	v_cvt_f32_f16_e32 v88, v32
	v_cvt_f32_f16_e32 v91, v91
	v_cvt_f16_f32_e32 v226, v35
	v_cvt_f32_f16_e32 v222, v86
	v_mfma_f32_16x16x16f16 v[32:35], v[72:73], v[64:65], v[88:91]
	ds_read_u16 v72, v192 offset:528
	ds_read_u16 v73, v192 offset:1056
	s_nop 4
	ds_read_u16 v91, v193 offset:16896
	ds_read_u16 v227, v194 offset:528
	ds_read_u16 v228, v195 offset:1056
	ds_read_u16 v229, v196 offset:16896
	ds_read_u16 v230, v197 offset:528
	ds_read_u16 v231, v197 offset:1056
	s_waitcnt lgkmcnt(6)
	v_perm_b32 v73, v241, v73, s17
	v_perm_b32 v72, v72, v233, s17
	v_cvt_f32_f16_sdwa v223, v86 dst_sel:DWORD dst_unused:UNUSED_PAD src0_sel:WORD_1
	v_pack_b32_f16 v90, v225, v226
	v_cvt_f16_f32_e32 v224, v32
	v_mfma_f32_16x16x16f16 v[86:89], v[72:73], v[38:39], v[220:223]
	s_nop 6
	v_cvt_f16_f32_e32 v220, v34
	s_nop 2
	v_cvt_f16_f32_e32 v72, v87
	v_cvt_f16_f32_e32 v73, v88
	v_cvt_f16_f32_e32 v32, v86
	v_cvt_f16_f32_e32 v89, v89
	v_cvt_f32_f16_e32 v87, v72
	v_cvt_f32_f16_e32 v88, v73
	s_waitcnt lgkmcnt(2)
	v_perm_b32 v73, v229, v228, s17
	v_perm_b32 v72, v227, v91, s17
	v_cvt_f32_f16_e32 v86, v32
	v_cvt_f32_f16_e32 v89, v89
	v_cvt_f16_f32_e32 v91, v33
	v_cvt_f16_f32_e32 v221, v35
	v_mfma_f32_16x16x16f16 v[32:35], v[72:73], v[64:65], v[86:89]
	s_waitcnt lgkmcnt(0)
	v_perm_b32 v73, v237, v231, s17
	v_perm_b32 v72, v230, v242, s17
	v_cvt_f32_f16_e32 v222, v236
	s_nop 2
	v_cvt_f32_f16_e32 v86, v82
	v_cvt_f32_f16_sdwa v87, v82 dst_sel:DWORD dst_unused:UNUSED_PAD src0_sel:WORD_1
	v_cvt_f32_f16_e32 v88, v83
	v_cvt_f32_f16_sdwa v89, v83 dst_sel:DWORD dst_unused:UNUSED_PAD src0_sel:WORD_1
	v_pack_b32_f16 v83, v224, v91
	v_cvt_f16_f32_e32 v91, v32
	v_mfma_f32_16x16x16f16 v[86:89], v[72:73], v[38:39], v[86:89]
	v_pack_b32_f16 v82, v220, v221
	v_cvt_f16_f32_e32 v227, v33
	v_cvt_f16_f32_e32 v228, v34
	;; [unrolled: 1-line block ×3, first 2 shown]
	v_cvt_f32_f16_sdwa v221, v37 dst_sel:DWORD dst_unused:UNUSED_PAD src0_sel:WORD_1
	s_nop 5
	v_cvt_f16_f32_e32 v32, v86
	v_cvt_f16_f32_e32 v72, v87
	v_cvt_f16_f32_e32 v73, v88
	v_cvt_f16_f32_e32 v89, v89
	v_cvt_f32_f16_e32 v86, v32
	v_cvt_f32_f16_e32 v87, v72
	v_cvt_f32_f16_e32 v88, v73
	ds_read_u16 v32, v198 offset:16896
	ds_read_u16 v72, v199 offset:528
	;; [unrolled: 1-line block ×8, first 2 shown]
	s_waitcnt lgkmcnt(4)
	v_perm_b32 v73, v220, v73, s17
	v_perm_b32 v72, v72, v32, s17
	v_cvt_f32_f16_e32 v89, v89
	v_cvt_f32_f16_e32 v220, v37
	s_nop 0
	v_mfma_f32_16x16x16f16 v[32:35], v[72:73], v[64:65], v[86:89]
	s_waitcnt lgkmcnt(2)
	v_perm_b32 v73, v238, v224, s17
	v_perm_b32 v72, v223, v243, s17
	v_cvt_f32_f16_sdwa v223, v236 dst_sel:DWORD dst_unused:UNUSED_PAD src0_sel:WORD_1
	s_nop 2
	v_pack_b32_f16 v87, v91, v227
	v_mfma_f32_16x16x16f16 v[220:223], v[72:73], v[38:39], v[220:223]
	s_nop 1
	v_cvt_f16_f32_e32 v37, v32
	v_pack_b32_f16 v86, v228, v229
	s_nop 6
	v_cvt_f16_f32_e32 v32, v220
	v_cvt_f16_f32_e32 v72, v221
	;; [unrolled: 1-line block ×4, first 2 shown]
	v_cvt_f32_f16_e32 v220, v32
	v_cvt_f32_f16_e32 v221, v72
	ds_read_u16 v32, v205 offset:1056
	ds_read_u16 v72, v206 offset:16896
	;; [unrolled: 1-line block ×8, first 2 shown]
	v_cvt_f32_f16_e32 v222, v73
	s_waitcnt lgkmcnt(6)
	v_perm_b32 v73, v72, v32, s17
	v_perm_b32 v72, v226, v225, s17
	v_cvt_f32_f16_e32 v223, v88
	v_cvt_f16_f32_e32 v88, v33
	v_cvt_f16_f32_e32 v225, v34
	v_cvt_f16_f32_e32 v226, v35
	v_mfma_f32_16x16x16f16 v[32:35], v[72:73], v[64:65], v[220:223]
	s_waitcnt lgkmcnt(4)
	v_perm_b32 v73, v239, v91, s17
	v_perm_b32 v72, v89, v244, s17
	v_pack_b32_f16 v89, v37, v88
	v_pack_b32_f16 v88, v225, v226
	s_waitcnt lgkmcnt(0)
	s_nop 0
	v_cvt_f32_f16_e32 v220, v234
	v_cvt_f32_f16_sdwa v221, v234 dst_sel:DWORD dst_unused:UNUSED_PAD src0_sel:WORD_1
	v_cvt_f32_f16_e32 v222, v219
	v_cvt_f32_f16_sdwa v223, v219 dst_sel:DWORD dst_unused:UNUSED_PAD src0_sel:WORD_1
	v_cvt_f16_f32_e32 v37, v32
	v_cvt_f16_f32_e32 v219, v35
	v_mfma_f32_16x16x16f16 v[220:223], v[72:73], v[38:39], v[220:223]
	v_cvt_f16_f32_e32 v73, v34
	s_barrier
	s_nop 7
	s_nop 0
	v_cvt_f16_f32_e32 v38, v221
	v_cvt_f16_f32_e32 v39, v222
	;; [unrolled: 1-line block ×4, first 2 shown]
	v_cvt_f32_f16_e32 v221, v38
	v_cvt_f32_f16_e32 v222, v39
	v_perm_b32 v39, v229, v228, s17
	v_perm_b32 v38, v227, v224, s17
	v_cvt_f32_f16_e32 v220, v32
	v_cvt_f32_f16_e32 v223, v72
	v_cvt_f16_f32_e32 v72, v33
	v_pack_b32_f16 v91, v37, v72
	v_mfma_f32_16x16x16f16 v[32:35], v[38:39], v[64:65], v[220:223]
	v_pack_b32_f16 v65, v73, v219
	s_nop 7
	s_nop 1
	v_cvt_f16_f32_e32 v32, v32
	v_cvt_f16_f32_e32 v33, v33
	;; [unrolled: 1-line block ×4, first 2 shown]
	v_pack_b32_f16 v73, v32, v33
	v_pack_b32_f16 v72, v34, v35
	s_cbranch_vccz .LBB30_634
; %bb.633:                              ;   in Loop: Header=BB30_600 Depth=1
	v_mov_b32_e32 v64, v80
	v_mov_b32_e32 v80, v36
	s_branch .LBB30_600
.LBB30_634:
	s_lshl_b32 s2, s78, 6
	s_ashr_i32 s3, s2, 31
	s_lshl_b64 s[4:5], s[2:3], 1
	s_add_u32 s0, s10, s4
	v_lshlrev_b64 v[32:33], 1, v[46:47]
	s_addc_u32 s4, s11, s5
	v_add_co_u32_e32 v35, vcc, s0, v32
	s_mul_i32 s0, s42, s3
	s_mul_hi_u32 s3, s42, s2
	v_mov_b32_e32 v34, s4
	s_add_i32 s0, s3, s0
	s_mul_i32 s1, s1, s2
	v_addc_co_u32_e32 v34, vcc, v34, v33, vcc
	v_lshlrev_b64 v[32:33], 1, v[42:43]
	s_add_i32 s1, s0, s1
	s_mul_i32 s0, s42, s2
	v_add_co_u32_e32 v32, vcc, v35, v32
	s_lshl_b64 s[0:1], s[0:1], 2
	v_addc_co_u32_e32 v33, vcc, v34, v33, vcc
	s_add_u32 s0, s8, s0
	global_load_dword v43, v[32:33], off
	s_addc_u32 s1, s9, s1
	v_lshlrev_b64 v[32:33], 2, v[48:49]
	v_mov_b32_e32 v34, s1
	v_add_co_u32_e32 v35, vcc, s0, v32
	v_addc_co_u32_e32 v37, vcc, v34, v33, vcc
	v_lshlrev_b64 v[32:33], 2, v[44:45]
	v_add_co_u32_e32 v34, vcc, v35, v32
	v_addc_co_u32_e32 v35, vcc, v37, v33, vcc
	v_lshlrev_b64 v[38:39], 2, v[50:51]
	v_mov_b32_e32 v37, s1
	v_add_co_u32_e32 v38, vcc, s0, v38
	v_addc_co_u32_e32 v37, vcc, v37, v39, vcc
	v_add_co_u32_e32 v38, vcc, v38, v32
	v_addc_co_u32_e32 v39, vcc, v37, v33, vcc
	global_load_dwordx4 v[46:49], v[34:35], off
	global_load_dwordx4 v[56:59], v[38:39], off
	v_lshlrev_b64 v[34:35], 2, v[52:53]
	v_mov_b32_e32 v37, s1
	v_add_co_u32_e32 v34, vcc, s0, v34
	v_addc_co_u32_e32 v35, vcc, v37, v35, vcc
	v_add_co_u32_e32 v34, vcc, v34, v32
	v_addc_co_u32_e32 v35, vcc, v35, v33, vcc
	v_lshlrev_b64 v[38:39], 2, v[54:55]
	v_add_co_u32_e32 v38, vcc, s0, v38
	v_addc_co_u32_e32 v37, vcc, v37, v39, vcc
	v_add_co_u32_e32 v38, vcc, v38, v32
	v_addc_co_u32_e32 v39, vcc, v37, v33, vcc
	global_load_dwordx4 v[50:53], v[34:35], off
	global_load_dwordx4 v[60:63], v[38:39], off
	v_lshlrev_b32_e32 v34, 1, v42
	v_add_u32_e32 v39, 0, v111
	v_lshlrev_b32_e32 v38, 2, v44
	v_add3_u32 v42, 0, v117, v34
	v_add3_u32 v39, v39, v110, v116
	;; [unrolled: 1-line block ×6, first 2 shown]
	s_mov_b32 s0, 0x3f200000
	s_waitcnt vmcnt(4)
	ds_write_b32 v42, v43 offset:33792
	s_waitcnt vmcnt(3)
	ds_write_b128 v34, v[46:49]
	s_waitcnt vmcnt(2)
	ds_write_b128 v35, v[56:59]
	;; [unrolled: 2-line block ×4, first 2 shown]
	v_add_u32_e32 v58, 0x4000, v39
	s_waitcnt lgkmcnt(0)
	s_barrier
	ds_read2_b64 v[42:45], v39 offset1:4
	ds_read2_b64 v[50:53], v58 offset0:64 offset1:68
	s_waitcnt lgkmcnt(1)
	v_mfma_f32_16x16x16f16 v[46:49], v[42:43], v[28:29], 0
	s_waitcnt lgkmcnt(0)
	v_mfma_f32_16x16x16f16 v[54:57], v[50:51], v[28:29], 0
	v_mfma_f32_16x16x16f16 v[42:45], v[44:45], v[30:31], v[46:49]
	;; [unrolled: 1-line block ×3, first 2 shown]
	s_nop 6
	ds_read2_b64 v[46:49], v39 offset0:8 offset1:12
	ds_read2_b64 v[50:53], v58 offset0:72 offset1:76
	s_waitcnt lgkmcnt(1)
	v_mfma_f32_16x16x16f16 v[42:45], v[46:47], v[24:25], v[42:45]
	s_waitcnt lgkmcnt(0)
	v_mfma_f32_16x16x16f16 v[28:31], v[50:51], v[24:25], v[28:31]
	v_mfma_f32_16x16x16f16 v[42:45], v[48:49], v[26:27], v[42:45]
	ds_read2_b64 v[46:49], v58 offset0:80 offset1:84
	v_mfma_f32_16x16x16f16 v[24:27], v[52:53], v[26:27], v[28:31]
	s_nop 7
	ds_read2_b64 v[28:31], v39 offset0:16 offset1:20
	s_waitcnt lgkmcnt(0)
	v_mfma_f32_16x16x16f16 v[42:45], v[28:29], v[20:21], v[42:45]
	v_mfma_f32_16x16x16f16 v[24:27], v[46:47], v[20:21], v[24:27]
	v_mfma_f32_16x16x16f16 v[28:31], v[30:31], v[22:23], v[42:45]
	v_mfma_f32_16x16x16f16 v[20:23], v[48:49], v[22:23], v[24:27]
	s_nop 7
	ds_read2_b64 v[42:45], v58 offset0:88 offset1:92
	ds_read2_b64 v[24:27], v39 offset0:24 offset1:28
	s_waitcnt lgkmcnt(0)
	v_mfma_f32_16x16x16f16 v[28:31], v[24:25], v[16:17], v[28:31]
	v_mfma_f32_16x16x16f16 v[20:23], v[42:43], v[16:17], v[20:23]
	v_mfma_f32_16x16x16f16 v[24:27], v[26:27], v[18:19], v[28:31]
	v_mfma_f32_16x16x16f16 v[16:19], v[44:45], v[18:19], v[20:23]
	s_nop 7
	ds_read2_b64 v[28:31], v58 offset0:96 offset1:100
	;; [unrolled: 8-line block ×3, first 2 shown]
	ds_read2_b64 v[16:19], v39 offset0:40 offset1:44
	s_waitcnt lgkmcnt(0)
	v_mfma_f32_16x16x16f16 v[20:23], v[16:17], v[8:9], v[20:23]
	v_mfma_f32_16x16x16f16 v[28:31], v[24:25], v[8:9], v[12:15]
	v_mfma_f32_16x16x16f16 v[12:15], v[18:19], v[10:11], v[20:23]
	ds_read2_b64 v[16:19], v39 offset0:48 offset1:52
	s_waitcnt lgkmcnt(0)
	v_mfma_f32_16x16x16f16 v[12:15], v[16:17], v[4:5], v[12:15]
	v_mfma_f32_16x16x16f16 v[12:15], v[18:19], v[6:7], v[12:15]
	ds_read2_b64 v[16:19], v39 offset0:56 offset1:60
	s_waitcnt lgkmcnt(0)
	v_mfma_f32_16x16x16f16 v[12:15], v[16:17], v[0:1], v[12:15]
	v_mfma_f32_16x16x16f16 v[12:15], v[18:19], v[2:3], v[12:15]
	ds_read2_b64 v[16:19], v58 offset0:112 offset1:116
	v_mfma_f32_16x16x16f16 v[8:11], v[26:27], v[10:11], v[28:31]
	s_nop 7
	s_nop 0
	v_cmp_nlt_f32_e64 s[0:1], |v12|, s0
	s_waitcnt lgkmcnt(0)
	v_mfma_f32_16x16x16f16 v[8:11], v[16:17], v[4:5], v[8:11]
	v_mfma_f32_16x16x16f16 v[4:7], v[18:19], v[6:7], v[8:11]
	s_nop 7
	s_nop 1
	ds_read2_b64 v[8:11], v58 offset0:120 offset1:124
	s_waitcnt lgkmcnt(0)
	v_mfma_f32_16x16x16f16 v[6:9], v[8:9], v[0:1], v[4:7]
	s_barrier
	s_waitcnt lgkmcnt(0)
                                        ; implicit-def: $vgpr4
	v_mfma_f32_16x16x16f16 v[0:3], v[10:11], v[2:3], v[6:9]
	s_and_saveexec_b64 s[4:5], s[0:1]
	s_xor_b64 s[0:1], exec, s[4:5]
	s_cbranch_execz .LBB30_636
; %bb.635:
	s_nop 0
	v_add_f32_e64 v4, |v12|, |v12|
	v_mul_f32_e32 v5, 0x3fb8aa3b, v4
	s_mov_b32 s3, 0x3fb8aa3b
	s_nop 0
	v_rndne_f32_e32 v6, v5
	v_sub_f32_e32 v7, v5, v6
	v_fma_f32 v5, v4, s3, -v5
	v_fmac_f32_e32 v5, 0x32a5705f, v4
	v_add_f32_e32 v5, v7, v5
	v_exp_f32_e32 v5, v5
	v_cvt_i32_f32_e32 v6, v6
	s_mov_b32 s3, 0xc2ce8ed0
	v_cmp_ngt_f32_e32 vcc, s3, v4
	s_mov_b32 s3, 0x42b17218
	v_ldexp_f32 v5, v5, v6
	v_cndmask_b32_e32 v5, 0, v5, vcc
	v_mov_b32_e32 v6, 0x7f800000
	v_cmp_nlt_f32_e32 vcc, s3, v4
	v_cndmask_b32_e32 v4, v6, v5, vcc
	v_add_f32_e32 v4, 1.0, v4
	v_rcp_f32_e32 v4, v4
	v_fma_f32 v4, v4, -2.0, 1.0
.LBB30_636:
	s_andn2_saveexec_b64 s[0:1], s[0:1]
; %bb.637:
	v_mul_f32_e32 v4, v12, v12
	v_mov_b32_e32 v5, 0x3ca908c9
	v_fmac_f32_e32 v5, 0xbbbac73d, v4
	s_nop 0
	v_mov_b32_e32 v6, 0xbd5c1c4e
	v_fmac_f32_e32 v6, v4, v5
	v_mov_b32_e32 v5, 0x3e088382
	v_fmac_f32_e32 v5, v4, v6
	;; [unrolled: 2-line block ×3, first 2 shown]
	v_mul_f32_e64 v5, |v12|, v6
	v_fma_f32 v4, v4, v5, |v12|
; %bb.638:
	s_or_b64 exec, exec, s[0:1]
	s_mov_b32 s0, 0x3f200000
	v_cmp_nlt_f32_e64 s[0:1], |v13|, s0
                                        ; implicit-def: $vgpr5
	s_and_saveexec_b64 s[4:5], s[0:1]
	s_xor_b64 s[0:1], exec, s[4:5]
	s_cbranch_execz .LBB30_640
; %bb.639:
	v_add_f32_e64 v5, |v13|, |v13|
	v_mul_f32_e32 v6, 0x3fb8aa3b, v5
	s_mov_b32 s3, 0x3fb8aa3b
	v_rndne_f32_e32 v7, v6
	v_sub_f32_e32 v8, v6, v7
	v_fma_f32 v6, v5, s3, -v6
	v_fmac_f32_e32 v6, 0x32a5705f, v5
	v_add_f32_e32 v6, v8, v6
	v_exp_f32_e32 v6, v6
	v_cvt_i32_f32_e32 v7, v7
	s_mov_b32 s3, 0xc2ce8ed0
	v_cmp_ngt_f32_e32 vcc, s3, v5
	s_mov_b32 s3, 0x42b17218
	v_ldexp_f32 v6, v6, v7
	v_cndmask_b32_e32 v6, 0, v6, vcc
	v_mov_b32_e32 v7, 0x7f800000
	v_cmp_nlt_f32_e32 vcc, s3, v5
	v_cndmask_b32_e32 v5, v7, v6, vcc
	v_add_f32_e32 v5, 1.0, v5
	v_rcp_f32_e32 v5, v5
	v_fma_f32 v5, v5, -2.0, 1.0
.LBB30_640:
	s_andn2_saveexec_b64 s[0:1], s[0:1]
; %bb.641:
	v_mul_f32_e32 v5, v13, v13
	v_mov_b32_e32 v6, 0x3ca908c9
	v_fmac_f32_e32 v6, 0xbbbac73d, v5
	v_mov_b32_e32 v7, 0xbd5c1c4e
	v_fmac_f32_e32 v7, v5, v6
	;; [unrolled: 2-line block ×4, first 2 shown]
	v_mul_f32_e64 v6, |v13|, v7
	v_fma_f32 v5, v5, v6, |v13|
; %bb.642:
	s_or_b64 exec, exec, s[0:1]
	s_mov_b32 s0, 0x3f200000
	v_cmp_nlt_f32_e64 s[0:1], |v14|, s0
                                        ; implicit-def: $vgpr6
	s_and_saveexec_b64 s[4:5], s[0:1]
	s_xor_b64 s[0:1], exec, s[4:5]
	s_cbranch_execz .LBB30_644
; %bb.643:
	v_add_f32_e64 v6, |v14|, |v14|
	v_mul_f32_e32 v7, 0x3fb8aa3b, v6
	s_mov_b32 s3, 0x3fb8aa3b
	v_rndne_f32_e32 v8, v7
	v_sub_f32_e32 v9, v7, v8
	v_fma_f32 v7, v6, s3, -v7
	v_fmac_f32_e32 v7, 0x32a5705f, v6
	v_add_f32_e32 v7, v9, v7
	v_exp_f32_e32 v7, v7
	v_cvt_i32_f32_e32 v8, v8
	s_mov_b32 s3, 0xc2ce8ed0
	v_cmp_ngt_f32_e32 vcc, s3, v6
	s_mov_b32 s3, 0x42b17218
	v_ldexp_f32 v7, v7, v8
	v_cndmask_b32_e32 v7, 0, v7, vcc
	v_mov_b32_e32 v8, 0x7f800000
	v_cmp_nlt_f32_e32 vcc, s3, v6
	v_cndmask_b32_e32 v6, v8, v7, vcc
	v_add_f32_e32 v6, 1.0, v6
	v_rcp_f32_e32 v6, v6
	v_fma_f32 v6, v6, -2.0, 1.0
.LBB30_644:
	s_andn2_saveexec_b64 s[0:1], s[0:1]
; %bb.645:
	v_mul_f32_e32 v6, v14, v14
	v_mov_b32_e32 v7, 0x3ca908c9
	v_fmac_f32_e32 v7, 0xbbbac73d, v6
	v_mov_b32_e32 v8, 0xbd5c1c4e
	v_fmac_f32_e32 v8, v6, v7
	;; [unrolled: 2-line block ×4, first 2 shown]
	v_mul_f32_e64 v7, |v14|, v8
	v_fma_f32 v6, v6, v7, |v14|
; %bb.646:
	s_or_b64 exec, exec, s[0:1]
	s_mov_b32 s0, 0x3f200000
	v_cmp_nlt_f32_e64 s[0:1], |v15|, s0
                                        ; implicit-def: $vgpr7
	s_and_saveexec_b64 s[4:5], s[0:1]
	s_xor_b64 s[0:1], exec, s[4:5]
	s_cbranch_execz .LBB30_648
; %bb.647:
	v_add_f32_e64 v7, |v15|, |v15|
	v_mul_f32_e32 v8, 0x3fb8aa3b, v7
	s_mov_b32 s3, 0x3fb8aa3b
	v_rndne_f32_e32 v9, v8
	v_sub_f32_e32 v10, v8, v9
	v_fma_f32 v8, v7, s3, -v8
	v_fmac_f32_e32 v8, 0x32a5705f, v7
	v_add_f32_e32 v8, v10, v8
	v_exp_f32_e32 v8, v8
	v_cvt_i32_f32_e32 v9, v9
	s_mov_b32 s3, 0xc2ce8ed0
	v_cmp_ngt_f32_e32 vcc, s3, v7
	s_mov_b32 s3, 0x42b17218
	v_ldexp_f32 v8, v8, v9
	v_cndmask_b32_e32 v8, 0, v8, vcc
	v_mov_b32_e32 v9, 0x7f800000
	v_cmp_nlt_f32_e32 vcc, s3, v7
	v_cndmask_b32_e32 v7, v9, v8, vcc
	v_add_f32_e32 v7, 1.0, v7
	v_rcp_f32_e32 v7, v7
	v_fma_f32 v7, v7, -2.0, 1.0
.LBB30_648:
	s_andn2_saveexec_b64 s[0:1], s[0:1]
; %bb.649:
	v_mul_f32_e32 v7, v15, v15
	v_mov_b32_e32 v8, 0x3ca908c9
	v_fmac_f32_e32 v8, 0xbbbac73d, v7
	v_mov_b32_e32 v9, 0xbd5c1c4e
	v_fmac_f32_e32 v9, v7, v8
	;; [unrolled: 2-line block ×4, first 2 shown]
	v_mul_f32_e64 v8, |v15|, v9
	v_fma_f32 v7, v7, v8, |v15|
; %bb.650:
	s_or_b64 exec, exec, s[0:1]
	s_mov_b32 s0, 0x3f200000
	v_cmp_nlt_f32_e64 s[0:1], |v0|, s0
                                        ; implicit-def: $vgpr8
	s_and_saveexec_b64 s[4:5], s[0:1]
	s_xor_b64 s[0:1], exec, s[4:5]
	s_cbranch_execz .LBB30_652
; %bb.651:
	v_add_f32_e64 v8, |v0|, |v0|
	v_mul_f32_e32 v9, 0x3fb8aa3b, v8
	s_mov_b32 s3, 0x3fb8aa3b
	v_rndne_f32_e32 v10, v9
	v_sub_f32_e32 v11, v9, v10
	v_fma_f32 v9, v8, s3, -v9
	v_fmac_f32_e32 v9, 0x32a5705f, v8
	v_add_f32_e32 v9, v11, v9
	v_exp_f32_e32 v9, v9
	v_cvt_i32_f32_e32 v10, v10
	s_mov_b32 s3, 0xc2ce8ed0
	v_cmp_ngt_f32_e32 vcc, s3, v8
	s_mov_b32 s3, 0x42b17218
	v_ldexp_f32 v9, v9, v10
	v_cndmask_b32_e32 v9, 0, v9, vcc
	v_mov_b32_e32 v10, 0x7f800000
	v_cmp_nlt_f32_e32 vcc, s3, v8
	v_cndmask_b32_e32 v8, v10, v9, vcc
	v_add_f32_e32 v8, 1.0, v8
	v_rcp_f32_e32 v8, v8
	v_fma_f32 v8, v8, -2.0, 1.0
.LBB30_652:
	s_andn2_saveexec_b64 s[0:1], s[0:1]
; %bb.653:
	v_mul_f32_e32 v8, v0, v0
	v_mov_b32_e32 v9, 0x3ca908c9
	v_fmac_f32_e32 v9, 0xbbbac73d, v8
	v_mov_b32_e32 v10, 0xbd5c1c4e
	v_fmac_f32_e32 v10, v8, v9
	;; [unrolled: 2-line block ×4, first 2 shown]
	v_mul_f32_e64 v9, |v0|, v10
	v_fma_f32 v8, v8, v9, |v0|
; %bb.654:
	s_or_b64 exec, exec, s[0:1]
	s_mov_b32 s0, 0x3f200000
	v_cmp_nlt_f32_e64 s[0:1], |v1|, s0
                                        ; implicit-def: $vgpr9
	s_and_saveexec_b64 s[4:5], s[0:1]
	s_xor_b64 s[0:1], exec, s[4:5]
	s_cbranch_execz .LBB30_656
; %bb.655:
	v_add_f32_e64 v9, |v1|, |v1|
	v_mul_f32_e32 v10, 0x3fb8aa3b, v9
	s_mov_b32 s3, 0x3fb8aa3b
	v_rndne_f32_e32 v11, v10
	v_sub_f32_e32 v16, v10, v11
	v_fma_f32 v10, v9, s3, -v10
	v_fmac_f32_e32 v10, 0x32a5705f, v9
	v_add_f32_e32 v10, v16, v10
	v_exp_f32_e32 v10, v10
	v_cvt_i32_f32_e32 v11, v11
	s_mov_b32 s3, 0xc2ce8ed0
	v_cmp_ngt_f32_e32 vcc, s3, v9
	s_mov_b32 s3, 0x42b17218
	v_ldexp_f32 v10, v10, v11
	v_cndmask_b32_e32 v10, 0, v10, vcc
	v_mov_b32_e32 v11, 0x7f800000
	v_cmp_nlt_f32_e32 vcc, s3, v9
	v_cndmask_b32_e32 v9, v11, v10, vcc
	v_add_f32_e32 v9, 1.0, v9
	v_rcp_f32_e32 v9, v9
	v_fma_f32 v9, v9, -2.0, 1.0
.LBB30_656:
	s_andn2_saveexec_b64 s[0:1], s[0:1]
; %bb.657:
	v_mul_f32_e32 v9, v1, v1
	v_mov_b32_e32 v10, 0x3ca908c9
	v_fmac_f32_e32 v10, 0xbbbac73d, v9
	v_mov_b32_e32 v11, 0xbd5c1c4e
	v_fmac_f32_e32 v11, v9, v10
	v_mov_b32_e32 v10, 0x3e088382
	v_fmac_f32_e32 v10, v9, v11
	v_mov_b32_e32 v11, 0xbeaaaa99
	v_fmac_f32_e32 v11, v9, v10
	v_mul_f32_e64 v10, |v1|, v11
	v_fma_f32 v9, v9, v10, |v1|
; %bb.658:
	s_or_b64 exec, exec, s[0:1]
	s_mov_b32 s0, 0x3f200000
	v_cmp_nlt_f32_e64 s[0:1], |v2|, s0
                                        ; implicit-def: $vgpr10
	s_and_saveexec_b64 s[4:5], s[0:1]
	s_xor_b64 s[0:1], exec, s[4:5]
	s_cbranch_execz .LBB30_660
; %bb.659:
	v_add_f32_e64 v10, |v2|, |v2|
	v_mul_f32_e32 v11, 0x3fb8aa3b, v10
	s_mov_b32 s3, 0x3fb8aa3b
	v_rndne_f32_e32 v16, v11
	v_sub_f32_e32 v17, v11, v16
	v_fma_f32 v11, v10, s3, -v11
	v_fmac_f32_e32 v11, 0x32a5705f, v10
	v_add_f32_e32 v11, v17, v11
	v_exp_f32_e32 v11, v11
	v_cvt_i32_f32_e32 v16, v16
	s_mov_b32 s3, 0xc2ce8ed0
	v_cmp_ngt_f32_e32 vcc, s3, v10
	s_mov_b32 s3, 0x42b17218
	v_ldexp_f32 v11, v11, v16
	v_cndmask_b32_e32 v11, 0, v11, vcc
	v_mov_b32_e32 v16, 0x7f800000
	v_cmp_nlt_f32_e32 vcc, s3, v10
	v_cndmask_b32_e32 v10, v16, v11, vcc
	v_add_f32_e32 v10, 1.0, v10
	v_rcp_f32_e32 v10, v10
	v_fma_f32 v10, v10, -2.0, 1.0
.LBB30_660:
	s_andn2_saveexec_b64 s[0:1], s[0:1]
; %bb.661:
	v_mul_f32_e32 v10, v2, v2
	v_mov_b32_e32 v11, 0x3ca908c9
	v_fmac_f32_e32 v11, 0xbbbac73d, v10
	v_mov_b32_e32 v16, 0xbd5c1c4e
	v_fmac_f32_e32 v16, v10, v11
	v_mov_b32_e32 v11, 0x3e088382
	v_fmac_f32_e32 v11, v10, v16
	v_mov_b32_e32 v16, 0xbeaaaa99
	v_fmac_f32_e32 v16, v10, v11
	v_mul_f32_e64 v11, |v2|, v16
	v_fma_f32 v10, v10, v11, |v2|
; %bb.662:
	s_or_b64 exec, exec, s[0:1]
	s_mov_b32 s0, 0x3f200000
	v_cmp_nlt_f32_e64 s[0:1], |v3|, s0
                                        ; implicit-def: $vgpr11
	s_and_saveexec_b64 s[4:5], s[0:1]
	s_xor_b64 s[0:1], exec, s[4:5]
	s_cbranch_execz .LBB30_664
; %bb.663:
	v_add_f32_e64 v11, |v3|, |v3|
	v_mul_f32_e32 v16, 0x3fb8aa3b, v11
	s_mov_b32 s3, 0x3fb8aa3b
	v_rndne_f32_e32 v17, v16
	v_sub_f32_e32 v18, v16, v17
	v_fma_f32 v16, v11, s3, -v16
	v_fmac_f32_e32 v16, 0x32a5705f, v11
	v_add_f32_e32 v16, v18, v16
	v_exp_f32_e32 v16, v16
	v_cvt_i32_f32_e32 v17, v17
	s_mov_b32 s3, 0xc2ce8ed0
	v_cmp_ngt_f32_e32 vcc, s3, v11
	s_mov_b32 s3, 0x42b17218
	v_ldexp_f32 v16, v16, v17
	v_cndmask_b32_e32 v16, 0, v16, vcc
	v_mov_b32_e32 v17, 0x7f800000
	v_cmp_nlt_f32_e32 vcc, s3, v11
	v_cndmask_b32_e32 v11, v17, v16, vcc
	v_add_f32_e32 v11, 1.0, v11
	v_rcp_f32_e32 v11, v11
	v_fma_f32 v11, v11, -2.0, 1.0
.LBB30_664:
	s_andn2_saveexec_b64 s[0:1], s[0:1]
; %bb.665:
	v_mul_f32_e32 v11, v3, v3
	v_mov_b32_e32 v16, 0x3ca908c9
	v_fmac_f32_e32 v16, 0xbbbac73d, v11
	v_mov_b32_e32 v17, 0xbd5c1c4e
	v_fmac_f32_e32 v17, v11, v16
	v_mov_b32_e32 v16, 0x3e088382
	v_fmac_f32_e32 v16, v11, v17
	v_mov_b32_e32 v17, 0xbeaaaa99
	v_fmac_f32_e32 v17, v11, v16
	v_mul_f32_e64 v16, |v3|, v17
	v_fma_f32 v11, v11, v16, |v3|
; %bb.666:
	s_or_b64 exec, exec, s[0:1]
	s_brev_b32 s0, -2
	v_bfi_b32 v8, s0, v8, v0
	v_bfi_b32 v0, s0, v10, v2
	;; [unrolled: 1-line block ×3, first 2 shown]
	v_and_b32_e32 v22, 0xfc, v74
	v_lshrrev_b32_e32 v6, 2, v104
	v_bfi_b32 v9, s0, v9, v1
	v_bfi_b32 v1, s0, v11, v3
	v_bfi_b32 v3, s0, v7, v15
	v_mul_u32_u24_e32 v6, 0x90, v6
	v_add_lshl_u32 v7, v81, v22, 1
	v_add3_u32 v6, 0, v6, v7
	v_add_u32_e32 v10, 0x8400, v6
	ds_read2_b32 v[6:7], v10 offset1:1
	ds_read2_b32 v[10:11], v10 offset0:16 offset1:17
	v_mbcnt_hi_u32_b32 v16, -1, v100
	v_bfi_b32 v4, s0, v4, v12
	v_and_b32_e32 v12, 64, v16
	v_add_u32_e32 v17, 64, v12
	v_xor_b32_e32 v12, 32, v16
	v_cmp_lt_i32_e32 vcc, v12, v17
	v_bfi_b32 v5, s0, v5, v13
	v_cndmask_b32_e32 v14, v16, v12, vcc
	s_waitcnt lgkmcnt(0)
	v_cvt_f32_f16_e32 v12, v11
	v_cvt_f32_f16_sdwa v13, v11 dst_sel:DWORD dst_unused:UNUSED_PAD src0_sel:WORD_1
	v_lshlrev_b32_e32 v100, 2, v14
	v_cvt_f32_f16_e32 v14, v10
	v_cvt_f32_f16_sdwa v15, v10 dst_sel:DWORD dst_unused:UNUSED_PAD src0_sel:WORD_1
	v_pk_fma_f32 v[0:1], v[0:1], s[40:41], v[12:13] op_sel_hi:[1,0,1]
	v_cvt_f32_f16_e32 v12, v6
	v_cvt_f32_f16_sdwa v13, v6 dst_sel:DWORD dst_unused:UNUSED_PAD src0_sel:WORD_1
	v_cvt_f32_f16_e32 v10, v7
	v_cvt_f32_f16_sdwa v11, v7 dst_sel:DWORD dst_unused:UNUSED_PAD src0_sel:WORD_1
	v_pk_fma_f32 v[8:9], v[8:9], s[40:41], v[14:15] op_sel_hi:[1,0,1]
	v_pk_fma_f32 v[4:5], v[4:5], s[40:41], v[12:13] op_sel_hi:[1,0,1]
	v_add_f32_e32 v12, 0x40051340, v5
	v_pk_fma_f32 v[2:3], v[2:3], s[40:41], v[10:11] op_sel_hi:[1,0,1]
	v_add_f32_e32 v11, 0x40051340, v4
	v_add_f32_e32 v6, 0x40051340, v2
	;; [unrolled: 1-line block ×3, first 2 shown]
	v_max3_f32 v11, v36, v11, v12
	v_add_f32_e32 v14, 0x40051340, v8
	v_add_f32_e32 v7, 0x40051340, v9
	v_max3_f32 v6, v11, v6, v10
	v_add_f32_e32 v18, 0x40051340, v0
	v_add_f32_e32 v19, 0x40051340, v1
	v_max3_f32 v6, v6, v14, v7
	v_max3_f32 v6, v6, v18, v19
	ds_bpermute_b32 v7, v100, v6
	v_xor_b32_e32 v10, 16, v16
	v_cmp_lt_i32_e32 vcc, v10, v17
	v_cndmask_b32_e32 v10, v16, v10, vcc
	v_lshlrev_b32_e32 v81, 2, v10
	s_waitcnt lgkmcnt(0)
	v_max_f32_e32 v7, v7, v7
	v_max_f32_e32 v6, v6, v7
	ds_bpermute_b32 v7, v81, v6
	s_mov_b32 s3, 0x3fb8aa3b
	s_mov_b32 s0, 0xc2ce8ed0
	;; [unrolled: 1-line block ×3, first 2 shown]
	v_mov_b32_e32 v23, 0x7f800000
	s_waitcnt lgkmcnt(0)
	v_max_f32_e32 v7, v7, v7
	v_max_f32_e32 v64, v6, v7
	v_pk_add_f32 v[4:5], v[4:5], v[64:65] op_sel_hi:[1,0] neg_lo:[0,1] neg_hi:[0,1]
	v_mul_f32_e32 v6, 0x3fb8aa3b, v5
	v_fma_f32 v7, v5, s3, -v6
	v_rndne_f32_e32 v10, v6
	v_fmac_f32_e32 v7, 0x32a5705f, v5
	v_sub_f32_e32 v6, v6, v10
	v_add_f32_e32 v6, v6, v7
	v_exp_f32_e32 v6, v6
	v_cvt_i32_f32_e32 v7, v10
	v_cmp_ngt_f32_e32 vcc, s0, v5
	v_pk_add_f32 v[2:3], v[2:3], v[64:65] op_sel_hi:[1,0] neg_lo:[0,1] neg_hi:[0,1]
	s_mul_hi_i32 s5, s2, s30
	v_ldexp_f32 v6, v6, v7
	v_mul_f32_e32 v7, 0x3fb8aa3b, v4
	v_fma_f32 v10, v4, s3, -v7
	v_rndne_f32_e32 v11, v7
	v_fmac_f32_e32 v10, 0x32a5705f, v4
	v_sub_f32_e32 v7, v7, v11
	v_add_f32_e32 v7, v7, v10
	v_exp_f32_e32 v7, v7
	v_cvt_i32_f32_e32 v10, v11
	v_cndmask_b32_e32 v6, 0, v6, vcc
	v_cmp_nlt_f32_e32 vcc, s1, v5
	v_cndmask_b32_e32 v20, v23, v6, vcc
	v_mul_f32_e32 v6, 0x3fb8aa3b, v3
	v_ldexp_f32 v5, v7, v10
	v_fma_f32 v7, v3, s3, -v6
	v_rndne_f32_e32 v10, v6
	v_fmac_f32_e32 v7, 0x32a5705f, v3
	v_sub_f32_e32 v6, v6, v10
	v_add_f32_e32 v6, v6, v7
	v_exp_f32_e32 v6, v6
	v_cvt_i32_f32_e32 v7, v10
	v_cmp_ngt_f32_e32 vcc, s0, v4
	v_cndmask_b32_e32 v5, 0, v5, vcc
	v_cmp_nlt_f32_e32 vcc, s1, v4
	v_cndmask_b32_e32 v21, v23, v5, vcc
	v_mul_f32_e32 v5, 0x3fb8aa3b, v2
	v_ldexp_f32 v4, v6, v7
	v_fma_f32 v6, v2, s3, -v5
	v_rndne_f32_e32 v7, v5
	v_fmac_f32_e32 v6, 0x32a5705f, v2
	v_sub_f32_e32 v5, v5, v7
	v_add_f32_e32 v5, v5, v6
	v_exp_f32_e32 v5, v5
	v_cvt_i32_f32_e32 v6, v7
	v_cmp_ngt_f32_e32 vcc, s0, v3
	v_cndmask_b32_e32 v4, 0, v4, vcc
	v_cmp_nlt_f32_e32 vcc, s1, v3
	v_cndmask_b32_e32 v24, v23, v4, vcc
	v_ldexp_f32 v3, v5, v6
	v_pk_add_f32 v[4:5], v[8:9], v[64:65] op_sel_hi:[1,0] neg_lo:[0,1] neg_hi:[0,1]
	v_mul_f32_e32 v6, 0x3fb8aa3b, v5
	v_fma_f32 v7, v5, s3, -v6
	v_rndne_f32_e32 v8, v6
	v_fmac_f32_e32 v7, 0x32a5705f, v5
	v_sub_f32_e32 v6, v6, v8
	v_add_f32_e32 v6, v6, v7
	v_exp_f32_e32 v6, v6
	v_cvt_i32_f32_e32 v7, v8
	s_mul_i32 s4, s2, s30
	v_cmp_ngt_f32_e32 vcc, s0, v2
	s_lshl_b64 s[4:5], s[4:5], 2
	v_cndmask_b32_e32 v3, 0, v3, vcc
	v_cmp_nlt_f32_e32 vcc, s1, v2
	s_add_u32 s2, s6, s4
	v_cndmask_b32_e32 v25, v23, v3, vcc
	s_addc_u32 s4, s7, s5
	v_lshlrev_b64 v[2:3], 2, v[40:41]
	v_ldexp_f32 v26, v6, v7
	v_mov_b32_e32 v6, s4
	v_add_co_u32_e32 v2, vcc, s2, v2
	v_addc_co_u32_e32 v3, vcc, v6, v3, vcc
	v_mul_lo_u32 v6, v75, s30
	v_add_co_u32_e32 v2, vcc, v2, v32
	v_ashrrev_i32_e32 v7, 31, v6
	v_addc_co_u32_e32 v3, vcc, v3, v33, vcc
	v_lshlrev_b64 v[6:7], 2, v[6:7]
	v_mov_b32_e32 v8, s4
	v_add_co_u32_e32 v6, vcc, s2, v6
	v_addc_co_u32_e32 v7, vcc, v8, v7, vcc
	v_mul_lo_u32 v8, v76, s30
	v_add_co_u32_e32 v6, vcc, v6, v32
	v_ashrrev_i32_e32 v9, 31, v8
	v_addc_co_u32_e32 v7, vcc, v7, v33, vcc
	v_lshlrev_b64 v[8:9], 2, v[8:9]
	;; [unrolled: 8-line block ×3, first 2 shown]
	v_mov_b32_e32 v12, s4
	v_add_co_u32_e32 v10, vcc, s2, v10
	v_addc_co_u32_e32 v11, vcc, v12, v11, vcc
	v_add_co_u32_e32 v18, vcc, v10, v32
	v_addc_co_u32_e32 v19, vcc, v11, v33, vcc
	global_load_dwordx4 v[10:13], v[2:3], off
	global_load_dwordx4 v[14:17], v[6:7], off
	;; [unrolled: 1-line block ×4, first 2 shown]
	v_mul_f32_e32 v27, 0x3fb8aa3b, v4
	v_fma_f32 v28, v4, s3, -v27
	v_rndne_f32_e32 v2, v27
	v_fmac_f32_e32 v28, 0x32a5705f, v4
	v_sub_f32_e32 v3, v27, v2
	v_add_f32_e32 v3, v3, v28
	v_exp_f32_e32 v3, v3
	v_cvt_i32_f32_e32 v2, v2
	v_cmp_ngt_f32_e32 vcc, s0, v5
	v_pk_add_f32 v[0:1], v[0:1], v[64:65] op_sel_hi:[1,0] neg_lo:[0,1] neg_hi:[0,1]
	v_cndmask_b32_e32 v6, 0, v26, vcc
	v_cmp_nlt_f32_e32 vcc, s1, v5
	v_ldexp_f32 v2, v3, v2
	v_mul_f32_e32 v3, 0x3fb8aa3b, v1
	v_cndmask_b32_e32 v26, v23, v6, vcc
	v_fma_f32 v5, v1, s3, -v3
	v_rndne_f32_e32 v6, v3
	v_fmac_f32_e32 v5, 0x32a5705f, v1
	v_sub_f32_e32 v3, v3, v6
	v_add_f32_e32 v3, v3, v5
	v_exp_f32_e32 v3, v3
	v_cvt_i32_f32_e32 v5, v6
	v_cmp_ngt_f32_e32 vcc, s0, v4
	v_cndmask_b32_e32 v2, 0, v2, vcc
	v_cmp_nlt_f32_e32 vcc, s1, v4
	v_cndmask_b32_e32 v104, v23, v2, vcc
	v_ldexp_f32 v2, v3, v5
	v_mul_f32_e32 v3, 0x3fb8aa3b, v0
	v_fma_f32 v4, v0, s3, -v3
	v_rndne_f32_e32 v5, v3
	v_fmac_f32_e32 v4, 0x32a5705f, v0
	v_sub_f32_e32 v3, v3, v5
	v_add_f32_e32 v3, v3, v4
	v_cvt_i32_f32_e32 v4, v5
	v_sub_f32_e32 v5, v36, v64
	v_mul_f32_e32 v6, 0x3fb8aa3b, v5
	v_fma_f32 v7, v5, s3, -v6
	v_rndne_f32_e32 v8, v6
	v_fmac_f32_e32 v7, 0x32a5705f, v5
	v_sub_f32_e32 v6, v6, v8
	v_add_f32_e32 v6, v6, v7
	v_exp_f32_e32 v6, v6
	v_cvt_i32_f32_e32 v7, v8
	v_cmp_ngt_f32_e32 vcc, s0, v1
	v_cndmask_b32_e32 v2, 0, v2, vcc
	v_exp_f32_e32 v3, v3
	v_cmp_nlt_f32_e32 vcc, s1, v1
	v_cndmask_b32_e32 v75, v23, v2, vcc
	v_ldexp_f32 v2, v6, v7
	v_cmp_ngt_f32_e32 vcc, s0, v5
	v_cndmask_b32_e32 v2, 0, v2, vcc
	v_cmp_nlt_f32_e32 vcc, s1, v5
	s_mov_b32 s2, 0xc1a00000
	v_cndmask_b32_e32 v2, v23, v2, vcc
	v_cmp_le_f32_e32 vcc, s2, v5
	v_ldexp_f32 v1, v3, v4
	v_cndmask_b32_e32 v76, 0, v2, vcc
	v_cmp_ngt_f32_e32 vcc, s0, v0
	v_cndmask_b32_e32 v1, 0, v1, vcc
	v_cmp_nlt_f32_e32 vcc, s1, v0
	v_cvt_f16_f32_e32 v0, v20
	v_cvt_f16_f32_e32 v2, v21
	;; [unrolled: 1-line block ×4, first 2 shown]
	s_movk_i32 s1, 0x420
	v_pack_b32_f16 v28, v2, v0
	v_or_b32_e32 v2, 3, v74
	v_cvt_f16_f32_e32 v27, v76
	v_mul_u32_u24_e32 v0, 0x108, v22
	v_mul_u32_u24_e32 v110, 0x210, v22
	;; [unrolled: 1-line block ×3, first 2 shown]
	v_mad_u32_u24 v2, v67, s1, 0
	v_pack_b32_f16 v29, v5, v4
	v_or_b32_e32 v0, v0, v69
	v_add3_u32 v5, v2, v110, v66
	v_cndmask_b32_e32 v78, v23, v1, vcc
	s_waitcnt vmcnt(3)
	ds_write_b128 v34, v[10:13]
	s_waitcnt vmcnt(2)
	ds_write_b128 v35, v[14:17]
	;; [unrolled: 2-line block ×4, first 2 shown]
	s_waitcnt lgkmcnt(0)
	s_barrier
	v_lshlrev_b32_e32 v111, 1, v0
	v_add3_u32 v16, v2, v74, v66
	s_mov_b32 s0, 0x5040100
	ds_read_u16 v10, v5 offset:17424
	ds_read_u16 v9, v16 offset:32
	;; [unrolled: 1-line block ×5, first 2 shown]
	ds_read_u16 v30, v16
	ds_read_u16 v23, v5 offset:17952
	ds_read_u16 v31, v5 offset:1056
	;; [unrolled: 1-line block ×9, first 2 shown]
	v_add_u32_e32 v4, v2, v111
	s_waitcnt lgkmcnt(7)
	v_perm_b32 v31, v30, v31, s0
	ds_read_u16 v36, v5 offset:560
	ds_read_u16 v40, v5 offset:592
	ds_read_u16 v44, v5 offset:624
	ds_read_u16 v48, v5 offset:656
	ds_read_u16 v52, v5 offset:688
	ds_read_u16 v56, v5 offset:720
	ds_read_u16 v30, v5 offset:528
	ds_read_u16 v32, v4 offset:16896
	ds_read_u16 v33, v4
	ds_read_u16 v37, v4 offset:32
	ds_read_u16 v41, v4 offset:64
	;; [unrolled: 1-line block ×7, first 2 shown]
	v_pk_mul_f16 v1, v27, v120 op_sel_hi:[0,1]
	v_pk_mul_f16 v3, v27, v119 op_sel_hi:[0,1]
	s_waitcnt lgkmcnt(7)
	v_perm_b32 v30, v30, v33, s0
	v_cvt_f32_f16_e32 v0, v1
	v_cvt_f32_f16_sdwa v1, v1 dst_sel:DWORD dst_unused:UNUSED_PAD src0_sel:WORD_1
	v_cvt_f32_f16_e32 v2, v3
	v_cvt_f32_f16_sdwa v3, v3 dst_sel:DWORD dst_unused:UNUSED_PAD src0_sel:WORD_1
	v_mul_u32_u24_e32 v42, 0x420, v67
	v_cvt_f16_f32_e32 v7, v26
	v_mfma_f32_16x16x16f16 v[0:3], v[30:31], v[28:29], v[0:3]
	v_add3_u32 v30, 0, 32, v42
	v_add3_u32 v33, v30, v110, v66
	v_cvt_f16_f32_e32 v8, v104
	v_cvt_f16_f32_e32 v34, v75
	v_cvt_f16_f32_e32 v35, v78
	v_add_u32_e32 v31, v30, v111
	v_add3_u32 v30, v30, v74, v66
	s_nop 3
	v_cvt_f16_f32_e32 v0, v0
	v_cvt_f16_f32_e32 v1, v1
	;; [unrolled: 1-line block ×4, first 2 shown]
	ds_read_u16 v38, v16 offset:16896
	ds_read_u16 v39, v31 offset:16896
	;; [unrolled: 1-line block ×6, first 2 shown]
	s_waitcnt lgkmcnt(5)
	v_perm_b32 v33, v38, v23, s0
	v_perm_b32 v32, v10, v32, s0
	v_cvt_f32_f16_e32 v0, v0
	v_cvt_f32_f16_e32 v1, v1
	;; [unrolled: 1-line block ×4, first 2 shown]
	v_pk_mul_f16 v6, v27, v121 op_sel_hi:[0,1]
	v_pack_b32_f16 v30, v8, v7
	v_pack_b32_f16 v31, v35, v34
	v_pk_mul_f16 v10, v27, v97 op_sel_hi:[0,1]
	v_perm_b32 v7, v9, v22, s0
	v_mfma_f32_16x16x16f16 v[32:35], v[32:33], v[30:31], v[0:3]
	v_pk_mul_f16 v8, v27, v105 op_sel_hi:[0,1]
	v_pk_mul_f16 v9, v27, v103 op_sel_hi:[0,1]
	s_add_i32 s2, 0, 0x60
	ds_read_u16 v114, v5 offset:1536
	v_pk_mul_f16 v65, v27, v65 op_sel_hi:[0,1]
	s_nop 1
	v_cvt_f32_f16_e32 v0, v6
	v_cvt_f32_f16_sdwa v1, v6 dst_sel:DWORD dst_unused:UNUSED_PAD src0_sel:WORD_1
	v_perm_b32 v6, v36, v37, s0
	v_cvt_f32_f16_e32 v2, v10
	v_cvt_f32_f16_sdwa v3, v10 dst_sel:DWORD dst_unused:UNUSED_PAD src0_sel:WORD_1
	v_pk_mul_f16 v72, v27, v72 op_sel_hi:[0,1]
	s_nop 0
	v_mfma_f32_16x16x16f16 v[0:3], v[6:7], v[28:29], v[0:3]
	s_waitcnt lgkmcnt(2)
	v_perm_b32 v7, v47, v46, s0
	v_perm_b32 v6, v43, v39, s0
	s_nop 7
	v_cvt_f16_f32_e32 v0, v0
	v_cvt_f16_f32_e32 v1, v1
	;; [unrolled: 1-line block ×4, first 2 shown]
	v_cvt_f32_f16_e32 v0, v0
	v_cvt_f32_f16_e32 v1, v1
	;; [unrolled: 1-line block ×4, first 2 shown]
	s_nop 1
	v_mfma_f32_16x16x16f16 v[36:39], v[6:7], v[30:31], v[0:3]
	v_perm_b32 v7, v11, v19, s0
	v_perm_b32 v6, v40, v41, s0
	s_nop 4
	v_cvt_f32_f16_e32 v0, v8
	v_cvt_f32_f16_sdwa v1, v8 dst_sel:DWORD dst_unused:UNUSED_PAD src0_sel:WORD_1
	v_cvt_f32_f16_e32 v2, v9
	v_cvt_f32_f16_sdwa v3, v9 dst_sel:DWORD dst_unused:UNUSED_PAD src0_sel:WORD_1
	v_mov_b32_e32 v9, s2
	v_mad_u32_u24 v9, v67, s1, v9
	v_mfma_f32_16x16x16f16 v[0:3], v[6:7], v[28:29], v[0:3]
	v_add3_u32 v6, 0, 64, v42
	v_add_u32_e32 v7, v6, v111
	v_add3_u32 v8, v6, v110, v66
	v_add3_u32 v6, v6, v74, v66
	v_add_u32_e32 v10, v9, v111
	v_add3_u32 v11, v9, v110, v66
	v_add3_u32 v9, v9, v74, v66
	s_nop 3
	v_cvt_f16_f32_e32 v0, v0
	v_cvt_f16_f32_e32 v1, v1
	;; [unrolled: 1-line block ×4, first 2 shown]
	ds_read_u16 v19, v7 offset:16896
	ds_read_u16 v22, v8 offset:17424
	ds_read_u16 v7, v8 offset:17952
	ds_read_u16 v6, v6 offset:16896
	ds_read_u16 v8, v10 offset:16896
	ds_read_u16 v10, v11 offset:17424
	ds_read_u16 v11, v11 offset:17952
	ds_read_u16 v9, v9 offset:16896
	s_waitcnt lgkmcnt(4)
	v_perm_b32 v7, v6, v7, s0
	v_perm_b32 v6, v22, v19, s0
	v_cvt_f32_f16_e32 v0, v0
	v_cvt_f32_f16_e32 v1, v1
	;; [unrolled: 1-line block ×4, first 2 shown]
	v_pk_mul_f16 v19, v27, v101 op_sel_hi:[0,1]
	v_pk_mul_f16 v22, v27, v98 op_sel_hi:[0,1]
	v_mfma_f32_16x16x16f16 v[40:43], v[6:7], v[30:31], v[0:3]
	v_perm_b32 v7, v12, v17, s0
	v_perm_b32 v6, v44, v45, s0
	s_add_i32 s2, 0, 0x80
	s_nop 3
	v_cvt_f32_f16_e32 v0, v19
	v_cvt_f32_f16_sdwa v1, v19 dst_sel:DWORD dst_unused:UNUSED_PAD src0_sel:WORD_1
	v_cvt_f32_f16_e32 v2, v22
	v_cvt_f32_f16_sdwa v3, v22 dst_sel:DWORD dst_unused:UNUSED_PAD src0_sel:WORD_1
	s_nop 1
	v_mfma_f32_16x16x16f16 v[0:3], v[6:7], v[28:29], v[0:3]
	s_waitcnt lgkmcnt(0)
	v_perm_b32 v7, v9, v11, s0
	v_perm_b32 v6, v10, v8, s0
	v_pk_mul_f16 v8, v27, v108 op_sel_hi:[0,1]
	v_pk_mul_f16 v9, v27, v106 op_sel_hi:[0,1]
	s_nop 5
	v_cvt_f16_f32_e32 v0, v0
	v_cvt_f16_f32_e32 v1, v1
	;; [unrolled: 1-line block ×4, first 2 shown]
	v_cvt_f32_f16_e32 v0, v0
	v_cvt_f32_f16_e32 v1, v1
	;; [unrolled: 1-line block ×4, first 2 shown]
	s_nop 1
	v_mfma_f32_16x16x16f16 v[44:47], v[6:7], v[30:31], v[0:3]
	v_perm_b32 v7, v13, v15, s0
	v_perm_b32 v6, v48, v49, s0
	s_nop 4
	v_cvt_f32_f16_e32 v0, v8
	v_cvt_f32_f16_sdwa v1, v8 dst_sel:DWORD dst_unused:UNUSED_PAD src0_sel:WORD_1
	v_cvt_f32_f16_e32 v2, v9
	v_cvt_f32_f16_sdwa v3, v9 dst_sel:DWORD dst_unused:UNUSED_PAD src0_sel:WORD_1
	s_nop 1
	v_mfma_f32_16x16x16f16 v[0:3], v[6:7], v[28:29], v[0:3]
	v_mov_b32_e32 v6, s2
	s_add_i32 s2, 0, 0xa0
	v_mov_b32_e32 v9, s2
	v_mad_u32_u24 v6, v67, s1, v6
	v_mad_u32_u24 v9, v67, s1, v9
	v_add_u32_e32 v7, v6, v111
	v_add3_u32 v8, v6, v110, v66
	s_nop 3
	v_cvt_f16_f32_e32 v0, v0
	v_cvt_f16_f32_e32 v1, v1
	;; [unrolled: 1-line block ×4, first 2 shown]
	v_add3_u32 v6, v6, v74, v66
	v_add_u32_e32 v10, v9, v111
	v_add3_u32 v11, v9, v110, v66
	v_add3_u32 v9, v9, v74, v66
	ds_read_u16 v12, v7 offset:16896
	ds_read_u16 v13, v8 offset:17424
	;; [unrolled: 1-line block ×8, first 2 shown]
	s_waitcnt lgkmcnt(4)
	v_perm_b32 v7, v6, v7, s0
	v_perm_b32 v6, v13, v12, s0
	v_cvt_f32_f16_e32 v0, v0
	v_cvt_f32_f16_e32 v1, v1
	;; [unrolled: 1-line block ×4, first 2 shown]
	v_pk_mul_f16 v12, v27, v102 op_sel_hi:[0,1]
	v_pk_mul_f16 v13, v27, v99 op_sel_hi:[0,1]
	v_mfma_f32_16x16x16f16 v[48:51], v[6:7], v[30:31], v[0:3]
	v_perm_b32 v6, v52, v53, s0
	s_add_i32 s2, 0, 0xc0
	s_nop 4
	v_cvt_f32_f16_e32 v0, v12
	v_cvt_f32_f16_sdwa v1, v12 dst_sel:DWORD dst_unused:UNUSED_PAD src0_sel:WORD_1
	ds_read_u16 v3, v16 offset:160
	ds_read_u16 v12, v16 offset:192
	;; [unrolled: 1-line block ×8, first 2 shown]
	s_waitcnt lgkmcnt(7)
	v_perm_b32 v7, v3, v14, s0
	v_cvt_f32_f16_e32 v2, v13
	v_cvt_f32_f16_sdwa v3, v13 dst_sel:DWORD dst_unused:UNUSED_PAD src0_sel:WORD_1
	s_nop 1
	v_mfma_f32_16x16x16f16 v[0:3], v[6:7], v[28:29], v[0:3]
	v_perm_b32 v7, v9, v11, s0
	v_perm_b32 v6, v10, v8, s0
	v_pk_mul_f16 v8, v27, v109 op_sel_hi:[0,1]
	v_pk_mul_f16 v9, v27, v107 op_sel_hi:[0,1]
	s_nop 6
	v_cvt_f16_f32_e32 v0, v0
	v_cvt_f16_f32_e32 v1, v1
	;; [unrolled: 1-line block ×4, first 2 shown]
	v_cvt_f32_f16_e32 v0, v0
	v_cvt_f32_f16_e32 v1, v1
	;; [unrolled: 1-line block ×4, first 2 shown]
	s_nop 1
	v_mfma_f32_16x16x16f16 v[52:55], v[6:7], v[30:31], v[0:3]
	s_waitcnt lgkmcnt(6)
	v_perm_b32 v7, v12, v18, s0
	v_perm_b32 v6, v56, v57, s0
	s_nop 3
	v_cvt_f32_f16_e32 v0, v8
	v_cvt_f32_f16_sdwa v1, v8 dst_sel:DWORD dst_unused:UNUSED_PAD src0_sel:WORD_1
	v_cvt_f32_f16_e32 v2, v9
	v_cvt_f32_f16_sdwa v3, v9 dst_sel:DWORD dst_unused:UNUSED_PAD src0_sel:WORD_1
	s_nop 1
	v_mfma_f32_16x16x16f16 v[0:3], v[6:7], v[28:29], v[0:3]
	v_mov_b32_e32 v6, s2
	s_add_i32 s2, 0, 0xe0
	v_mov_b32_e32 v9, s2
	v_mad_u32_u24 v6, v67, s1, v6
	v_mad_u32_u24 v9, v67, s1, v9
	v_add_u32_e32 v7, v6, v111
	v_add3_u32 v8, v6, v110, v66
	s_nop 3
	v_cvt_f16_f32_e32 v0, v0
	v_cvt_f16_f32_e32 v1, v1
	;; [unrolled: 1-line block ×4, first 2 shown]
	v_add3_u32 v6, v6, v74, v66
	v_add_u32_e32 v10, v9, v111
	v_add3_u32 v11, v9, v110, v66
	v_add3_u32 v9, v9, v74, v66
	ds_read_u16 v12, v7 offset:16896
	ds_read_u16 v13, v8 offset:17424
	ds_read_u16 v7, v8 offset:17952
	ds_read_u16 v6, v6 offset:16896
	ds_read_u16 v8, v10 offset:16896
	ds_read_u16 v10, v11 offset:17424
	ds_read_u16 v11, v11 offset:17952
	ds_read_u16 v9, v9 offset:16896
	s_waitcnt lgkmcnt(4)
	v_perm_b32 v7, v6, v7, s0
	v_perm_b32 v6, v13, v12, s0
	v_cvt_f32_f16_e32 v0, v0
	v_cvt_f32_f16_e32 v1, v1
	;; [unrolled: 1-line block ×4, first 2 shown]
	v_pk_mul_f16 v12, v27, v96 op_sel_hi:[0,1]
	v_pk_mul_f16 v13, v27, v95 op_sel_hi:[0,1]
	v_mfma_f32_16x16x16f16 v[56:59], v[6:7], v[30:31], v[0:3]
	s_add_i32 s2, 0, 0x100
	s_nop 5
	v_cvt_f32_f16_e32 v0, v12
	v_cvt_f32_f16_sdwa v1, v12 dst_sel:DWORD dst_unused:UNUSED_PAD src0_sel:WORD_1
	ds_read_u16 v3, v5 offset:1280
	ds_read_u16 v12, v5 offset:1312
	;; [unrolled: 1-line block ×8, first 2 shown]
	s_waitcnt lgkmcnt(7)
	v_perm_b32 v7, v15, v3, s0
	ds_read_u16 v3, v5 offset:752
	ds_read_u16 v15, v5 offset:784
	;; [unrolled: 1-line block ×8, first 2 shown]
	s_waitcnt lgkmcnt(7)
	v_perm_b32 v6, v3, v60, s0
	v_cvt_f32_f16_e32 v2, v13
	v_cvt_f32_f16_sdwa v3, v13 dst_sel:DWORD dst_unused:UNUSED_PAD src0_sel:WORD_1
	v_pk_mul_f16 v5, v27, v94 op_sel_hi:[0,1]
	s_nop 0
	v_mfma_f32_16x16x16f16 v[0:3], v[6:7], v[28:29], v[0:3]
	v_perm_b32 v7, v9, v11, s0
	v_perm_b32 v6, v10, v8, s0
	v_pk_mul_f16 v8, v27, v93 op_sel_hi:[0,1]
	s_nop 7
	v_cvt_f16_f32_e32 v0, v0
	v_cvt_f16_f32_e32 v1, v1
	;; [unrolled: 1-line block ×4, first 2 shown]
	v_cvt_f32_f16_e32 v0, v0
	v_cvt_f32_f16_e32 v1, v1
	;; [unrolled: 1-line block ×4, first 2 shown]
	s_nop 1
	v_mfma_f32_16x16x16f16 v[60:63], v[6:7], v[30:31], v[0:3]
	s_nop 6
	v_cvt_f32_f16_e32 v0, v5
	v_cvt_f32_f16_sdwa v1, v5 dst_sel:DWORD dst_unused:UNUSED_PAD src0_sel:WORD_1
	v_perm_b32 v5, v17, v12, s0
	ds_read_u16 v3, v4 offset:256
	ds_read_u16 v7, v4 offset:288
	;; [unrolled: 1-line block ×8, first 2 shown]
	s_waitcnt lgkmcnt(7)
	v_perm_b32 v4, v15, v3, s0
	v_cvt_f32_f16_e32 v2, v8
	v_cvt_f32_f16_sdwa v3, v8 dst_sel:DWORD dst_unused:UNUSED_PAD src0_sel:WORD_1
	s_nop 1
	v_mfma_f32_16x16x16f16 v[0:3], v[4:5], v[28:29], v[0:3]
	v_mov_b32_e32 v4, s2
	s_add_i32 s2, 0, 0x120
	v_mov_b32_e32 v8, s2
	v_mad_u32_u24 v4, v67, s1, v4
	v_mad_u32_u24 v8, v67, s1, v8
	v_add_u32_e32 v5, v4, v111
	v_add3_u32 v6, v4, v110, v66
	s_nop 3
	v_cvt_f16_f32_e32 v0, v0
	v_cvt_f16_f32_e32 v1, v1
	v_cvt_f16_f32_e32 v2, v2
	v_cvt_f16_f32_e32 v3, v3
	v_add3_u32 v4, v4, v74, v66
	v_add3_u32 v10, v8, v110, v66
	v_add_u32_e32 v9, v8, v111
	v_add3_u32 v8, v8, v74, v66
	ds_read_u16 v12, v5 offset:16896
	ds_read_u16 v13, v6 offset:17424
	;; [unrolled: 1-line block ×8, first 2 shown]
	s_waitcnt lgkmcnt(4)
	v_perm_b32 v5, v4, v5, s0
	v_perm_b32 v4, v13, v12, s0
	v_cvt_f32_f16_e32 v0, v0
	v_cvt_f32_f16_e32 v1, v1
	;; [unrolled: 1-line block ×4, first 2 shown]
	v_pk_mul_f16 v6, v27, v85 op_sel_hi:[0,1]
	v_pk_mul_f16 v12, v27, v84 op_sel_hi:[0,1]
	v_perm_b32 v9, v19, v14, s0
	v_perm_b32 v8, v101, v7, s0
	v_mfma_f32_16x16x16f16 v[0:3], v[4:5], v[30:31], v[0:3]
	v_cvt_f32_f16_e32 v4, v6
	v_cvt_f32_f16_sdwa v5, v6 dst_sel:DWORD dst_unused:UNUSED_PAD src0_sel:WORD_1
	v_cvt_f32_f16_e32 v6, v12
	v_cvt_f32_f16_sdwa v7, v12 dst_sel:DWORD dst_unused:UNUSED_PAD src0_sel:WORD_1
	v_pk_mul_f16 v14, v27, v90 op_sel_hi:[0,1]
	v_perm_b32 v13, v22, v18, s0
	v_perm_b32 v12, v102, v11, s0
	v_mfma_f32_16x16x16f16 v[4:7], v[8:9], v[28:29], v[4:7]
	s_waitcnt lgkmcnt(0)
	v_perm_b32 v9, v116, v10, s0
	v_perm_b32 v8, v115, v15, s0
	v_pk_mul_f16 v10, v27, v92 op_sel_hi:[0,1]
	v_cvt_f32_f16_sdwa v11, v14 dst_sel:DWORD dst_unused:UNUSED_PAD src0_sel:WORD_1
	s_add_i32 s2, 0, 0x140
	s_nop 4
	v_cvt_f16_f32_e32 v4, v4
	v_cvt_f16_f32_e32 v5, v5
	;; [unrolled: 1-line block ×4, first 2 shown]
	v_cvt_f32_f16_e32 v4, v4
	v_cvt_f32_f16_e32 v5, v5
	;; [unrolled: 1-line block ×4, first 2 shown]
	s_nop 1
	v_mfma_f32_16x16x16f16 v[4:7], v[8:9], v[30:31], v[4:7]
	v_cvt_f32_f16_e32 v8, v10
	v_cvt_f32_f16_sdwa v9, v10 dst_sel:DWORD dst_unused:UNUSED_PAD src0_sel:WORD_1
	v_cvt_f32_f16_e32 v10, v14
	s_nop 1
	v_mfma_f32_16x16x16f16 v[8:11], v[12:13], v[28:29], v[8:11]
	v_mov_b32_e32 v12, s2
	s_add_i32 s2, 0, 0x160
	v_mad_u32_u24 v12, v67, s1, v12
	v_mov_b32_e32 v15, s2
	v_add_u32_e32 v13, v12, v111
	v_add3_u32 v14, v12, v110, v66
	v_add3_u32 v12, v12, v74, v66
	s_nop 3
	v_cvt_f16_f32_e32 v8, v8
	v_cvt_f16_f32_e32 v9, v9
	;; [unrolled: 1-line block ×4, first 2 shown]
	v_mad_u32_u24 v15, v67, s1, v15
	v_add_u32_e32 v18, v15, v111
	v_add3_u32 v19, v15, v110, v66
	v_add3_u32 v15, v15, v74, v66
	ds_read_u16 v22, v13 offset:16896
	ds_read_u16 v84, v14 offset:17424
	;; [unrolled: 1-line block ×8, first 2 shown]
	s_waitcnt lgkmcnt(4)
	v_perm_b32 v13, v12, v13, s0
	v_perm_b32 v12, v84, v22, s0
	v_cvt_f32_f16_e32 v8, v8
	v_cvt_f32_f16_e32 v9, v9
	;; [unrolled: 1-line block ×4, first 2 shown]
	v_pk_mul_f16 v14, v27, v83 op_sel_hi:[0,1]
	v_pk_mul_f16 v15, v27, v82 op_sel_hi:[0,1]
	v_perm_b32 v19, v23, v95, s0
	v_perm_b32 v18, v103, v17, s0
	v_mfma_f32_16x16x16f16 v[8:11], v[12:13], v[30:31], v[8:11]
	v_cvt_f32_f16_e32 v12, v14
	v_cvt_f32_f16_sdwa v13, v14 dst_sel:DWORD dst_unused:UNUSED_PAD src0_sel:WORD_1
	v_cvt_f32_f16_e32 v14, v15
	v_cvt_f32_f16_sdwa v15, v15 dst_sel:DWORD dst_unused:UNUSED_PAD src0_sel:WORD_1
	v_pk_mul_f16 v17, v27, v87 op_sel_hi:[0,1]
	v_pk_mul_f16 v22, v27, v86 op_sel_hi:[0,1]
	v_cvt_f32_f16_e32 v82, v17
	v_mfma_f32_16x16x16f16 v[12:15], v[18:19], v[28:29], v[12:15]
	s_waitcnt lgkmcnt(0)
	v_perm_b32 v19, v101, v92, s0
	v_perm_b32 v18, v90, v85, s0
	v_cvt_f32_f16_sdwa v83, v17 dst_sel:DWORD dst_unused:UNUSED_PAD src0_sel:WORD_1
	v_cvt_f32_f16_e32 v84, v22
	v_cvt_f32_f16_sdwa v85, v22 dst_sel:DWORD dst_unused:UNUSED_PAD src0_sel:WORD_1
	s_add_i32 s2, 0, 0x180
	v_mov_b32_e32 v23, s2
	s_nop 2
	v_cvt_f16_f32_e32 v12, v12
	v_cvt_f16_f32_e32 v13, v13
	;; [unrolled: 1-line block ×4, first 2 shown]
	v_cvt_f32_f16_e32 v12, v12
	v_cvt_f32_f16_e32 v13, v13
	;; [unrolled: 1-line block ×4, first 2 shown]
	s_add_i32 s2, 0, 0x1a0
	v_mad_u32_u24 v23, v67, s1, v23
	v_mfma_f32_16x16x16f16 v[12:15], v[18:19], v[30:31], v[12:15]
	v_perm_b32 v19, v97, v96, s0
	v_perm_b32 v18, v105, v93, s0
	v_add_u32_e32 v86, v23, v111
	v_add3_u32 v87, v23, v110, v66
	v_add3_u32 v23, v23, v74, v66
	v_mfma_f32_16x16x16f16 v[82:85], v[18:19], v[28:29], v[82:85]
	s_nop 7
	s_nop 2
	v_cvt_f16_f32_e32 v17, v82
	v_cvt_f16_f32_e32 v18, v83
	;; [unrolled: 1-line block ×4, first 2 shown]
	v_cvt_f32_f16_e32 v82, v17
	v_mov_b32_e32 v17, s2
	v_mad_u32_u24 v17, v67, s1, v17
	v_cvt_f32_f16_e32 v83, v18
	v_cvt_f32_f16_e32 v84, v19
	;; [unrolled: 1-line block ×3, first 2 shown]
	v_add_u32_e32 v18, v17, v111
	v_add3_u32 v19, v17, v110, v66
	v_add3_u32 v17, v17, v74, v66
	ds_read_u16 v22, v86 offset:16896
	ds_read_u16 v86, v87 offset:17424
	;; [unrolled: 1-line block ×8, first 2 shown]
	s_waitcnt lgkmcnt(4)
	v_perm_b32 v19, v23, v87, s0
	v_perm_b32 v18, v86, v22, s0
	ds_read_u16 v22, v16 offset:416
	ds_read_u16 v86, v16 offset:448
	v_pk_mul_f16 v23, v27, v89 op_sel_hi:[0,1]
	v_pk_mul_f16 v87, v27, v88 op_sel_hi:[0,1]
	v_mfma_f32_16x16x16f16 v[16:19], v[18:19], v[30:31], v[82:85]
	v_add_f32_e32 v88, v21, v20
	v_add_f32_e32 v25, v25, v88
	;; [unrolled: 1-line block ×3, first 2 shown]
	s_add_i32 s2, 0, 0x1c0
	s_nop 2
	v_cvt_f32_f16_e32 v82, v23
	v_cvt_f32_f16_sdwa v83, v23 dst_sel:DWORD dst_unused:UNUSED_PAD src0_sel:WORD_1
	s_waitcnt lgkmcnt(1)
	v_perm_b32 v23, v22, v98, s0
	v_perm_b32 v22, v106, v94, s0
	v_cvt_f32_f16_e32 v84, v87
	v_cvt_f32_f16_sdwa v85, v87 dst_sel:DWORD dst_unused:UNUSED_PAD src0_sel:WORD_1
	v_pk_mul_f16 v87, v27, v91 op_sel_hi:[0,1]
	s_nop 0
	v_mfma_f32_16x16x16f16 v[82:85], v[22:23], v[28:29], v[82:85]
	s_nop 7
	s_nop 2
	v_cvt_f16_f32_e32 v22, v82
	v_cvt_f16_f32_e32 v23, v83
	;; [unrolled: 1-line block ×4, first 2 shown]
	v_cvt_f32_f16_e32 v82, v22
	v_cvt_f32_f16_e32 v83, v23
	v_perm_b32 v23, v95, v93, s0
	v_perm_b32 v22, v92, v90, s0
	v_cvt_f32_f16_e32 v84, v84
	v_cvt_f32_f16_e32 v85, v85
	s_nop 1
	v_mfma_f32_16x16x16f16 v[20:23], v[22:23], v[30:31], v[82:85]
	s_nop 6
	v_cvt_f32_f16_e32 v82, v87
	v_cvt_f32_f16_sdwa v83, v87 dst_sel:DWORD dst_unused:UNUSED_PAD src0_sel:WORD_1
	s_waitcnt lgkmcnt(0)
	v_perm_b32 v87, v86, v99, s0
	v_perm_b32 v86, v107, v108, s0
	v_cvt_f32_f16_e32 v84, v65
	v_cvt_f32_f16_sdwa v85, v65 dst_sel:DWORD dst_unused:UNUSED_PAD src0_sel:WORD_1
	v_add_f32_e32 v65, v104, v24
	v_add_f32_e32 v65, v26, v65
	v_mfma_f32_16x16x16f16 v[82:85], v[86:87], v[28:29], v[82:85]
	v_add_f32_e32 v65, v78, v65
	v_add_f32_e32 v65, v75, v65
	v_fmac_f32_e32 v65, v80, v76
	s_nop 7
	v_cvt_f16_f32_e32 v24, v82
	v_cvt_f16_f32_e32 v25, v83
	v_mov_b32_e32 v82, s2
	v_mad_u32_u24 v82, v67, s1, v82
	s_add_i32 s2, 0, 0x1e0
	v_cvt_f16_f32_e32 v84, v84
	v_cvt_f16_f32_e32 v85, v85
	v_add_u32_e32 v86, v82, v111
	v_add3_u32 v87, v82, v110, v66
	v_add3_u32 v88, v82, v74, v66
	v_cvt_f32_f16_e32 v82, v24
	v_mov_b32_e32 v24, s2
	v_mad_u32_u24 v24, v67, s1, v24
	v_cvt_f32_f16_e32 v83, v25
	v_add_u32_e32 v25, v24, v111
	v_add3_u32 v67, v24, v110, v66
	v_add3_u32 v24, v24, v74, v66
	ds_read_u16 v66, v86 offset:16896
	ds_read_u16 v74, v87 offset:17424
	;; [unrolled: 1-line block ×8, first 2 shown]
	s_waitcnt lgkmcnt(4)
	v_perm_b32 v25, v87, v86, s0
	v_perm_b32 v24, v74, v66, s0
	v_cvt_f32_f16_e32 v84, v84
	v_cvt_f32_f16_e32 v85, v85
	v_pk_mul_f16 v66, v27, v73 op_sel_hi:[0,1]
	v_perm_b32 v67, v113, v114, s0
	v_mfma_f32_16x16x16f16 v[24:27], v[24:25], v[30:31], v[82:85]
	s_waitcnt lgkmcnt(0)
	s_barrier
	s_nop 4
	v_cvt_f32_f16_e32 v82, v66
	v_cvt_f32_f16_sdwa v83, v66 dst_sel:DWORD dst_unused:UNUSED_PAD src0_sel:WORD_1
	v_perm_b32 v66, v112, v109, s0
	v_cvt_f32_f16_e32 v84, v72
	v_cvt_f32_f16_sdwa v85, v72 dst_sel:DWORD dst_unused:UNUSED_PAD src0_sel:WORD_1
	s_nop 1
	v_mfma_f32_16x16x16f16 v[72:75], v[66:67], v[28:29], v[82:85]
	s_nop 7
	s_nop 2
	v_cvt_f16_f32_e32 v28, v72
	v_cvt_f16_f32_e32 v29, v73
	;; [unrolled: 1-line block ×4, first 2 shown]
	v_cvt_f32_f16_e32 v72, v28
	v_cvt_f32_f16_e32 v73, v29
	v_perm_b32 v29, v91, v90, s0
	v_perm_b32 v28, v89, v88, s0
	v_cvt_f32_f16_e32 v74, v66
	v_cvt_f32_f16_e32 v75, v67
	ds_bpermute_b32 v66, v100, v65
	v_cmp_gt_u32_e64 s[0:1], 16, v68
	v_mfma_f32_16x16x16f16 v[28:31], v[28:29], v[30:31], v[72:75]
	s_waitcnt lgkmcnt(0)
	v_add_f32_e32 v65, v65, v66
	ds_bpermute_b32 v66, v81, v65
	s_and_saveexec_b64 s[2:3], s[0:1]
	s_cbranch_execz .LBB30_668
; %bb.667:
	s_waitcnt lgkmcnt(0)
	v_add_f32_e32 v65, v65, v66
	v_or_b32_e32 v66, v71, v68
	s_movk_i32 s4, 0x110
	v_mad_i32_i24 v66, v66, s4, 0
	ds_write2_b32 v66, v64, v65 offset0:64 offset1:65
.LBB30_668:
	s_or_b64 exec, exec, s[2:3]
	v_cmp_eq_u32_e32 vcc, 0, v246
	v_cmp_eq_u32_e64 s[2:3], 1, v246
	s_waitcnt lgkmcnt(0)
	s_barrier
	s_and_saveexec_b64 s[4:5], s[2:3]
	s_xor_b64 s[2:3], exec, s[4:5]
	s_cbranch_execz .LBB30_670
; %bb.669:
	s_barrier
	s_waitcnt lgkmcnt(0)
                                        ; implicit-def: $vgpr245
                                        ; implicit-def: $vgpr81
.LBB30_670:
	s_andn2_saveexec_b64 s[4:5], s[2:3]
	s_cbranch_execz .LBB30_676
; %bb.671:
	v_and_b32_e32 v64, 31, v68
	v_add_u32_e32 v65, v71, v64
	s_movk_i32 s2, 0x110
	v_mad_i32_i24 v64, v65, s2, 0
	ds_read_b64 v[72:73], v64 offset:256
	s_mov_b32 s2, 0x3fb8aa3b
	s_mov_b32 s6, 0x42b17218
	s_waitcnt lgkmcnt(0)
	s_barrier
	ds_bpermute_b32 v64, v81, v72
	v_max_f32_e32 v66, v72, v72
	s_waitcnt lgkmcnt(0)
	v_max_f32_e32 v64, v64, v64
	v_max_f32_e32 v64, v66, v64
	v_sub_f32_e32 v66, v72, v64
	v_mul_f32_e32 v67, 0x3fb8aa3b, v66
	v_fma_f32 v72, v66, s2, -v67
	v_rndne_f32_e32 v74, v67
	v_fmac_f32_e32 v72, 0x32a5705f, v66
	v_sub_f32_e32 v67, v67, v74
	v_add_f32_e32 v67, v67, v72
	v_cvt_i32_f32_e32 v74, v74
	v_exp_f32_e32 v67, v67
	s_mov_b32 s2, 0xc2ce8ed0
	v_cmp_ngt_f32_e64 s[2:3], s2, v66
	v_mov_b32_e32 v72, 0x7f800000
	v_ldexp_f32 v67, v67, v74
	v_cndmask_b32_e64 v67, 0, v67, s[2:3]
	v_cmp_nlt_f32_e64 s[2:3], s6, v66
	v_cndmask_b32_e64 v66, v72, v67, s[2:3]
	v_mul_f32_e32 v67, v73, v66
	ds_bpermute_b32 v67, v81, v67
	v_cmp_gt_u32_e64 s[2:3], 32, v68
	s_waitcnt lgkmcnt(0)
	v_fmac_f32_e32 v67, v73, v66
	s_and_saveexec_b64 s[8:9], s[2:3]
	s_cbranch_execz .LBB30_673
; %bb.672:
	v_mul_i32_i24_e32 v65, 0x110, v65
	v_add_u32_e32 v65, 0, v65
	ds_write_b64 v65, v[66:67] offset:256
.LBB30_673:
	s_or_b64 exec, exec, s[8:9]
	s_and_saveexec_b64 s[2:3], s[0:1]
	s_cbranch_execz .LBB30_675
; %bb.674:
	s_add_i32 s0, s34, s35
	s_lshl_b32 s0, s0, 6
	s_mov_b32 s1, 0
	s_lshl_b64 s[0:1], s[0:1], 3
	s_add_u32 s0, s26, s0
	v_or_b32_e32 v65, v245, v68
	s_addc_u32 s1, s27, s1
	v_lshlrev_b32_e32 v66, 3, v65
	v_mov_b32_e32 v65, v67
	global_store_dwordx2 v66, v[64:65], s[0:1]
.LBB30_675:
	s_or_b64 exec, exec, s[2:3]
.LBB30_676:
	s_or_b64 exec, exec, s[4:5]
	v_cvt_f16_f32_e32 v32, v32
	v_cvt_f16_f32_e32 v33, v33
	v_cvt_f16_f32_e32 v34, v34
	v_cvt_f16_f32_e32 v35, v35
	v_cvt_f16_f32_e32 v36, v36
	v_cvt_f16_f32_e32 v38, v38
	v_cvt_f16_f32_e32 v39, v39
	v_cvt_f16_f32_e32 v37, v37
	v_pack_b32_f16 v34, v34, v35
	v_pack_b32_f16 v33, v32, v33
	;; [unrolled: 1-line block ×4, first 2 shown]
	v_cvt_f16_f32_e32 v32, v40
	v_cvt_f16_f32_e32 v37, v41
	;; [unrolled: 1-line block ×8, first 2 shown]
	v_pack_b32_f16 v38, v38, v39
	v_pack_b32_f16 v37, v32, v37
	;; [unrolled: 1-line block ×4, first 2 shown]
	v_cvt_f16_f32_e32 v32, v48
	v_cvt_f16_f32_e32 v41, v49
	;; [unrolled: 1-line block ×8, first 2 shown]
	v_pack_b32_f16 v42, v42, v43
	v_pack_b32_f16 v41, v32, v41
	;; [unrolled: 1-line block ×3, first 2 shown]
	v_cvt_f16_f32_e32 v32, v56
	v_cvt_f16_f32_e32 v45, v57
	v_pack_b32_f16 v44, v44, v47
	v_cvt_f16_f32_e32 v46, v58
	v_cvt_f16_f32_e32 v47, v59
	;; [unrolled: 1-line block ×6, first 2 shown]
	v_pack_b32_f16 v45, v32, v45
	v_or_b32_e32 v32, v71, v69
	s_movk_i32 s0, 0x44
	s_lshl_b32 s2, s35, 13
	s_mov_b32 s3, 0
	v_mad_i32_i24 v32, v32, s0, v70
	s_lshl_b64 s[0:1], s[2:3], 3
	s_add_u32 s4, s26, s0
	s_addc_u32 s5, s27, s1
	v_lshl_add_u32 v32, v32, 2, 0
	v_pack_b32_f16 v46, v46, v47
	v_pack_b32_f16 v47, v49, v50
	v_pack_b32_f16 v48, v48, v51
	ds_write2_b32 v32, v33, v34 offset1:1
	ds_write2_b32 v32, v36, v35 offset0:8 offset1:9
	ds_write2_b32 v32, v37, v38 offset0:16 offset1:17
	;; [unrolled: 1-line block ×7, first 2 shown]
	s_waitcnt lgkmcnt(0)
	s_barrier
	s_and_saveexec_b64 s[0:1], vcc
	s_cbranch_execz .LBB30_678
; %bb.677:
	v_bfe_u32 v33, v79, 1, 4
	s_movk_i32 s7, 0x3e0
	s_movk_i32 s6, 0x110
	v_and_or_b32 v34, v79, s7, v33
	v_mad_u32_u24 v36, v34, s6, 0
	v_lshlrev_b32_e32 v42, 2, v68
	v_add_u32_e32 v34, v36, v42
	ds_read2st64_b32 v[34:35], v34 offset1:17
	s_load_dword s2, s[54:55], 0x10
	ds_read2st64_b32 v[36:37], v36 offset0:1 offset1:18
	s_movk_i32 s7, 0x7e0
	v_lshlrev_b32_e32 v40, 6, v79
	s_waitcnt lgkmcnt(0)
	v_cvt_f32_f16_e32 v38, v34
	v_cvt_f32_f16_sdwa v39, v34 dst_sel:DWORD dst_unused:UNUSED_PAD src0_sel:WORD_1
	v_cvt_f32_f16_e32 v34, v35
	v_cvt_f32_f16_sdwa v35, v35 dst_sel:DWORD dst_unused:UNUSED_PAD src0_sel:WORD_1
	s_lshr_b32 s2, s2, 16
	s_cmp_lg_u32 s2, 0
	v_pk_fma_f32 v[38:39], v[36:37], v[38:39], 0 op_sel_hi:[0,1,0]
	v_mov_b32_e32 v36, v37
	s_cselect_b64 s[8:9], -1, 0
	v_pk_fma_f32 v[34:35], v[36:37], v[34:35], v[38:39] op_sel_hi:[0,1,1]
	v_add_u32_e32 v38, 4, v77
	s_cmp_lg_u64 s[8:9], 0
	v_lshlrev_b32_e32 v36, 1, v38
	v_and_b32_e32 v37, 15, v38
	s_addc_u32 s2, s34, 0
	v_and_or_b32 v36, v36, s7, v37
	s_lshl_b32 s2, s2, 7
	v_mad_u32_u24 v39, v36, s6, 0
	s_lshl_b64 s[2:3], s[2:3], 3
	v_add_u32_e32 v36, v39, v42
	s_add_u32 s2, s4, s2
	ds_read2st64_b32 v[36:37], v36 offset1:17
	s_addc_u32 s3, s5, s3
	v_add_lshl_u32 v40, v40, v68, 3
	v_add_u32_e32 v44, 8, v77
	global_store_dwordx2 v40, v[34:35], s[2:3]
	v_lshlrev_b32_e32 v40, 1, v44
	v_and_b32_e32 v41, 15, v44
	v_and_or_b32 v40, v40, s7, v41
	v_lshlrev_b32_e32 v38, 7, v38
	ds_read2st64_b32 v[34:35], v39 offset0:1 offset1:18
	v_mad_u32_u24 v45, v40, s6, 0
	v_add_lshl_u32 v43, v38, v68, 3
	s_waitcnt lgkmcnt(1)
	v_cvt_f32_f16_e32 v38, v36
	v_cvt_f32_f16_sdwa v39, v36 dst_sel:DWORD dst_unused:UNUSED_PAD src0_sel:WORD_1
	v_add_u32_e32 v40, v45, v42
	v_cvt_f32_f16_e32 v36, v37
	v_cvt_f32_f16_sdwa v37, v37 dst_sel:DWORD dst_unused:UNUSED_PAD src0_sel:WORD_1
	ds_read2st64_b32 v[40:41], v40 offset1:17
	s_waitcnt lgkmcnt(1)
	v_pk_fma_f32 v[38:39], v[34:35], v[38:39], 0 op_sel_hi:[0,1,0]
	v_mov_b32_e32 v34, v35
	v_pk_fma_f32 v[34:35], v[34:35], v[36:37], v[38:39] op_sel_hi:[0,1,1]
	ds_read2st64_b32 v[36:37], v45 offset0:1 offset1:18
	s_waitcnt lgkmcnt(1)
	v_cvt_f32_f16_e32 v38, v40
	v_cvt_f32_f16_sdwa v39, v40 dst_sel:DWORD dst_unused:UNUSED_PAD src0_sel:WORD_1
	global_store_dwordx2 v43, v[34:35], s[2:3]
	v_lshlrev_b32_e32 v34, 7, v44
	v_add_lshl_u32 v43, v34, v68, 3
	s_waitcnt lgkmcnt(0)
	v_pk_fma_f32 v[34:35], v[36:37], v[38:39], 0 op_sel_hi:[0,1,0]
	v_mov_b32_e32 v36, v37
	v_add_u32_e32 v37, 12, v77
	v_cvt_f32_f16_e32 v38, v41
	v_cvt_f32_f16_sdwa v39, v41 dst_sel:DWORD dst_unused:UNUSED_PAD src0_sel:WORD_1
	v_lshlrev_b32_e32 v40, 1, v37
	v_and_b32_e32 v41, 15, v37
	v_and_or_b32 v40, v40, s7, v41
	v_mad_u32_u24 v44, v40, s6, 0
	v_add_u32_e32 v40, v44, v42
	ds_read2st64_b32 v[40:41], v40 offset1:17
	v_pk_fma_f32 v[34:35], v[36:37], v[38:39], v[34:35] op_sel_hi:[0,1,1]
	global_store_dwordx2 v43, v[34:35], s[2:3]
	ds_read2st64_b32 v[34:35], v44 offset0:1 offset1:18
	v_lshlrev_b32_e32 v43, 7, v37
	s_waitcnt lgkmcnt(1)
	v_cvt_f32_f16_e32 v36, v40
	v_cvt_f32_f16_sdwa v37, v40 dst_sel:DWORD dst_unused:UNUSED_PAD src0_sel:WORD_1
	v_cvt_f32_f16_e32 v38, v41
	v_cvt_f32_f16_sdwa v39, v41 dst_sel:DWORD dst_unused:UNUSED_PAD src0_sel:WORD_1
	v_add_lshl_u32 v40, v43, v68, 3
	s_waitcnt lgkmcnt(0)
	v_pk_fma_f32 v[36:37], v[34:35], v[36:37], 0 op_sel_hi:[0,1,0]
	v_mov_b32_e32 v34, v35
	v_pk_fma_f32 v[34:35], v[34:35], v[38:39], v[36:37] op_sel_hi:[0,1,1]
	v_add_u32_e32 v38, 16, v77
	v_lshlrev_b32_e32 v36, 1, v38
	v_and_or_b32 v36, v36, s7, v33
	v_mad_u32_u24 v39, v36, s6, 0
	v_add_u32_e32 v36, v39, v42
	ds_read2st64_b32 v[36:37], v36 offset1:17
	v_add_u32_e32 v44, 20, v77
	global_store_dwordx2 v40, v[34:35], s[2:3]
	v_lshlrev_b32_e32 v40, 1, v44
	v_and_b32_e32 v41, 15, v44
	v_and_or_b32 v40, v40, s7, v41
	v_lshlrev_b32_e32 v38, 7, v38
	ds_read2st64_b32 v[34:35], v39 offset0:1 offset1:18
	v_mad_u32_u24 v45, v40, s6, 0
	v_add_lshl_u32 v43, v38, v68, 3
	s_waitcnt lgkmcnt(1)
	v_cvt_f32_f16_e32 v38, v36
	v_cvt_f32_f16_sdwa v39, v36 dst_sel:DWORD dst_unused:UNUSED_PAD src0_sel:WORD_1
	v_add_u32_e32 v40, v45, v42
	v_cvt_f32_f16_e32 v36, v37
	v_cvt_f32_f16_sdwa v37, v37 dst_sel:DWORD dst_unused:UNUSED_PAD src0_sel:WORD_1
	ds_read2st64_b32 v[40:41], v40 offset1:17
	s_waitcnt lgkmcnt(1)
	v_pk_fma_f32 v[38:39], v[34:35], v[38:39], 0 op_sel_hi:[0,1,0]
	v_mov_b32_e32 v34, v35
	v_pk_fma_f32 v[34:35], v[34:35], v[36:37], v[38:39] op_sel_hi:[0,1,1]
	ds_read2st64_b32 v[36:37], v45 offset0:1 offset1:18
	s_waitcnt lgkmcnt(1)
	v_cvt_f32_f16_e32 v38, v40
	v_cvt_f32_f16_sdwa v39, v40 dst_sel:DWORD dst_unused:UNUSED_PAD src0_sel:WORD_1
	global_store_dwordx2 v43, v[34:35], s[2:3]
	v_lshlrev_b32_e32 v34, 7, v44
	v_add_lshl_u32 v43, v34, v68, 3
	s_waitcnt lgkmcnt(0)
	v_pk_fma_f32 v[34:35], v[36:37], v[38:39], 0 op_sel_hi:[0,1,0]
	v_mov_b32_e32 v36, v37
	v_add_u32_e32 v37, 24, v77
	v_cvt_f32_f16_e32 v38, v41
	v_cvt_f32_f16_sdwa v39, v41 dst_sel:DWORD dst_unused:UNUSED_PAD src0_sel:WORD_1
	v_lshlrev_b32_e32 v40, 1, v37
	v_and_b32_e32 v41, 15, v37
	v_and_or_b32 v40, v40, s7, v41
	v_mad_u32_u24 v44, v40, s6, 0
	v_add_u32_e32 v40, v44, v42
	ds_read2st64_b32 v[40:41], v40 offset1:17
	v_pk_fma_f32 v[34:35], v[36:37], v[38:39], v[34:35] op_sel_hi:[0,1,1]
	global_store_dwordx2 v43, v[34:35], s[2:3]
	ds_read2st64_b32 v[34:35], v44 offset0:1 offset1:18
	v_lshlrev_b32_e32 v43, 7, v37
	s_waitcnt lgkmcnt(1)
	v_cvt_f32_f16_e32 v36, v40
	v_cvt_f32_f16_sdwa v37, v40 dst_sel:DWORD dst_unused:UNUSED_PAD src0_sel:WORD_1
	v_cvt_f32_f16_e32 v38, v41
	v_cvt_f32_f16_sdwa v39, v41 dst_sel:DWORD dst_unused:UNUSED_PAD src0_sel:WORD_1
	v_add_lshl_u32 v40, v43, v68, 3
	s_waitcnt lgkmcnt(0)
	v_pk_fma_f32 v[36:37], v[34:35], v[36:37], 0 op_sel_hi:[0,1,0]
	v_mov_b32_e32 v34, v35
	v_pk_fma_f32 v[34:35], v[34:35], v[38:39], v[36:37] op_sel_hi:[0,1,1]
	v_add_u32_e32 v38, 28, v77
	v_lshlrev_b32_e32 v36, 1, v38
	v_and_b32_e32 v37, 15, v38
	v_and_or_b32 v36, v36, s7, v37
	v_mad_u32_u24 v39, v36, s6, 0
	v_add_u32_e32 v36, v39, v42
	ds_read2st64_b32 v[36:37], v36 offset1:17
	v_add_u32_e32 v44, 32, v77
	global_store_dwordx2 v40, v[34:35], s[2:3]
	v_lshlrev_b32_e32 v40, 1, v44
	v_and_or_b32 v40, v40, s7, v33
	v_lshlrev_b32_e32 v38, 7, v38
	ds_read2st64_b32 v[34:35], v39 offset0:1 offset1:18
	v_mad_u32_u24 v45, v40, s6, 0
	v_add_lshl_u32 v43, v38, v68, 3
	s_waitcnt lgkmcnt(1)
	v_cvt_f32_f16_e32 v38, v36
	v_cvt_f32_f16_sdwa v39, v36 dst_sel:DWORD dst_unused:UNUSED_PAD src0_sel:WORD_1
	v_add_u32_e32 v40, v45, v42
	v_cvt_f32_f16_e32 v36, v37
	v_cvt_f32_f16_sdwa v37, v37 dst_sel:DWORD dst_unused:UNUSED_PAD src0_sel:WORD_1
	ds_read2st64_b32 v[40:41], v40 offset1:17
	s_waitcnt lgkmcnt(1)
	v_pk_fma_f32 v[38:39], v[34:35], v[38:39], 0 op_sel_hi:[0,1,0]
	v_mov_b32_e32 v34, v35
	v_pk_fma_f32 v[34:35], v[34:35], v[36:37], v[38:39] op_sel_hi:[0,1,1]
	ds_read2st64_b32 v[36:37], v45 offset0:1 offset1:18
	s_waitcnt lgkmcnt(1)
	v_cvt_f32_f16_e32 v38, v40
	v_cvt_f32_f16_sdwa v39, v40 dst_sel:DWORD dst_unused:UNUSED_PAD src0_sel:WORD_1
	global_store_dwordx2 v43, v[34:35], s[2:3]
	v_lshlrev_b32_e32 v34, 7, v44
	v_add_lshl_u32 v43, v34, v68, 3
	s_waitcnt lgkmcnt(0)
	v_pk_fma_f32 v[34:35], v[36:37], v[38:39], 0 op_sel_hi:[0,1,0]
	v_mov_b32_e32 v36, v37
	v_add_u32_e32 v37, 36, v77
	v_cvt_f32_f16_e32 v38, v41
	v_cvt_f32_f16_sdwa v39, v41 dst_sel:DWORD dst_unused:UNUSED_PAD src0_sel:WORD_1
	v_lshlrev_b32_e32 v40, 1, v37
	v_and_b32_e32 v41, 15, v37
	v_and_or_b32 v40, v40, s7, v41
	v_mad_u32_u24 v44, v40, s6, 0
	v_add_u32_e32 v40, v44, v42
	ds_read2st64_b32 v[40:41], v40 offset1:17
	v_pk_fma_f32 v[34:35], v[36:37], v[38:39], v[34:35] op_sel_hi:[0,1,1]
	global_store_dwordx2 v43, v[34:35], s[2:3]
	ds_read2st64_b32 v[34:35], v44 offset0:1 offset1:18
	v_lshlrev_b32_e32 v43, 7, v37
	s_waitcnt lgkmcnt(1)
	v_cvt_f32_f16_e32 v36, v40
	v_cvt_f32_f16_sdwa v37, v40 dst_sel:DWORD dst_unused:UNUSED_PAD src0_sel:WORD_1
	v_cvt_f32_f16_e32 v38, v41
	v_cvt_f32_f16_sdwa v39, v41 dst_sel:DWORD dst_unused:UNUSED_PAD src0_sel:WORD_1
	v_add_lshl_u32 v40, v43, v68, 3
	s_waitcnt lgkmcnt(0)
	v_pk_fma_f32 v[36:37], v[34:35], v[36:37], 0 op_sel_hi:[0,1,0]
	v_mov_b32_e32 v34, v35
	v_pk_fma_f32 v[34:35], v[34:35], v[38:39], v[36:37] op_sel_hi:[0,1,1]
	v_add_u32_e32 v38, 40, v77
	v_lshlrev_b32_e32 v36, 1, v38
	v_and_b32_e32 v37, 15, v38
	v_and_or_b32 v36, v36, s7, v37
	v_mad_u32_u24 v39, v36, s6, 0
	v_add_u32_e32 v36, v39, v42
	ds_read2st64_b32 v[36:37], v36 offset1:17
	v_add_u32_e32 v44, 44, v77
	global_store_dwordx2 v40, v[34:35], s[2:3]
	v_lshlrev_b32_e32 v40, 1, v44
	v_and_b32_e32 v41, 15, v44
	v_and_or_b32 v40, v40, s7, v41
	v_lshlrev_b32_e32 v38, 7, v38
	ds_read2st64_b32 v[34:35], v39 offset0:1 offset1:18
	v_mad_u32_u24 v45, v40, s6, 0
	v_add_lshl_u32 v43, v38, v68, 3
	s_waitcnt lgkmcnt(1)
	v_cvt_f32_f16_e32 v38, v36
	v_cvt_f32_f16_sdwa v39, v36 dst_sel:DWORD dst_unused:UNUSED_PAD src0_sel:WORD_1
	v_add_u32_e32 v40, v45, v42
	v_cvt_f32_f16_e32 v36, v37
	v_cvt_f32_f16_sdwa v37, v37 dst_sel:DWORD dst_unused:UNUSED_PAD src0_sel:WORD_1
	ds_read2st64_b32 v[40:41], v40 offset1:17
	s_waitcnt lgkmcnt(1)
	v_pk_fma_f32 v[38:39], v[34:35], v[38:39], 0 op_sel_hi:[0,1,0]
	v_mov_b32_e32 v34, v35
	v_pk_fma_f32 v[34:35], v[34:35], v[36:37], v[38:39] op_sel_hi:[0,1,1]
	ds_read2st64_b32 v[36:37], v45 offset0:1 offset1:18
	s_waitcnt lgkmcnt(1)
	v_cvt_f32_f16_e32 v38, v40
	v_cvt_f32_f16_sdwa v39, v40 dst_sel:DWORD dst_unused:UNUSED_PAD src0_sel:WORD_1
	global_store_dwordx2 v43, v[34:35], s[2:3]
	v_lshlrev_b32_e32 v34, 7, v44
	v_add_lshl_u32 v43, v34, v68, 3
	s_waitcnt lgkmcnt(0)
	v_pk_fma_f32 v[34:35], v[36:37], v[38:39], 0 op_sel_hi:[0,1,0]
	v_mov_b32_e32 v36, v37
	v_add_u32_e32 v37, 48, v77
	v_lshlrev_b32_e32 v40, 1, v37
	v_and_or_b32 v33, v40, s7, v33
	v_mad_u32_u24 v33, v33, s6, 0
	v_cvt_f32_f16_e32 v38, v41
	v_cvt_f32_f16_sdwa v39, v41 dst_sel:DWORD dst_unused:UNUSED_PAD src0_sel:WORD_1
	v_add_u32_e32 v40, v33, v42
	ds_read2st64_b32 v[40:41], v40 offset1:17
	v_pk_fma_f32 v[34:35], v[36:37], v[38:39], v[34:35] op_sel_hi:[0,1,1]
	global_store_dwordx2 v43, v[34:35], s[2:3]
	ds_read2st64_b32 v[34:35], v33 offset0:1 offset1:18
	v_lshlrev_b32_e32 v43, 7, v37
	s_waitcnt lgkmcnt(1)
	v_cvt_f32_f16_e32 v36, v40
	v_cvt_f32_f16_sdwa v37, v40 dst_sel:DWORD dst_unused:UNUSED_PAD src0_sel:WORD_1
	v_cvt_f32_f16_e32 v38, v41
	v_cvt_f32_f16_sdwa v39, v41 dst_sel:DWORD dst_unused:UNUSED_PAD src0_sel:WORD_1
	v_add_lshl_u32 v33, v43, v68, 3
	s_waitcnt lgkmcnt(0)
	v_pk_fma_f32 v[36:37], v[34:35], v[36:37], 0 op_sel_hi:[0,1,0]
	v_mov_b32_e32 v34, v35
	v_pk_fma_f32 v[34:35], v[34:35], v[38:39], v[36:37] op_sel_hi:[0,1,1]
	v_add_u32_e32 v38, 52, v77
	v_lshlrev_b32_e32 v36, 1, v38
	v_and_b32_e32 v37, 15, v38
	v_and_or_b32 v36, v36, s7, v37
	v_mad_u32_u24 v39, v36, s6, 0
	v_add_u32_e32 v36, v39, v42
	ds_read2st64_b32 v[36:37], v36 offset1:17
	v_add_u32_e32 v43, 56, v77
	v_lshlrev_b32_e32 v40, 1, v43
	v_and_b32_e32 v41, 15, v43
	v_and_or_b32 v40, v40, s7, v41
	global_store_dwordx2 v33, v[34:35], s[2:3]
	ds_read2st64_b32 v[34:35], v39 offset0:1 offset1:18
	v_mad_u32_u24 v44, v40, s6, 0
	v_lshlrev_b32_e32 v33, 7, v38
	s_waitcnt lgkmcnt(1)
	v_cvt_f32_f16_e32 v38, v36
	v_cvt_f32_f16_sdwa v39, v36 dst_sel:DWORD dst_unused:UNUSED_PAD src0_sel:WORD_1
	v_add_u32_e32 v40, v44, v42
	v_cvt_f32_f16_e32 v36, v37
	v_cvt_f32_f16_sdwa v37, v37 dst_sel:DWORD dst_unused:UNUSED_PAD src0_sel:WORD_1
	ds_read2st64_b32 v[40:41], v40 offset1:17
	s_waitcnt lgkmcnt(1)
	v_pk_fma_f32 v[38:39], v[34:35], v[38:39], 0 op_sel_hi:[0,1,0]
	v_mov_b32_e32 v34, v35
	v_pk_fma_f32 v[34:35], v[34:35], v[36:37], v[38:39] op_sel_hi:[0,1,1]
	ds_read2st64_b32 v[36:37], v44 offset0:1 offset1:18
	s_waitcnt lgkmcnt(1)
	v_cvt_f32_f16_e32 v38, v40
	v_cvt_f32_f16_sdwa v39, v40 dst_sel:DWORD dst_unused:UNUSED_PAD src0_sel:WORD_1
	v_add_lshl_u32 v33, v33, v68, 3
	global_store_dwordx2 v33, v[34:35], s[2:3]
	v_lshlrev_b32_e32 v33, 7, v43
	s_waitcnt lgkmcnt(0)
	v_pk_fma_f32 v[34:35], v[36:37], v[38:39], 0 op_sel_hi:[0,1,0]
	v_mov_b32_e32 v36, v37
	v_add_u32_e32 v37, 60, v77
	v_cvt_f32_f16_e32 v38, v41
	v_cvt_f32_f16_sdwa v39, v41 dst_sel:DWORD dst_unused:UNUSED_PAD src0_sel:WORD_1
	v_lshlrev_b32_e32 v40, 1, v37
	v_and_b32_e32 v41, 15, v37
	v_and_or_b32 v40, v40, s7, v41
	v_mad_u32_u24 v43, v40, s6, 0
	v_add_u32_e32 v40, v43, v42
	ds_read2st64_b32 v[40:41], v40 offset1:17
	v_add_lshl_u32 v33, v33, v68, 3
	v_pk_fma_f32 v[34:35], v[36:37], v[38:39], v[34:35] op_sel_hi:[0,1,1]
	global_store_dwordx2 v33, v[34:35], s[2:3]
	ds_read2st64_b32 v[34:35], v43 offset0:1 offset1:18
	v_lshlrev_b32_e32 v33, 7, v37
	s_waitcnt lgkmcnt(1)
	v_cvt_f32_f16_e32 v36, v40
	v_cvt_f32_f16_sdwa v37, v40 dst_sel:DWORD dst_unused:UNUSED_PAD src0_sel:WORD_1
	v_cvt_f32_f16_e32 v38, v41
	v_cvt_f32_f16_sdwa v39, v41 dst_sel:DWORD dst_unused:UNUSED_PAD src0_sel:WORD_1
	v_add_lshl_u32 v33, v33, v68, 3
	s_waitcnt lgkmcnt(0)
	v_pk_fma_f32 v[36:37], v[34:35], v[36:37], 0 op_sel_hi:[0,1,0]
	v_mov_b32_e32 v34, v35
	v_pk_fma_f32 v[34:35], v[34:35], v[38:39], v[36:37] op_sel_hi:[0,1,1]
	global_store_dwordx2 v33, v[34:35], s[2:3]
.LBB30_678:
	s_or_b64 exec, exec, s[0:1]
	v_cvt_f16_f32_e32 v0, v0
	v_cvt_f16_f32_e32 v1, v1
	v_cvt_f16_f32_e32 v2, v2
	v_cvt_f16_f32_e32 v3, v3
	v_cvt_f16_f32_e32 v4, v4
	v_cvt_f16_f32_e32 v6, v6
	v_cvt_f16_f32_e32 v7, v7
	v_cvt_f16_f32_e32 v5, v5
	v_pack_b32_f16 v2, v2, v3
	v_pack_b32_f16 v0, v0, v1
	v_pack_b32_f16 v1, v6, v7
	v_pack_b32_f16 v3, v4, v5
	v_cvt_f16_f32_e32 v4, v8
	v_cvt_f16_f32_e32 v5, v9
	v_cvt_f16_f32_e32 v6, v10
	v_cvt_f16_f32_e32 v7, v11
	v_cvt_f16_f32_e32 v8, v12
	v_cvt_f16_f32_e32 v9, v14
	v_cvt_f16_f32_e32 v10, v15
	v_cvt_f16_f32_e32 v11, v13
	v_pack_b32_f16 v6, v6, v7
	v_pack_b32_f16 v4, v4, v5
	v_pack_b32_f16 v5, v9, v10
	v_pack_b32_f16 v7, v8, v11
	;; [unrolled: 12-line block ×4, first 2 shown]
	s_barrier
	ds_write2_b32 v32, v0, v2 offset1:1
	ds_write2_b32 v32, v3, v1 offset0:8 offset1:9
	ds_write2_b32 v32, v4, v6 offset0:16 offset1:17
	;; [unrolled: 1-line block ×7, first 2 shown]
	s_waitcnt lgkmcnt(0)
	s_barrier
	s_and_saveexec_b64 s[0:1], vcc
	s_cbranch_execz .LBB30_680
; %bb.679:
	s_load_dword s2, s[54:55], 0x10
	v_bfe_u32 v8, v79, 1, 4
	s_movk_i32 s6, 0x3e0
	v_and_or_b32 v0, v79, s6, v8
	v_lshlrev_b32_e32 v9, 2, v68
	s_waitcnt lgkmcnt(0)
	s_lshr_b32 s2, s2, 16
	s_cmp_lg_u32 s2, 0
	s_cselect_b64 s[6:7], -1, 0
	s_cmp_lg_u64 s[6:7], 0
	s_movk_i32 s6, 0x110
	v_mad_u32_u24 v2, v0, s6, 0
	v_add_u32_e32 v0, v2, v9
	ds_read2st64_b32 v[0:1], v0 offset1:17
	ds_read2st64_b32 v[2:3], v2 offset0:1 offset1:18
	s_addc_u32 s2, s34, 0
	s_mov_b32 s3, 0
	s_lshl_b32 s2, s2, 7
	s_waitcnt lgkmcnt(1)
	v_cvt_f32_f16_e32 v4, v0
	v_cvt_f32_f16_sdwa v5, v0 dst_sel:DWORD dst_unused:UNUSED_PAD src0_sel:WORD_1
	v_cvt_f32_f16_e32 v0, v1
	v_cvt_f32_f16_sdwa v1, v1 dst_sel:DWORD dst_unused:UNUSED_PAD src0_sel:WORD_1
	s_lshl_b64 s[2:3], s[2:3], 3
	s_waitcnt lgkmcnt(0)
	v_pk_fma_f32 v[4:5], v[2:3], v[4:5], 0 op_sel_hi:[0,1,0]
	v_mov_b32_e32 v2, v3
	v_pk_fma_f32 v[0:1], v[2:3], v[0:1], v[4:5] op_sel_hi:[0,1,1]
	v_add_u32_e32 v4, 4, v77
	s_add_u32 s2, s4, s2
	v_lshlrev_b32_e32 v2, 1, v4
	v_and_b32_e32 v3, 15, v4
	s_movk_i32 s4, 0x7e0
	v_and_or_b32 v2, v2, s4, v3
	v_mad_u32_u24 v5, v2, s6, 0
	v_add_u32_e32 v2, v5, v9
	v_lshlrev_b32_e32 v6, 6, v79
	ds_read2st64_b32 v[2:3], v2 offset1:17
	s_addc_u32 s3, s5, s3
	v_add_lshl_u32 v6, v68, v6, 3
	v_add_u32_e32 v11, 8, v77
	global_store_dwordx2 v6, v[0:1], s[2:3] offset:512
	v_lshlrev_b32_e32 v6, 1, v11
	v_and_b32_e32 v7, 15, v11
	v_and_or_b32 v6, v6, s4, v7
	v_lshlrev_b32_e32 v4, 7, v4
	ds_read2st64_b32 v[0:1], v5 offset0:1 offset1:18
	v_mad_u32_u24 v12, v6, s6, 0
	v_add_lshl_u32 v10, v68, v4, 3
	s_waitcnt lgkmcnt(1)
	v_cvt_f32_f16_e32 v4, v2
	v_cvt_f32_f16_sdwa v5, v2 dst_sel:DWORD dst_unused:UNUSED_PAD src0_sel:WORD_1
	v_add_u32_e32 v6, v12, v9
	v_cvt_f32_f16_e32 v2, v3
	v_cvt_f32_f16_sdwa v3, v3 dst_sel:DWORD dst_unused:UNUSED_PAD src0_sel:WORD_1
	ds_read2st64_b32 v[6:7], v6 offset1:17
	s_waitcnt lgkmcnt(1)
	v_pk_fma_f32 v[4:5], v[0:1], v[4:5], 0 op_sel_hi:[0,1,0]
	v_mov_b32_e32 v0, v1
	v_pk_fma_f32 v[0:1], v[0:1], v[2:3], v[4:5] op_sel_hi:[0,1,1]
	ds_read2st64_b32 v[2:3], v12 offset0:1 offset1:18
	s_waitcnt lgkmcnt(1)
	v_cvt_f32_f16_e32 v4, v6
	v_cvt_f32_f16_sdwa v5, v6 dst_sel:DWORD dst_unused:UNUSED_PAD src0_sel:WORD_1
	global_store_dwordx2 v10, v[0:1], s[2:3] offset:512
	v_lshlrev_b32_e32 v0, 7, v11
	v_add_lshl_u32 v10, v68, v0, 3
	s_waitcnt lgkmcnt(0)
	v_pk_fma_f32 v[0:1], v[2:3], v[4:5], 0 op_sel_hi:[0,1,0]
	v_mov_b32_e32 v2, v3
	v_add_u32_e32 v3, 12, v77
	v_cvt_f32_f16_e32 v4, v7
	v_cvt_f32_f16_sdwa v5, v7 dst_sel:DWORD dst_unused:UNUSED_PAD src0_sel:WORD_1
	v_lshlrev_b32_e32 v6, 1, v3
	v_and_b32_e32 v7, 15, v3
	v_and_or_b32 v6, v6, s4, v7
	v_mad_u32_u24 v11, v6, s6, 0
	v_add_u32_e32 v6, v11, v9
	ds_read2st64_b32 v[6:7], v6 offset1:17
	v_pk_fma_f32 v[0:1], v[2:3], v[4:5], v[0:1] op_sel_hi:[0,1,1]
	global_store_dwordx2 v10, v[0:1], s[2:3] offset:512
	ds_read2st64_b32 v[0:1], v11 offset0:1 offset1:18
	v_lshlrev_b32_e32 v10, 7, v3
	s_waitcnt lgkmcnt(1)
	v_cvt_f32_f16_e32 v2, v6
	v_cvt_f32_f16_sdwa v3, v6 dst_sel:DWORD dst_unused:UNUSED_PAD src0_sel:WORD_1
	v_cvt_f32_f16_e32 v4, v7
	v_cvt_f32_f16_sdwa v5, v7 dst_sel:DWORD dst_unused:UNUSED_PAD src0_sel:WORD_1
	v_add_lshl_u32 v6, v68, v10, 3
	s_waitcnt lgkmcnt(0)
	v_pk_fma_f32 v[2:3], v[0:1], v[2:3], 0 op_sel_hi:[0,1,0]
	v_mov_b32_e32 v0, v1
	v_pk_fma_f32 v[0:1], v[0:1], v[4:5], v[2:3] op_sel_hi:[0,1,1]
	v_add_u32_e32 v4, 16, v77
	v_lshlrev_b32_e32 v2, 1, v4
	v_and_or_b32 v2, v2, s4, v8
	v_mad_u32_u24 v5, v2, s6, 0
	v_add_u32_e32 v2, v5, v9
	ds_read2st64_b32 v[2:3], v2 offset1:17
	v_add_u32_e32 v11, 20, v77
	global_store_dwordx2 v6, v[0:1], s[2:3] offset:512
	v_lshlrev_b32_e32 v6, 1, v11
	v_and_b32_e32 v7, 15, v11
	v_and_or_b32 v6, v6, s4, v7
	v_lshlrev_b32_e32 v4, 7, v4
	ds_read2st64_b32 v[0:1], v5 offset0:1 offset1:18
	v_mad_u32_u24 v12, v6, s6, 0
	v_add_lshl_u32 v10, v68, v4, 3
	s_waitcnt lgkmcnt(1)
	v_cvt_f32_f16_e32 v4, v2
	v_cvt_f32_f16_sdwa v5, v2 dst_sel:DWORD dst_unused:UNUSED_PAD src0_sel:WORD_1
	v_add_u32_e32 v6, v12, v9
	v_cvt_f32_f16_e32 v2, v3
	v_cvt_f32_f16_sdwa v3, v3 dst_sel:DWORD dst_unused:UNUSED_PAD src0_sel:WORD_1
	ds_read2st64_b32 v[6:7], v6 offset1:17
	s_waitcnt lgkmcnt(1)
	v_pk_fma_f32 v[4:5], v[0:1], v[4:5], 0 op_sel_hi:[0,1,0]
	v_mov_b32_e32 v0, v1
	v_pk_fma_f32 v[0:1], v[0:1], v[2:3], v[4:5] op_sel_hi:[0,1,1]
	ds_read2st64_b32 v[2:3], v12 offset0:1 offset1:18
	s_waitcnt lgkmcnt(1)
	v_cvt_f32_f16_e32 v4, v6
	v_cvt_f32_f16_sdwa v5, v6 dst_sel:DWORD dst_unused:UNUSED_PAD src0_sel:WORD_1
	global_store_dwordx2 v10, v[0:1], s[2:3] offset:512
	v_lshlrev_b32_e32 v0, 7, v11
	v_add_lshl_u32 v10, v68, v0, 3
	s_waitcnt lgkmcnt(0)
	v_pk_fma_f32 v[0:1], v[2:3], v[4:5], 0 op_sel_hi:[0,1,0]
	v_mov_b32_e32 v2, v3
	v_add_u32_e32 v3, 24, v77
	v_cvt_f32_f16_e32 v4, v7
	v_cvt_f32_f16_sdwa v5, v7 dst_sel:DWORD dst_unused:UNUSED_PAD src0_sel:WORD_1
	v_lshlrev_b32_e32 v6, 1, v3
	v_and_b32_e32 v7, 15, v3
	v_and_or_b32 v6, v6, s4, v7
	v_mad_u32_u24 v11, v6, s6, 0
	v_add_u32_e32 v6, v11, v9
	ds_read2st64_b32 v[6:7], v6 offset1:17
	v_pk_fma_f32 v[0:1], v[2:3], v[4:5], v[0:1] op_sel_hi:[0,1,1]
	global_store_dwordx2 v10, v[0:1], s[2:3] offset:512
	ds_read2st64_b32 v[0:1], v11 offset0:1 offset1:18
	v_lshlrev_b32_e32 v10, 7, v3
	s_waitcnt lgkmcnt(1)
	v_cvt_f32_f16_e32 v2, v6
	v_cvt_f32_f16_sdwa v3, v6 dst_sel:DWORD dst_unused:UNUSED_PAD src0_sel:WORD_1
	v_cvt_f32_f16_e32 v4, v7
	v_cvt_f32_f16_sdwa v5, v7 dst_sel:DWORD dst_unused:UNUSED_PAD src0_sel:WORD_1
	v_add_lshl_u32 v6, v68, v10, 3
	s_waitcnt lgkmcnt(0)
	v_pk_fma_f32 v[2:3], v[0:1], v[2:3], 0 op_sel_hi:[0,1,0]
	v_mov_b32_e32 v0, v1
	v_pk_fma_f32 v[0:1], v[0:1], v[4:5], v[2:3] op_sel_hi:[0,1,1]
	v_add_u32_e32 v4, 28, v77
	v_lshlrev_b32_e32 v2, 1, v4
	v_and_b32_e32 v3, 15, v4
	v_and_or_b32 v2, v2, s4, v3
	v_mad_u32_u24 v5, v2, s6, 0
	v_add_u32_e32 v2, v5, v9
	ds_read2st64_b32 v[2:3], v2 offset1:17
	v_add_u32_e32 v11, 32, v77
	global_store_dwordx2 v6, v[0:1], s[2:3] offset:512
	v_lshlrev_b32_e32 v6, 1, v11
	v_and_or_b32 v6, v6, s4, v8
	v_lshlrev_b32_e32 v4, 7, v4
	ds_read2st64_b32 v[0:1], v5 offset0:1 offset1:18
	v_mad_u32_u24 v12, v6, s6, 0
	v_add_lshl_u32 v10, v68, v4, 3
	s_waitcnt lgkmcnt(1)
	v_cvt_f32_f16_e32 v4, v2
	v_cvt_f32_f16_sdwa v5, v2 dst_sel:DWORD dst_unused:UNUSED_PAD src0_sel:WORD_1
	v_add_u32_e32 v6, v12, v9
	v_cvt_f32_f16_e32 v2, v3
	v_cvt_f32_f16_sdwa v3, v3 dst_sel:DWORD dst_unused:UNUSED_PAD src0_sel:WORD_1
	ds_read2st64_b32 v[6:7], v6 offset1:17
	s_waitcnt lgkmcnt(1)
	v_pk_fma_f32 v[4:5], v[0:1], v[4:5], 0 op_sel_hi:[0,1,0]
	v_mov_b32_e32 v0, v1
	v_pk_fma_f32 v[0:1], v[0:1], v[2:3], v[4:5] op_sel_hi:[0,1,1]
	ds_read2st64_b32 v[2:3], v12 offset0:1 offset1:18
	s_waitcnt lgkmcnt(1)
	v_cvt_f32_f16_e32 v4, v6
	v_cvt_f32_f16_sdwa v5, v6 dst_sel:DWORD dst_unused:UNUSED_PAD src0_sel:WORD_1
	global_store_dwordx2 v10, v[0:1], s[2:3] offset:512
	v_lshlrev_b32_e32 v0, 7, v11
	v_add_lshl_u32 v10, v68, v0, 3
	s_waitcnt lgkmcnt(0)
	v_pk_fma_f32 v[0:1], v[2:3], v[4:5], 0 op_sel_hi:[0,1,0]
	v_mov_b32_e32 v2, v3
	v_add_u32_e32 v3, 36, v77
	v_cvt_f32_f16_e32 v4, v7
	v_cvt_f32_f16_sdwa v5, v7 dst_sel:DWORD dst_unused:UNUSED_PAD src0_sel:WORD_1
	v_lshlrev_b32_e32 v6, 1, v3
	v_and_b32_e32 v7, 15, v3
	v_and_or_b32 v6, v6, s4, v7
	v_mad_u32_u24 v11, v6, s6, 0
	v_add_u32_e32 v6, v11, v9
	ds_read2st64_b32 v[6:7], v6 offset1:17
	v_pk_fma_f32 v[0:1], v[2:3], v[4:5], v[0:1] op_sel_hi:[0,1,1]
	global_store_dwordx2 v10, v[0:1], s[2:3] offset:512
	ds_read2st64_b32 v[0:1], v11 offset0:1 offset1:18
	v_lshlrev_b32_e32 v10, 7, v3
	s_waitcnt lgkmcnt(1)
	v_cvt_f32_f16_e32 v2, v6
	v_cvt_f32_f16_sdwa v3, v6 dst_sel:DWORD dst_unused:UNUSED_PAD src0_sel:WORD_1
	v_cvt_f32_f16_e32 v4, v7
	v_cvt_f32_f16_sdwa v5, v7 dst_sel:DWORD dst_unused:UNUSED_PAD src0_sel:WORD_1
	v_add_lshl_u32 v6, v68, v10, 3
	s_waitcnt lgkmcnt(0)
	v_pk_fma_f32 v[2:3], v[0:1], v[2:3], 0 op_sel_hi:[0,1,0]
	v_mov_b32_e32 v0, v1
	v_pk_fma_f32 v[0:1], v[0:1], v[4:5], v[2:3] op_sel_hi:[0,1,1]
	v_add_u32_e32 v4, 40, v77
	v_lshlrev_b32_e32 v2, 1, v4
	v_and_b32_e32 v3, 15, v4
	v_and_or_b32 v2, v2, s4, v3
	v_mad_u32_u24 v5, v2, s6, 0
	v_add_u32_e32 v2, v5, v9
	ds_read2st64_b32 v[2:3], v2 offset1:17
	v_add_u32_e32 v11, 44, v77
	global_store_dwordx2 v6, v[0:1], s[2:3] offset:512
	v_lshlrev_b32_e32 v6, 1, v11
	v_and_b32_e32 v7, 15, v11
	v_and_or_b32 v6, v6, s4, v7
	v_lshlrev_b32_e32 v4, 7, v4
	ds_read2st64_b32 v[0:1], v5 offset0:1 offset1:18
	v_mad_u32_u24 v12, v6, s6, 0
	v_add_lshl_u32 v10, v68, v4, 3
	s_waitcnt lgkmcnt(1)
	v_cvt_f32_f16_e32 v4, v2
	v_cvt_f32_f16_sdwa v5, v2 dst_sel:DWORD dst_unused:UNUSED_PAD src0_sel:WORD_1
	v_add_u32_e32 v6, v12, v9
	v_cvt_f32_f16_e32 v2, v3
	v_cvt_f32_f16_sdwa v3, v3 dst_sel:DWORD dst_unused:UNUSED_PAD src0_sel:WORD_1
	ds_read2st64_b32 v[6:7], v6 offset1:17
	s_waitcnt lgkmcnt(1)
	v_pk_fma_f32 v[4:5], v[0:1], v[4:5], 0 op_sel_hi:[0,1,0]
	v_mov_b32_e32 v0, v1
	v_pk_fma_f32 v[0:1], v[0:1], v[2:3], v[4:5] op_sel_hi:[0,1,1]
	ds_read2st64_b32 v[2:3], v12 offset0:1 offset1:18
	s_waitcnt lgkmcnt(1)
	v_cvt_f32_f16_e32 v4, v6
	v_cvt_f32_f16_sdwa v5, v6 dst_sel:DWORD dst_unused:UNUSED_PAD src0_sel:WORD_1
	global_store_dwordx2 v10, v[0:1], s[2:3] offset:512
	v_lshlrev_b32_e32 v0, 7, v11
	v_add_lshl_u32 v10, v68, v0, 3
	s_waitcnt lgkmcnt(0)
	v_pk_fma_f32 v[0:1], v[2:3], v[4:5], 0 op_sel_hi:[0,1,0]
	v_mov_b32_e32 v2, v3
	v_add_u32_e32 v3, 48, v77
	v_lshlrev_b32_e32 v6, 1, v3
	v_and_or_b32 v6, v6, s4, v8
	v_mad_u32_u24 v8, v6, s6, 0
	v_cvt_f32_f16_e32 v4, v7
	v_cvt_f32_f16_sdwa v5, v7 dst_sel:DWORD dst_unused:UNUSED_PAD src0_sel:WORD_1
	v_add_u32_e32 v6, v8, v9
	ds_read2st64_b32 v[6:7], v6 offset1:17
	v_pk_fma_f32 v[0:1], v[2:3], v[4:5], v[0:1] op_sel_hi:[0,1,1]
	global_store_dwordx2 v10, v[0:1], s[2:3] offset:512
	ds_read2st64_b32 v[0:1], v8 offset0:1 offset1:18
	v_lshlrev_b32_e32 v10, 7, v3
	s_waitcnt lgkmcnt(1)
	v_cvt_f32_f16_e32 v2, v6
	v_cvt_f32_f16_sdwa v3, v6 dst_sel:DWORD dst_unused:UNUSED_PAD src0_sel:WORD_1
	v_cvt_f32_f16_e32 v4, v7
	v_cvt_f32_f16_sdwa v5, v7 dst_sel:DWORD dst_unused:UNUSED_PAD src0_sel:WORD_1
	v_add_lshl_u32 v6, v68, v10, 3
	s_waitcnt lgkmcnt(0)
	v_pk_fma_f32 v[2:3], v[0:1], v[2:3], 0 op_sel_hi:[0,1,0]
	v_mov_b32_e32 v0, v1
	v_pk_fma_f32 v[0:1], v[0:1], v[4:5], v[2:3] op_sel_hi:[0,1,1]
	v_add_u32_e32 v4, 52, v77
	v_lshlrev_b32_e32 v2, 1, v4
	v_and_b32_e32 v3, 15, v4
	v_and_or_b32 v2, v2, s4, v3
	v_mad_u32_u24 v5, v2, s6, 0
	v_add_u32_e32 v2, v5, v9
	ds_read2st64_b32 v[2:3], v2 offset1:17
	v_add_u32_e32 v10, 56, v77
	global_store_dwordx2 v6, v[0:1], s[2:3] offset:512
	v_lshlrev_b32_e32 v6, 1, v10
	v_and_b32_e32 v7, 15, v10
	v_and_or_b32 v6, v6, s4, v7
	v_lshlrev_b32_e32 v4, 7, v4
	ds_read2st64_b32 v[0:1], v5 offset0:1 offset1:18
	v_mad_u32_u24 v11, v6, s6, 0
	v_add_lshl_u32 v8, v68, v4, 3
	s_waitcnt lgkmcnt(1)
	v_cvt_f32_f16_e32 v4, v2
	v_cvt_f32_f16_sdwa v5, v2 dst_sel:DWORD dst_unused:UNUSED_PAD src0_sel:WORD_1
	v_add_u32_e32 v6, v11, v9
	v_cvt_f32_f16_e32 v2, v3
	v_cvt_f32_f16_sdwa v3, v3 dst_sel:DWORD dst_unused:UNUSED_PAD src0_sel:WORD_1
	ds_read2st64_b32 v[6:7], v6 offset1:17
	s_waitcnt lgkmcnt(1)
	v_pk_fma_f32 v[4:5], v[0:1], v[4:5], 0 op_sel_hi:[0,1,0]
	v_mov_b32_e32 v0, v1
	v_pk_fma_f32 v[0:1], v[0:1], v[2:3], v[4:5] op_sel_hi:[0,1,1]
	ds_read2st64_b32 v[2:3], v11 offset0:1 offset1:18
	s_waitcnt lgkmcnt(1)
	v_cvt_f32_f16_e32 v4, v6
	v_cvt_f32_f16_sdwa v5, v6 dst_sel:DWORD dst_unused:UNUSED_PAD src0_sel:WORD_1
	global_store_dwordx2 v8, v[0:1], s[2:3] offset:512
	v_lshlrev_b32_e32 v0, 7, v10
	v_add_lshl_u32 v8, v68, v0, 3
	s_waitcnt lgkmcnt(0)
	v_pk_fma_f32 v[0:1], v[2:3], v[4:5], 0 op_sel_hi:[0,1,0]
	v_mov_b32_e32 v2, v3
	v_add_u32_e32 v3, 60, v77
	v_cvt_f32_f16_e32 v4, v7
	v_cvt_f32_f16_sdwa v5, v7 dst_sel:DWORD dst_unused:UNUSED_PAD src0_sel:WORD_1
	v_lshlrev_b32_e32 v6, 1, v3
	v_and_b32_e32 v7, 15, v3
	v_and_or_b32 v6, v6, s4, v7
	v_mad_u32_u24 v10, v6, s6, 0
	v_add_u32_e32 v6, v10, v9
	ds_read2st64_b32 v[6:7], v6 offset1:17
	v_pk_fma_f32 v[0:1], v[2:3], v[4:5], v[0:1] op_sel_hi:[0,1,1]
	global_store_dwordx2 v8, v[0:1], s[2:3] offset:512
	ds_read2st64_b32 v[0:1], v10 offset0:1 offset1:18
	v_lshlrev_b32_e32 v8, 7, v3
	s_waitcnt lgkmcnt(1)
	v_cvt_f32_f16_e32 v2, v6
	v_cvt_f32_f16_sdwa v3, v6 dst_sel:DWORD dst_unused:UNUSED_PAD src0_sel:WORD_1
	v_cvt_f32_f16_e32 v4, v7
	v_cvt_f32_f16_sdwa v5, v7 dst_sel:DWORD dst_unused:UNUSED_PAD src0_sel:WORD_1
	v_add_lshl_u32 v6, v68, v8, 3
	s_waitcnt lgkmcnt(0)
	v_pk_fma_f32 v[2:3], v[0:1], v[2:3], 0 op_sel_hi:[0,1,0]
	v_mov_b32_e32 v0, v1
	v_pk_fma_f32 v[0:1], v[0:1], v[4:5], v[2:3] op_sel_hi:[0,1,1]
	global_store_dwordx2 v6, v[0:1], s[2:3] offset:512
.LBB30_680:
	s_or_b64 exec, exec, s[0:1]
	s_barrier
	s_endpgm
	.section	.rodata,"a",@progbits
	.p2align	6, 0x0
	.amdhsa_kernel _ZL18flash_attn_ext_f16ILi256ELi256ELi16ELi4ELb1ELb0EEvPKcS1_S1_S1_S1_PKiPfP15HIP_vector_typeIfLj2EEffffjfiS5_IjLj3EEiiiiiiiiiiiliiliiiiil
		.amdhsa_group_segment_fixed_size 0
		.amdhsa_private_segment_fixed_size 244
		.amdhsa_kernarg_size 464
		.amdhsa_user_sgpr_count 6
		.amdhsa_user_sgpr_private_segment_buffer 1
		.amdhsa_user_sgpr_dispatch_ptr 0
		.amdhsa_user_sgpr_queue_ptr 0
		.amdhsa_user_sgpr_kernarg_segment_ptr 1
		.amdhsa_user_sgpr_dispatch_id 0
		.amdhsa_user_sgpr_flat_scratch_init 0
		.amdhsa_user_sgpr_kernarg_preload_length 0
		.amdhsa_user_sgpr_kernarg_preload_offset 0
		.amdhsa_user_sgpr_private_segment_size 0
		.amdhsa_uses_dynamic_stack 0
		.amdhsa_system_sgpr_private_segment_wavefront_offset 1
		.amdhsa_system_sgpr_workgroup_id_x 1
		.amdhsa_system_sgpr_workgroup_id_y 0
		.amdhsa_system_sgpr_workgroup_id_z 0
		.amdhsa_system_sgpr_workgroup_info 0
		.amdhsa_system_vgpr_workitem_id 1
		.amdhsa_next_free_vgpr 256
		.amdhsa_next_free_sgpr 100
		.amdhsa_accum_offset 256
		.amdhsa_reserve_vcc 1
		.amdhsa_reserve_flat_scratch 0
		.amdhsa_float_round_mode_32 0
		.amdhsa_float_round_mode_16_64 0
		.amdhsa_float_denorm_mode_32 3
		.amdhsa_float_denorm_mode_16_64 3
		.amdhsa_dx10_clamp 1
		.amdhsa_ieee_mode 1
		.amdhsa_fp16_overflow 0
		.amdhsa_tg_split 0
		.amdhsa_exception_fp_ieee_invalid_op 0
		.amdhsa_exception_fp_denorm_src 0
		.amdhsa_exception_fp_ieee_div_zero 0
		.amdhsa_exception_fp_ieee_overflow 0
		.amdhsa_exception_fp_ieee_underflow 0
		.amdhsa_exception_fp_ieee_inexact 0
		.amdhsa_exception_int_div_zero 0
	.end_amdhsa_kernel
	.section	.text._ZL18flash_attn_ext_f16ILi256ELi256ELi16ELi4ELb1ELb0EEvPKcS1_S1_S1_S1_PKiPfP15HIP_vector_typeIfLj2EEffffjfiS5_IjLj3EEiiiiiiiiiiiliiliiiiil,"axG",@progbits,_ZL18flash_attn_ext_f16ILi256ELi256ELi16ELi4ELb1ELb0EEvPKcS1_S1_S1_S1_PKiPfP15HIP_vector_typeIfLj2EEffffjfiS5_IjLj3EEiiiiiiiiiiiliiliiiiil,comdat
.Lfunc_end30:
	.size	_ZL18flash_attn_ext_f16ILi256ELi256ELi16ELi4ELb1ELb0EEvPKcS1_S1_S1_S1_PKiPfP15HIP_vector_typeIfLj2EEffffjfiS5_IjLj3EEiiiiiiiiiiiliiliiiiil, .Lfunc_end30-_ZL18flash_attn_ext_f16ILi256ELi256ELi16ELi4ELb1ELb0EEvPKcS1_S1_S1_S1_PKiPfP15HIP_vector_typeIfLj2EEffffjfiS5_IjLj3EEiiiiiiiiiiiliiliiiiil
                                        ; -- End function
	.section	.AMDGPU.csdata,"",@progbits
; Kernel info:
; codeLenInByte = 86752
; NumSgprs: 104
; NumVgprs: 256
; NumAgprs: 0
; TotalNumVgprs: 256
; ScratchSize: 244
; MemoryBound: 0
; FloatMode: 240
; IeeeMode: 1
; LDSByteSize: 0 bytes/workgroup (compile time only)
; SGPRBlocks: 12
; VGPRBlocks: 31
; NumSGPRsForWavesPerEU: 104
; NumVGPRsForWavesPerEU: 256
; AccumOffset: 256
; Occupancy: 2
; WaveLimiterHint : 1
; COMPUTE_PGM_RSRC2:SCRATCH_EN: 1
; COMPUTE_PGM_RSRC2:USER_SGPR: 6
; COMPUTE_PGM_RSRC2:TRAP_HANDLER: 0
; COMPUTE_PGM_RSRC2:TGID_X_EN: 1
; COMPUTE_PGM_RSRC2:TGID_Y_EN: 0
; COMPUTE_PGM_RSRC2:TGID_Z_EN: 0
; COMPUTE_PGM_RSRC2:TIDIG_COMP_CNT: 1
; COMPUTE_PGM_RSRC3_GFX90A:ACCUM_OFFSET: 63
; COMPUTE_PGM_RSRC3_GFX90A:TG_SPLIT: 0
	.section	.text._ZL33flash_attn_stream_k_fixup_uniformILi256ELi16ELi4EEvPfPK15HIP_vector_typeIfLj2EEiiiiiiS1_IjLj3EES5_S5_,"axG",@progbits,_ZL33flash_attn_stream_k_fixup_uniformILi256ELi16ELi4EEvPfPK15HIP_vector_typeIfLj2EEiiiiiiS1_IjLj3EES5_S5_,comdat
	.globl	_ZL33flash_attn_stream_k_fixup_uniformILi256ELi16ELi4EEvPfPK15HIP_vector_typeIfLj2EEiiiiiiS1_IjLj3EES5_S5_ ; -- Begin function _ZL33flash_attn_stream_k_fixup_uniformILi256ELi16ELi4EEvPfPK15HIP_vector_typeIfLj2EEiiiiiiS1_IjLj3EES5_S5_
	.p2align	8
	.type	_ZL33flash_attn_stream_k_fixup_uniformILi256ELi16ELi4EEvPfPK15HIP_vector_typeIfLj2EEiiiiiiS1_IjLj3EES5_S5_,@function
_ZL33flash_attn_stream_k_fixup_uniformILi256ELi16ELi4EEvPfPK15HIP_vector_typeIfLj2EEiiiiiiS1_IjLj3EES5_S5_: ; @_ZL33flash_attn_stream_k_fixup_uniformILi256ELi16ELi4EEvPfPK15HIP_vector_typeIfLj2EEiiiiiiS1_IjLj3EES5_S5_
; %bb.0:
	s_load_dwordx8 s[12:19], s[4:5], 0x1c
	s_load_dwordx2 s[10:11], s[4:5], 0x10
	s_load_dwordx4 s[0:3], s[4:5], 0x3c
	s_waitcnt lgkmcnt(0)
	s_mul_hi_u32 s9, s15, s6
	s_add_i32 s9, s6, s9
	s_lshr_b32 s9, s9, s16
	s_mul_i32 s15, s9, s17
	s_sub_i32 s15, s6, s15
	s_mul_hi_u32 s16, s15, s18
	s_add_i32 s16, s15, s16
	s_lshr_b32 s16, s16, s19
	s_mul_i32 s0, s16, s0
	s_sub_i32 s0, s15, s0
	;; [unrolled: 5-line block ×3, first 2 shown]
	s_lshl_b32 s0, s17, 4
	s_lshl_b32 s15, s1, 2
	s_add_i32 s0, s0, s7
	s_cmp_lt_i32 s0, s10
	s_cselect_b64 s[0:1], -1, 0
	s_add_i32 s2, s15, s8
	s_cmp_lt_i32 s2, s13
	s_cselect_b64 s[2:3], -1, 0
	s_and_b64 s[0:1], s[0:1], s[2:3]
	s_andn2_b64 vcc, exec, s[0:1]
	s_cbranch_vccnz .LBB31_6
; %bb.1:
	s_load_dwordx4 s[0:3], s[4:5], 0x0
	s_mul_i32 s4, s9, s10
	s_add_i32 s4, s4, s7
	s_mul_i32 s4, s4, s11
	s_mul_i32 s16, s16, s13
	s_add_i32 s4, s4, s8
	s_add_i32 s4, s4, s16
	s_mul_i32 s5, s11, s17
	s_add_i32 s4, s4, s15
	s_lshl_b32 s5, s5, 12
	s_lshl_b32 s4, s4, 8
	s_add_i32 s5, s5, s4
	v_or_b32_e32 v2, s5, v0
	v_ashrrev_i32_e32 v3, 31, v2
	v_lshlrev_b64 v[2:3], 2, v[2:3]
	s_waitcnt lgkmcnt(0)
	v_mov_b32_e32 v1, s1
	v_add_co_u32_e32 v2, vcc, s0, v2
	v_addc_co_u32_e32 v3, vcc, v1, v3, vcc
	global_load_dword v8, v[2:3], off
	s_mul_i32 s9, s6, s14
	s_lshl_b32 s4, s7, 2
	s_add_i32 s11, s9, s14
	s_add_i32 s0, s4, s8
	s_lshl_b32 s1, s11, 6
	s_add_i32 s0, s0, s1
	s_sub_i32 s0, s0, 64
	s_ashr_i32 s1, s0, 31
	s_lshl_b64 s[0:1], s[0:1], 3
	s_add_u32 s0, s2, s0
	s_addc_u32 s1, s3, s1
	s_load_dword s5, s[0:1], 0x4
	s_add_i32 s10, s11, -2
	s_cmp_lt_i32 s10, s9
	s_cbranch_scc1 .LBB31_4
; %bb.2:
	s_lshl_b32 s16, s12, 8
	s_ashr_i32 s17, s16, 31
	s_lshl_b64 s[16:17], s[16:17], 2
	s_add_u32 s10, s2, s16
	s_addc_u32 s13, s3, s17
	s_add_i32 s6, s6, 1
	s_load_dword s0, s[0:1], 0x0
	s_mul_i32 s1, s14, s6
	s_lshl_b32 s7, s7, 10
	s_lshl_b32 s14, s8, 8
	;; [unrolled: 1-line block ×3, first 2 shown]
	s_add_i32 s7, s14, s7
	s_lshl_b32 s1, s1, 6
	s_add_i32 s7, s7, s6
	s_add_i32 s1, s8, s1
	s_lshl_b32 s6, s12, 6
	s_add_i32 s1, s1, s6
	v_or_b32_e32 v0, s7, v0
	s_add_i32 s1, s1, s4
	s_add_i32 s11, s11, -1
	v_add_u32_e32 v0, 0xffff8000, v0
	s_add_i32 s4, s1, 0xffffff80
	s_waitcnt lgkmcnt(0)
	v_mov_b32_e32 v7, s5
	v_mov_b32_e32 v6, s0
	;; [unrolled: 1-line block ×3, first 2 shown]
	s_mov_b32 s6, 0x3fb8aa3b
	s_mov_b32 s7, 0xc2ce8ed0
	;; [unrolled: 1-line block ×3, first 2 shown]
	v_mov_b32_e32 v5, 0x7f800000
	s_mov_b32 s12, 0xc1a00000
.LBB31_3:                               ; =>This Inner Loop Header: Depth=1
	v_ashrrev_i32_e32 v1, 31, v0
	v_lshlrev_b64 v[10:11], 2, v[0:1]
	v_add_co_u32_e32 v10, vcc, s10, v10
	v_addc_co_u32_e32 v11, vcc, v4, v11, vcc
	global_load_dword v1, v[10:11], off
	s_ashr_i32 s5, s4, 31
	s_lshl_b64 s[0:1], s[4:5], 3
	s_add_u32 s0, s2, s0
	s_addc_u32 s1, s3, s1
	s_load_dwordx2 s[14:15], s[0:1], 0x0
	s_waitcnt vmcnt(1)
	v_mov_b32_e32 v9, v8
	v_max_f32_e32 v8, v6, v6
	v_mov_b32_e32 v10, v7
	s_add_i32 s11, s11, -1
	s_waitcnt lgkmcnt(0)
	v_max_f32_e64 v7, s14, s14
	v_max_f32_e32 v7, v8, v7
	v_sub_f32_e32 v11, s14, v7
	v_sub_f32_e32 v8, v6, v7
	v_mul_f32_e32 v12, 0x3fb8aa3b, v11
	v_mov_b32_e32 v6, v7
	v_mul_f32_e32 v7, 0x3fb8aa3b, v8
	v_fma_f32 v15, v11, s6, -v12
	v_rndne_f32_e32 v16, v12
	v_fma_f32 v13, v8, s6, -v7
	v_rndne_f32_e32 v14, v7
	v_fmac_f32_e32 v15, 0x32a5705f, v11
	v_sub_f32_e32 v12, v12, v16
	v_fmac_f32_e32 v13, 0x32a5705f, v8
	v_sub_f32_e32 v7, v7, v14
	v_add_f32_e32 v12, v12, v15
	v_cvt_i32_f32_e32 v16, v16
	v_add_f32_e32 v7, v7, v13
	v_exp_f32_e32 v12, v12
	v_cvt_i32_f32_e32 v14, v14
	v_exp_f32_e32 v7, v7
	v_cmp_ngt_f32_e32 vcc, s7, v11
	v_ldexp_f32 v12, v12, v16
	v_cmp_ngt_f32_e64 s[0:1], s7, v8
	v_ldexp_f32 v7, v7, v14
	v_cndmask_b32_e32 v12, 0, v12, vcc
	v_cmp_nlt_f32_e32 vcc, s8, v11
	v_cndmask_b32_e64 v7, 0, v7, s[0:1]
	v_cmp_nlt_f32_e64 s[0:1], s8, v8
	v_cndmask_b32_e32 v12, v5, v12, vcc
	v_cmp_le_f32_e32 vcc, s12, v11
	v_cndmask_b32_e64 v7, v5, v7, s[0:1]
	v_cmp_le_f32_e64 s[0:1], s12, v8
	v_cndmask_b32_e32 v8, 0, v12, vcc
	s_sub_i32 s4, s4, 64
	v_cndmask_b32_e64 v11, 0, v7, s[0:1]
	v_mul_f32_e32 v7, s15, v8
	v_add_u32_e32 v0, 0xffffc000, v0
	s_cmp_le_i32 s11, s9
	v_fmac_f32_e32 v7, v10, v11
	s_waitcnt vmcnt(0)
	v_mul_f32_e32 v8, v1, v8
	v_fmac_f32_e32 v8, v9, v11
	s_cbranch_scc0 .LBB31_3
	s_branch .LBB31_5
.LBB31_4:
	s_waitcnt lgkmcnt(0)
	v_mov_b32_e32 v7, s5
.LBB31_5:
	s_waitcnt vmcnt(0)
	v_div_scale_f32 v0, s[0:1], v7, v7, v8
	v_rcp_f32_e32 v1, v0
	v_div_scale_f32 v4, vcc, v8, v7, v8
	v_fma_f32 v5, -v0, v1, 1.0
	v_fmac_f32_e32 v1, v5, v1
	v_mul_f32_e32 v5, v4, v1
	v_fma_f32 v6, -v0, v5, v4
	v_fmac_f32_e32 v5, v6, v1
	v_fma_f32 v0, -v0, v5, v4
	v_div_fmas_f32 v0, v0, v1, v5
	v_div_fixup_f32 v0, v0, v7, v8
	global_store_dword v[2:3], v0, off
.LBB31_6:
	s_endpgm
	.section	.rodata,"a",@progbits
	.p2align	6, 0x0
	.amdhsa_kernel _ZL33flash_attn_stream_k_fixup_uniformILi256ELi16ELi4EEvPfPK15HIP_vector_typeIfLj2EEiiiiiiS1_IjLj3EES5_S5_
		.amdhsa_group_segment_fixed_size 0
		.amdhsa_private_segment_fixed_size 0
		.amdhsa_kernarg_size 76
		.amdhsa_user_sgpr_count 6
		.amdhsa_user_sgpr_private_segment_buffer 1
		.amdhsa_user_sgpr_dispatch_ptr 0
		.amdhsa_user_sgpr_queue_ptr 0
		.amdhsa_user_sgpr_kernarg_segment_ptr 1
		.amdhsa_user_sgpr_dispatch_id 0
		.amdhsa_user_sgpr_flat_scratch_init 0
		.amdhsa_user_sgpr_kernarg_preload_length 0
		.amdhsa_user_sgpr_kernarg_preload_offset 0
		.amdhsa_user_sgpr_private_segment_size 0
		.amdhsa_uses_dynamic_stack 0
		.amdhsa_system_sgpr_private_segment_wavefront_offset 0
		.amdhsa_system_sgpr_workgroup_id_x 1
		.amdhsa_system_sgpr_workgroup_id_y 1
		.amdhsa_system_sgpr_workgroup_id_z 1
		.amdhsa_system_sgpr_workgroup_info 0
		.amdhsa_system_vgpr_workitem_id 0
		.amdhsa_next_free_vgpr 17
		.amdhsa_next_free_sgpr 20
		.amdhsa_accum_offset 20
		.amdhsa_reserve_vcc 1
		.amdhsa_reserve_flat_scratch 0
		.amdhsa_float_round_mode_32 0
		.amdhsa_float_round_mode_16_64 0
		.amdhsa_float_denorm_mode_32 3
		.amdhsa_float_denorm_mode_16_64 3
		.amdhsa_dx10_clamp 1
		.amdhsa_ieee_mode 1
		.amdhsa_fp16_overflow 0
		.amdhsa_tg_split 0
		.amdhsa_exception_fp_ieee_invalid_op 0
		.amdhsa_exception_fp_denorm_src 0
		.amdhsa_exception_fp_ieee_div_zero 0
		.amdhsa_exception_fp_ieee_overflow 0
		.amdhsa_exception_fp_ieee_underflow 0
		.amdhsa_exception_fp_ieee_inexact 0
		.amdhsa_exception_int_div_zero 0
	.end_amdhsa_kernel
	.section	.text._ZL33flash_attn_stream_k_fixup_uniformILi256ELi16ELi4EEvPfPK15HIP_vector_typeIfLj2EEiiiiiiS1_IjLj3EES5_S5_,"axG",@progbits,_ZL33flash_attn_stream_k_fixup_uniformILi256ELi16ELi4EEvPfPK15HIP_vector_typeIfLj2EEiiiiiiS1_IjLj3EES5_S5_,comdat
.Lfunc_end31:
	.size	_ZL33flash_attn_stream_k_fixup_uniformILi256ELi16ELi4EEvPfPK15HIP_vector_typeIfLj2EEiiiiiiS1_IjLj3EES5_S5_, .Lfunc_end31-_ZL33flash_attn_stream_k_fixup_uniformILi256ELi16ELi4EEvPfPK15HIP_vector_typeIfLj2EEiiiiiiS1_IjLj3EES5_S5_
                                        ; -- End function
	.section	.AMDGPU.csdata,"",@progbits
; Kernel info:
; codeLenInByte = 860
; NumSgprs: 24
; NumVgprs: 17
; NumAgprs: 0
; TotalNumVgprs: 17
; ScratchSize: 0
; MemoryBound: 0
; FloatMode: 240
; IeeeMode: 1
; LDSByteSize: 0 bytes/workgroup (compile time only)
; SGPRBlocks: 2
; VGPRBlocks: 2
; NumSGPRsForWavesPerEU: 24
; NumVGPRsForWavesPerEU: 17
; AccumOffset: 20
; Occupancy: 8
; WaveLimiterHint : 0
; COMPUTE_PGM_RSRC2:SCRATCH_EN: 0
; COMPUTE_PGM_RSRC2:USER_SGPR: 6
; COMPUTE_PGM_RSRC2:TRAP_HANDLER: 0
; COMPUTE_PGM_RSRC2:TGID_X_EN: 1
; COMPUTE_PGM_RSRC2:TGID_Y_EN: 1
; COMPUTE_PGM_RSRC2:TGID_Z_EN: 1
; COMPUTE_PGM_RSRC2:TIDIG_COMP_CNT: 0
; COMPUTE_PGM_RSRC3_GFX90A:ACCUM_OFFSET: 4
; COMPUTE_PGM_RSRC3_GFX90A:TG_SPLIT: 0
	.section	.text._ZL33flash_attn_stream_k_fixup_generalILi256ELi16ELi4EEvPfPK15HIP_vector_typeIfLj2EEiiiiS1_IjLj3EES5_S5_S5_,"axG",@progbits,_ZL33flash_attn_stream_k_fixup_generalILi256ELi16ELi4EEvPfPK15HIP_vector_typeIfLj2EEiiiiS1_IjLj3EES5_S5_S5_,comdat
	.globl	_ZL33flash_attn_stream_k_fixup_generalILi256ELi16ELi4EEvPfPK15HIP_vector_typeIfLj2EEiiiiS1_IjLj3EES5_S5_S5_ ; -- Begin function _ZL33flash_attn_stream_k_fixup_generalILi256ELi16ELi4EEvPfPK15HIP_vector_typeIfLj2EEiiiiS1_IjLj3EES5_S5_S5_
	.p2align	8
	.type	_ZL33flash_attn_stream_k_fixup_generalILi256ELi16ELi4EEvPfPK15HIP_vector_typeIfLj2EEiiiiS1_IjLj3EES5_S5_S5_,@function
_ZL33flash_attn_stream_k_fixup_generalILi256ELi16ELi4EEvPfPK15HIP_vector_typeIfLj2EEiiiiS1_IjLj3EES5_S5_S5_: ; @_ZL33flash_attn_stream_k_fixup_generalILi256ELi16ELi4EEvPfPK15HIP_vector_typeIfLj2EEiiiiS1_IjLj3EES5_S5_S5_
; %bb.0:
	s_load_dwordx4 s[12:15], s[4:5], 0x10
	s_load_dword s9, s[4:5], 0x50
	s_mov_b32 s2, 0
	s_waitcnt lgkmcnt(0)
	s_mul_hi_i32 s3, s15, s6
	s_cmp_lg_u64 s[2:3], 0
	s_mul_i32 s2, s15, s6
	s_cbranch_scc0 .LBB32_21
; %bb.1:
	v_cvt_f32_u32_e32 v1, s9
	v_cvt_f32_ubyte0_e32 v2, 0
	s_sub_u32 s10, 0, s9
	s_subb_u32 s11, 0, 0
	v_madmk_f32 v1, v2, 0x4f800000, v1
	v_rcp_f32_e32 v1, v1
	v_mul_f32_e32 v1, 0x5f7ffffc, v1
	v_mul_f32_e32 v2, 0x2f800000, v1
	v_trunc_f32_e32 v2, v2
	v_madmk_f32 v1, v2, 0xcf800000, v1
	v_cvt_u32_f32_e32 v2, v2
	v_cvt_u32_f32_e32 v1, v1
	v_readfirstlane_b32 s16, v2
	v_readfirstlane_b32 s17, v1
	s_mul_i32 s18, s10, s16
	s_mul_hi_u32 s20, s10, s17
	s_mul_i32 s19, s11, s17
	s_add_i32 s18, s20, s18
	s_add_i32 s18, s18, s19
	s_mul_i32 s21, s10, s17
	s_mul_hi_u32 s19, s17, s18
	s_mul_i32 s20, s17, s18
	s_mul_hi_u32 s17, s17, s21
	s_add_u32 s17, s17, s20
	s_addc_u32 s19, 0, s19
	s_mul_hi_u32 s22, s16, s21
	s_mul_i32 s21, s16, s21
	s_add_u32 s17, s17, s21
	s_mul_hi_u32 s20, s16, s18
	s_addc_u32 s17, s19, s22
	s_addc_u32 s19, s20, 0
	s_mul_i32 s18, s16, s18
	s_add_u32 s17, s17, s18
	s_addc_u32 s18, 0, s19
	v_add_co_u32_e32 v1, vcc, s17, v1
	s_cmp_lg_u64 vcc, 0
	s_addc_u32 s16, s16, s18
	v_readfirstlane_b32 s18, v1
	s_mul_i32 s17, s10, s16
	s_mul_hi_u32 s19, s10, s18
	s_add_i32 s17, s19, s17
	s_mul_i32 s11, s11, s18
	s_add_i32 s17, s17, s11
	s_mul_i32 s10, s10, s18
	s_mul_hi_u32 s19, s16, s10
	s_mul_i32 s20, s16, s10
	s_mul_i32 s22, s18, s17
	s_mul_hi_u32 s10, s18, s10
	s_mul_hi_u32 s21, s18, s17
	s_add_u32 s10, s10, s22
	s_addc_u32 s18, 0, s21
	s_add_u32 s10, s10, s20
	s_mul_hi_u32 s11, s16, s17
	s_addc_u32 s10, s18, s19
	s_addc_u32 s11, s11, 0
	s_mul_i32 s17, s16, s17
	s_add_u32 s10, s10, s17
	s_addc_u32 s11, 0, s11
	v_add_co_u32_e32 v1, vcc, s10, v1
	s_cmp_lg_u64 vcc, 0
	s_addc_u32 s18, s16, s11
	s_ashr_i32 s10, s3, 31
	s_add_u32 s16, s2, s10
	s_mov_b32 s11, s10
	s_addc_u32 s17, s3, s10
	s_xor_b64 s[16:17], s[16:17], s[10:11]
	v_readfirstlane_b32 s20, v1
	s_mul_i32 s19, s16, s18
	s_mul_hi_u32 s21, s16, s20
	s_mul_hi_u32 s3, s16, s18
	s_add_u32 s19, s21, s19
	s_addc_u32 s3, 0, s3
	s_mul_hi_u32 s22, s17, s20
	s_mul_i32 s20, s17, s20
	s_add_u32 s19, s19, s20
	s_mul_hi_u32 s21, s17, s18
	s_addc_u32 s3, s3, s22
	s_addc_u32 s19, s21, 0
	s_mul_i32 s18, s17, s18
	s_add_u32 s3, s3, s18
	s_addc_u32 s18, 0, s19
	s_add_u32 s19, s3, 1
	s_addc_u32 s20, s18, 0
	s_add_u32 s21, s3, 2
	s_mul_i32 s23, s9, s18
	s_mul_hi_u32 s24, s9, s3
	s_addc_u32 s22, s18, 0
	s_add_i32 s24, s24, s23
	s_mul_i32 s23, s9, s3
	v_mov_b32_e32 v1, s23
	v_sub_co_u32_e32 v1, vcc, s16, v1
	s_cmp_lg_u64 vcc, 0
	s_subb_u32 s16, s17, s24
	v_subrev_co_u32_e32 v2, vcc, s9, v1
	s_cmp_lg_u64 vcc, 0
	s_subb_u32 s17, s16, 0
	v_readfirstlane_b32 s23, v2
	s_cmp_ge_u32 s23, s9
	s_cselect_b32 s23, -1, 0
	s_cmp_eq_u32 s17, 0
	s_cselect_b32 s17, s23, -1
	s_cmp_lg_u32 s17, 0
	s_cselect_b32 s17, s22, s20
	v_readfirstlane_b32 s20, v1
	s_cselect_b32 s19, s21, s19
	s_cmp_ge_u32 s20, s9
	s_cselect_b32 s20, -1, 0
	s_cmp_eq_u32 s16, 0
	s_cselect_b32 s16, s20, -1
	s_cmp_lg_u32 s16, 0
	s_cselect_b32 s17, s17, s18
	s_cselect_b32 s16, s19, s3
	s_xor_b64 s[16:17], s[16:17], s[10:11]
	s_sub_u32 s20, s16, s10
	s_load_dwordx4 s[16:19], s[4:5], 0x44
	s_cbranch_execnz .LBB32_3
.LBB32_2:
	v_cvt_f32_u32_e32 v1, s9
	s_sub_i32 s0, 0, s9
	v_rcp_iflag_f32_e32 v1, v1
	v_mul_f32_e32 v1, 0x4f7ffffe, v1
	v_cvt_u32_f32_e32 v1, v1
	v_readfirstlane_b32 s1, v1
	s_mul_i32 s0, s0, s1
	s_mul_hi_u32 s0, s1, s0
	s_add_i32 s1, s1, s0
	s_mul_hi_u32 s0, s2, s1
	s_mul_i32 s3, s0, s9
	s_sub_i32 s2, s2, s3
	s_add_i32 s1, s0, 1
	s_sub_i32 s3, s2, s9
	s_cmp_ge_u32 s2, s9
	s_cselect_b32 s0, s1, s0
	s_cselect_b32 s2, s3, s2
	s_add_i32 s1, s0, 1
	s_cmp_ge_u32 s2, s9
	s_cselect_b32 s20, s1, s0
.LBB32_3:
	s_add_i32 s0, s6, 1
	s_mul_hi_i32 s3, s15, s0
	s_mov_b32 s2, 0
	s_cmp_lg_u64 s[2:3], 0
	s_mul_i32 s2, s15, s0
	s_cbranch_scc0 .LBB32_22
; %bb.4:
	v_cvt_f32_u32_e32 v1, s9
	v_cvt_f32_ubyte0_e32 v2, 0
	s_sub_u32 s10, 0, s9
	s_subb_u32 s11, 0, 0
	v_madmk_f32 v1, v2, 0x4f800000, v1
	v_rcp_f32_e32 v1, v1
	v_mul_f32_e32 v1, 0x5f7ffffc, v1
	v_mul_f32_e32 v2, 0x2f800000, v1
	v_trunc_f32_e32 v2, v2
	v_madmk_f32 v1, v2, 0xcf800000, v1
	v_cvt_u32_f32_e32 v2, v2
	v_cvt_u32_f32_e32 v1, v1
	s_waitcnt lgkmcnt(0)
	v_readfirstlane_b32 s19, v2
	v_readfirstlane_b32 s21, v1
	s_mul_i32 s22, s10, s19
	s_mul_hi_u32 s24, s10, s21
	s_mul_i32 s23, s11, s21
	s_add_i32 s22, s24, s22
	s_add_i32 s22, s22, s23
	s_mul_i32 s25, s10, s21
	s_mul_hi_u32 s23, s21, s22
	s_mul_i32 s24, s21, s22
	s_mul_hi_u32 s21, s21, s25
	s_add_u32 s21, s21, s24
	s_addc_u32 s23, 0, s23
	s_mul_hi_u32 s26, s19, s25
	s_mul_i32 s25, s19, s25
	s_add_u32 s21, s21, s25
	s_mul_hi_u32 s24, s19, s22
	s_addc_u32 s21, s23, s26
	s_addc_u32 s23, s24, 0
	s_mul_i32 s22, s19, s22
	s_add_u32 s21, s21, s22
	s_addc_u32 s22, 0, s23
	v_add_co_u32_e32 v1, vcc, s21, v1
	s_cmp_lg_u64 vcc, 0
	s_addc_u32 s19, s19, s22
	v_readfirstlane_b32 s22, v1
	s_mul_i32 s21, s10, s19
	s_mul_hi_u32 s23, s10, s22
	s_add_i32 s21, s23, s21
	s_mul_i32 s11, s11, s22
	s_add_i32 s21, s21, s11
	s_mul_i32 s10, s10, s22
	s_mul_hi_u32 s23, s19, s10
	s_mul_i32 s24, s19, s10
	s_mul_i32 s26, s22, s21
	s_mul_hi_u32 s10, s22, s10
	s_mul_hi_u32 s25, s22, s21
	s_add_u32 s10, s10, s26
	s_addc_u32 s22, 0, s25
	s_add_u32 s10, s10, s24
	s_mul_hi_u32 s11, s19, s21
	s_addc_u32 s10, s22, s23
	s_addc_u32 s11, s11, 0
	s_mul_i32 s21, s19, s21
	s_add_u32 s10, s10, s21
	s_addc_u32 s11, 0, s11
	v_add_co_u32_e32 v1, vcc, s10, v1
	s_cmp_lg_u64 vcc, 0
	s_addc_u32 s19, s19, s11
	s_ashr_i32 s10, s3, 31
	s_add_u32 s22, s2, s10
	s_mov_b32 s11, s10
	s_addc_u32 s23, s3, s10
	s_xor_b64 s[22:23], s[22:23], s[10:11]
	v_readfirstlane_b32 s21, v1
	s_mul_i32 s11, s22, s19
	s_mul_hi_u32 s24, s22, s21
	s_mul_hi_u32 s3, s22, s19
	s_add_u32 s11, s24, s11
	s_addc_u32 s3, 0, s3
	s_mul_hi_u32 s25, s23, s21
	s_mul_i32 s21, s23, s21
	s_add_u32 s11, s11, s21
	s_mul_hi_u32 s24, s23, s19
	s_addc_u32 s3, s3, s25
	s_addc_u32 s11, s24, 0
	s_mul_i32 s19, s23, s19
	s_add_u32 s3, s3, s19
	s_addc_u32 s11, 0, s11
	s_mul_i32 s11, s9, s11
	s_mul_hi_u32 s24, s9, s3
	s_add_i32 s24, s24, s11
	s_mul_i32 s11, s9, s3
	v_mov_b32_e32 v1, s11
	s_add_u32 s19, s3, 1
	s_add_u32 s21, s3, 2
	v_sub_co_u32_e32 v1, vcc, s22, v1
	s_cmp_lg_u64 vcc, 0
	s_subb_u32 s11, s23, s24
	v_subrev_co_u32_e32 v2, vcc, s9, v1
	s_cmp_lg_u64 vcc, 0
	s_subb_u32 s22, s11, 0
	v_cmp_le_u32_e32 vcc, s9, v2
	s_cmp_eq_u32 s22, 0
	v_cndmask_b32_e64 v2, 0, -1, vcc
	s_cselect_b64 vcc, -1, 0
	v_cndmask_b32_e32 v2, -1, v2, vcc
	v_mov_b32_e32 v3, s19
	v_mov_b32_e32 v4, s21
	v_cmp_ne_u32_e32 vcc, 0, v2
	v_cndmask_b32_e32 v2, v3, v4, vcc
	v_cmp_le_u32_e32 vcc, s9, v1
	s_cmp_eq_u32 s11, 0
	v_cndmask_b32_e64 v1, 0, -1, vcc
	s_cselect_b64 vcc, -1, 0
	v_cndmask_b32_e32 v1, -1, v1, vcc
	v_mov_b32_e32 v3, s3
	v_cmp_ne_u32_e32 vcc, 0, v1
	v_cndmask_b32_e32 v1, v3, v2, vcc
	v_xor_b32_e32 v1, s10, v1
	v_subrev_co_u32_e32 v2, vcc, s10, v1
	s_cbranch_execnz .LBB32_6
.LBB32_5:
	v_cvt_f32_u32_e32 v1, s9
	s_sub_i32 s0, 0, s9
	s_mov_b32 s1, 0
	v_rcp_iflag_f32_e32 v1, v1
	v_mul_f32_e32 v1, 0x4f7ffffe, v1
	v_cvt_u32_f32_e32 v1, v1
	v_readfirstlane_b32 s3, v1
	s_mul_i32 s0, s0, s3
	s_mul_hi_u32 s0, s3, s0
	s_add_i32 s3, s3, s0
	s_mul_hi_u32 s0, s2, s3
	s_mul_i32 s10, s0, s9
	s_sub_i32 s2, s2, s10
	s_add_i32 s3, s0, 1
	s_sub_i32 s10, s2, s9
	s_cmp_ge_u32 s2, s9
	s_cselect_b32 s0, s3, s0
	s_cselect_b32 s2, s10, s2
	s_add_i32 s3, s0, 1
	s_cmp_ge_u32 s2, s9
	s_cselect_b32 s0, s3, s0
	v_pk_mov_b32 v[2:3], s[0:1], s[0:1] op_sel:[0,1]
.LBB32_6:
	s_waitcnt lgkmcnt(0)
	s_mul_hi_u32 s0, s20, s16
	s_add_i32 s0, s0, s20
	v_mul_hi_u32 v1, v2, s16
	s_lshr_b32 s19, s0, s17
	v_add_u32_e32 v1, v1, v2
	s_mul_i32 s0, s19, s18
	v_lshrrev_b32_e32 v1, s17, v1
	s_cmp_eq_u32 s0, s20
	v_cmp_eq_u32_e64 s[0:1], s19, v1
	v_mul_lo_u32 v1, v1, s18
	v_cmp_eq_u32_e32 vcc, s20, v2
	s_cselect_b64 s[10:11], -1, 0
	v_cmp_ne_u32_e64 s[2:3], v1, v2
	s_and_b64 s[0:1], s[0:1], s[2:3]
	s_or_b64 s[2:3], vcc, s[10:11]
	s_or_b64 s[0:1], s[2:3], s[0:1]
	s_and_b64 vcc, exec, s[0:1]
	s_cbranch_vccnz .LBB32_24
; %bb.7:
	s_load_dwordx8 s[24:31], s[4:5], 0x20
	s_load_dword s0, s[4:5], 0x40
	s_mov_b32 s10, 0
	s_waitcnt lgkmcnt(0)
	s_mul_hi_u32 s1, s20, s24
	s_add_i32 s1, s1, s20
	s_lshr_b32 s11, s1, s25
	s_mul_i32 s1, s11, s26
	s_sub_i32 s1, s20, s1
	s_mul_hi_u32 s2, s1, s27
	s_add_i32 s2, s1, s2
	s_lshr_b32 s24, s2, s28
	s_mul_i32 s2, s24, s29
	s_sub_i32 s1, s1, s2
	;; [unrolled: 5-line block ×3, first 2 shown]
	s_mul_hi_u32 s1, s0, s16
	s_add_i32 s0, s0, s1
	s_lshr_b32 s26, s0, s17
	s_lshl_b32 s0, s26, 4
	s_lshl_b32 s25, s2, 2
	s_add_i32 s0, s0, s7
	s_cmp_lt_i32 s0, s12
	s_cselect_b64 s[0:1], -1, 0
	s_add_i32 s2, s25, s8
	s_cmp_lt_i32 s2, s14
	s_cselect_b64 s[2:3], -1, 0
	s_and_b64 s[0:1], s[0:1], s[2:3]
	s_andn2_b64 vcc, exec, s[0:1]
	s_cbranch_vccnz .LBB32_24
; %bb.8:
	s_load_dwordx4 s[0:3], s[4:5], 0x0
	s_lshl_b32 s21, s7, 2
	s_lshl_b32 s4, s9, 8
	s_mov_b32 s5, s10
	s_add_i32 s21, s21, s8
	s_lshl_b64 s[4:5], s[4:5], 2
	s_waitcnt lgkmcnt(0)
	s_add_u32 s22, s2, s4
	s_mul_i32 s4, s11, s12
	s_addc_u32 s23, s3, s5
	s_add_i32 s4, s4, s7
	s_mul_i32 s4, s4, s13
	s_mul_i32 s24, s24, s14
	s_add_i32 s4, s4, s8
	s_add_i32 s4, s4, s24
	s_mul_i32 s5, s13, s26
	s_add_i32 s4, s4, s25
	s_lshl_b32 s5, s5, 12
	s_lshl_b32 s4, s4, 8
	s_add_i32 s5, s5, s4
	v_or_b32_e32 v2, s5, v0
	v_ashrrev_i32_e32 v3, 31, v2
	v_lshlrev_b64 v[2:3], 2, v[2:3]
	v_mov_b32_e32 v1, s1
	v_add_co_u32_e32 v2, vcc, s0, v2
	v_addc_co_u32_e32 v3, vcc, v1, v3, vcc
	global_load_dword v5, v[2:3], off
	v_lshl_or_b32 v4, s21, 8, v0
	v_cvt_f32_u32_e32 v0, s9
	v_cvt_f32_ubyte0_e32 v1, 0
	s_lshl_b32 s0, s6, 6
	s_add_i32 s0, s21, s0
	v_mac_f32_e32 v0, 0x4f800000, v1
	v_rcp_f32_e32 v0, v0
	v_cvt_f32_u32_e32 v1, s9
	s_ashr_i32 s1, s0, 31
	s_lshl_b64 s[0:1], s[0:1], 3
	v_mul_f32_e32 v0, 0x5f7ffffc, v0
	v_rcp_iflag_f32_e32 v1, v1
	s_add_u32 s0, s2, s0
	v_mul_f32_e32 v9, 0x2f800000, v0
	s_addc_u32 s1, s3, s1
	v_trunc_f32_e32 v10, v9
	s_load_dwordx2 s[0:1], s[0:1], 0x0
	v_mac_f32_e32 v0, 0xcf800000, v10
	v_cvt_u32_f32_e32 v9, v0
	v_mul_f32_e32 v0, 0x4f7ffffe, v1
	v_cvt_u32_f32_e32 v10, v10
	v_cvt_u32_f32_e32 v11, v0
	s_add_i32 s8, s6, -1
	s_waitcnt lgkmcnt(0)
	v_mov_b32_e32 v6, s1
	v_mov_b32_e32 v7, s0
	;; [unrolled: 1-line block ×3, first 2 shown]
	s_mov_b32 s6, 0x3fb8aa3b
	s_mov_b32 s7, 0xc2ce8ed0
	;; [unrolled: 1-line block ×4, first 2 shown]
	v_mov_b32_e32 v12, 0x7f800000
	s_mul_hi_i32 s11, s8, s15
	s_cmp_lg_u64 s[10:11], 0
	s_mul_i32 s4, s8, s15
	s_cbranch_scc0 .LBB32_15
.LBB32_9:
	s_sub_u32 s0, 0, s9
	v_readfirstlane_b32 s5, v9
	v_readfirstlane_b32 s24, v10
	s_subb_u32 s1, 0, 0
	s_mul_hi_u32 s20, s0, s5
	s_mul_i32 s25, s0, s24
	s_mul_i32 s14, s1, s5
	s_add_i32 s20, s20, s25
	s_add_i32 s20, s20, s14
	s_mul_i32 s26, s0, s5
	s_mul_hi_u32 s14, s5, s20
	s_mul_i32 s25, s5, s20
	s_mul_hi_u32 s5, s5, s26
	s_add_u32 s5, s5, s25
	s_addc_u32 s14, 0, s14
	s_mul_hi_u32 s27, s24, s26
	s_mul_i32 s26, s24, s26
	s_add_u32 s5, s5, s26
	s_mul_hi_u32 s25, s24, s20
	s_addc_u32 s5, s14, s27
	s_addc_u32 s14, s25, 0
	s_mul_i32 s20, s24, s20
	s_add_u32 s5, s5, s20
	s_addc_u32 s14, 0, s14
	v_add_co_u32_e32 v0, vcc, s5, v9
	s_cmp_lg_u64 vcc, 0
	s_addc_u32 s5, s24, s14
	v_readfirstlane_b32 s20, v0
	s_mul_i32 s14, s0, s5
	s_mul_hi_u32 s24, s0, s20
	s_add_i32 s14, s24, s14
	s_mul_i32 s1, s1, s20
	s_add_i32 s14, s14, s1
	s_mul_i32 s0, s0, s20
	s_mul_hi_u32 s24, s5, s0
	s_mul_i32 s25, s5, s0
	s_mul_i32 s27, s20, s14
	s_mul_hi_u32 s0, s20, s0
	s_mul_hi_u32 s26, s20, s14
	s_add_u32 s0, s0, s27
	s_addc_u32 s20, 0, s26
	s_add_u32 s0, s0, s25
	s_mul_hi_u32 s1, s5, s14
	s_addc_u32 s0, s20, s24
	s_addc_u32 s1, s1, 0
	s_mul_i32 s14, s5, s14
	s_add_u32 s0, s0, s14
	s_addc_u32 s1, 0, s1
	v_add_co_u32_e32 v0, vcc, s0, v0
	s_cmp_lg_u64 vcc, 0
	s_addc_u32 s5, s5, s1
	s_ashr_i32 s0, s11, 31
	s_add_u32 s24, s4, s0
	s_mov_b32 s1, s0
	s_addc_u32 s25, s11, s0
	s_xor_b64 s[24:25], s[24:25], s[0:1]
	v_readfirstlane_b32 s14, v0
	s_mul_i32 s11, s24, s5
	s_mul_hi_u32 s20, s24, s14
	s_mul_hi_u32 s1, s24, s5
	s_add_u32 s11, s20, s11
	s_addc_u32 s1, 0, s1
	s_mul_hi_u32 s26, s25, s14
	s_mul_i32 s14, s25, s14
	s_add_u32 s11, s11, s14
	s_mul_hi_u32 s20, s25, s5
	s_addc_u32 s1, s1, s26
	s_addc_u32 s11, s20, 0
	s_mul_i32 s5, s25, s5
	s_add_u32 s1, s1, s5
	s_addc_u32 s5, 0, s11
	s_mul_i32 s5, s9, s5
	s_mul_hi_u32 s20, s9, s1
	s_add_i32 s20, s20, s5
	s_mul_i32 s5, s9, s1
	v_mov_b32_e32 v0, s5
	s_add_u32 s11, s1, 1
	s_add_u32 s14, s1, 2
	v_sub_co_u32_e32 v0, vcc, s24, v0
	s_cmp_lg_u64 vcc, 0
	s_subb_u32 s5, s25, s20
	v_subrev_co_u32_e32 v1, vcc, s9, v0
	s_cmp_lg_u64 vcc, 0
	s_subb_u32 s20, s5, 0
	v_cmp_le_u32_e32 vcc, s9, v1
	s_cmp_eq_u32 s20, 0
	v_cndmask_b32_e64 v1, 0, -1, vcc
	s_cselect_b64 vcc, -1, 0
	v_cndmask_b32_e32 v1, -1, v1, vcc
	v_mov_b32_e32 v13, s11
	v_mov_b32_e32 v14, s14
	v_cmp_ne_u32_e32 vcc, 0, v1
	v_cndmask_b32_e32 v1, v13, v14, vcc
	v_cmp_le_u32_e32 vcc, s9, v0
	s_cmp_eq_u32 s5, 0
	v_cndmask_b32_e64 v0, 0, -1, vcc
	s_cselect_b64 vcc, -1, 0
	v_cndmask_b32_e32 v0, -1, v0, vcc
	v_mov_b32_e32 v13, s1
	v_cmp_ne_u32_e32 vcc, 0, v0
	v_cndmask_b32_e32 v0, v13, v1, vcc
	v_xor_b32_e32 v0, s0, v0
	v_subrev_co_u32_e32 v0, vcc, s0, v0
	s_cbranch_execnz .LBB32_11
.LBB32_10:
	s_sub_i32 s0, 0, s9
	v_mul_lo_u32 v0, s0, v11
	v_mul_hi_u32 v0, v11, v0
	v_add_u32_e32 v0, v11, v0
	v_mul_hi_u32 v0, s4, v0
	v_mul_lo_u32 v13, v0, s9
	v_sub_u32_e32 v13, s4, v13
	v_add_u32_e32 v1, 1, v0
	v_subrev_u32_e32 v14, s9, v13
	v_cmp_le_u32_e32 vcc, s9, v13
	v_cndmask_b32_e32 v13, v13, v14, vcc
	v_cndmask_b32_e32 v0, v0, v1, vcc
	v_add_u32_e32 v1, 1, v0
	v_cmp_le_u32_e32 vcc, s9, v13
	v_cndmask_b32_e32 v0, v0, v1, vcc
.LBB32_11:
	v_cmp_ne_u32_e32 vcc, v8, v0
	s_cbranch_vccz .LBB32_14
; %bb.12:
	s_add_i32 s0, s8, s9
	s_lshl_b32 s0, s0, 6
	v_mul_hi_u32 v1, v0, s16
	s_add_i32 s0, s0, s21
	s_mov_b32 s1, s10
	v_add_u32_e32 v1, v1, v0
	s_lshl_b64 s[0:1], s[0:1], 3
	v_lshrrev_b32_e32 v1, s17, v1
	s_add_u32 s4, s2, s0
	v_mul_lo_u32 v13, v1, s18
	s_addc_u32 s5, s3, s1
	v_cmp_eq_u32_e32 vcc, v13, v0
	v_cmp_gt_u32_e64 s[0:1], s19, v1
	s_or_b64 s[0:1], s[0:1], vcc
	s_and_b64 vcc, exec, s[0:1]
	s_cbranch_vccnz .LBB32_16
; %bb.13:
	s_add_i32 s11, s8, -1
	s_mov_b64 s[0:1], 0
	s_branch .LBB32_17
.LBB32_14:
                                        ; implicit-def: $sgpr0_sgpr1
                                        ; implicit-def: $vgpr14
                                        ; implicit-def: $vgpr1
                                        ; implicit-def: $vgpr13
                                        ; implicit-def: $sgpr11
                                        ; implicit-def: $vgpr0
	s_branch .LBB32_18
.LBB32_15:
                                        ; implicit-def: $vgpr0_vgpr1
	s_branch .LBB32_10
.LBB32_16:
	s_mov_b64 s[0:1], -1
	s_mov_b32 s11, s8
	v_mov_b32_e32 v0, v8
.LBB32_17:
	v_lshl_add_u32 v14, s8, 14, v4
	v_ashrrev_i32_e32 v15, 31, v14
	v_lshlrev_b64 v[14:15], 2, v[14:15]
	v_mov_b32_e32 v1, s23
	v_add_co_u32_e32 v14, vcc, s22, v14
	v_addc_co_u32_e32 v15, vcc, v1, v15, vcc
	global_load_dword v14, v[14:15], off
	s_load_dwordx2 s[4:5], s[4:5], 0x0
	v_max_f32_e32 v1, v7, v7
	s_waitcnt lgkmcnt(0)
	v_max_f32_e64 v13, s4, s4
	v_max_f32_e32 v1, v1, v13
	v_sub_f32_e32 v13, v7, v1
	v_sub_f32_e32 v15, s4, v1
	v_mul_f32_e32 v16, 0x3fb8aa3b, v13
	v_mul_f32_e32 v17, 0x3fb8aa3b, v15
	v_fma_f32 v18, v13, s6, -v16
	v_rndne_f32_e32 v19, v16
	v_fma_f32 v20, v15, s6, -v17
	v_rndne_f32_e32 v21, v17
	v_fmac_f32_e32 v18, 0x32a5705f, v13
	v_sub_f32_e32 v16, v16, v19
	v_fmac_f32_e32 v20, 0x32a5705f, v15
	v_sub_f32_e32 v17, v17, v21
	v_add_f32_e32 v16, v16, v18
	v_cvt_i32_f32_e32 v19, v19
	v_add_f32_e32 v17, v17, v20
	v_exp_f32_e32 v16, v16
	v_cvt_i32_f32_e32 v21, v21
	v_exp_f32_e32 v17, v17
	v_cmp_ngt_f32_e32 vcc, s7, v13
	v_ldexp_f32 v16, v16, v19
	v_cndmask_b32_e32 v16, 0, v16, vcc
	v_ldexp_f32 v17, v17, v21
	v_cmp_ngt_f32_e32 vcc, s7, v15
	v_cndmask_b32_e32 v17, 0, v17, vcc
	v_cmp_nlt_f32_e32 vcc, s12, v13
	v_cndmask_b32_e32 v16, v12, v16, vcc
	v_cmp_nlt_f32_e32 vcc, s12, v15
	v_cndmask_b32_e32 v17, v12, v17, vcc
	v_cmp_le_f32_e32 vcc, s13, v13
	v_cndmask_b32_e32 v16, 0, v16, vcc
	v_cmp_le_f32_e32 vcc, s13, v15
	v_cndmask_b32_e32 v15, 0, v17, vcc
	v_mul_f32_e32 v13, s5, v15
	v_fmac_f32_e32 v13, v6, v16
	s_waitcnt vmcnt(0)
	v_mul_f32_e32 v14, v14, v15
	v_fmac_f32_e32 v14, v5, v16
	s_cbranch_execnz .LBB32_19
.LBB32_18:
	s_add_i32 s11, s8, -1
	s_mov_b64 s[0:1], 0
	v_mov_b32_e32 v0, v8
	v_mov_b32_e32 v13, v6
	;; [unrolled: 1-line block ×3, first 2 shown]
	s_waitcnt vmcnt(0)
	v_mov_b32_e32 v14, v5
.LBB32_19:
	s_andn2_b64 vcc, exec, s[0:1]
	s_cbranch_vccz .LBB32_23
; %bb.20:
	v_mov_b32_e32 v8, v0
	s_mov_b32 s8, s11
	v_mov_b32_e32 v6, v13
	v_mov_b32_e32 v7, v1
	s_waitcnt vmcnt(0)
	v_mov_b32_e32 v5, v14
	s_mul_hi_i32 s11, s8, s15
	s_cmp_lg_u64 s[10:11], 0
	s_mul_i32 s4, s8, s15
	s_cbranch_scc1 .LBB32_9
	s_branch .LBB32_15
.LBB32_21:
                                        ; implicit-def: $sgpr20_sgpr21
	s_load_dwordx4 s[16:19], s[4:5], 0x44
	s_branch .LBB32_2
.LBB32_22:
                                        ; implicit-def: $vgpr2_vgpr3
	s_branch .LBB32_5
.LBB32_23:
	v_div_scale_f32 v0, s[0:1], v13, v13, v14
	v_rcp_f32_e32 v1, v0
	v_div_scale_f32 v4, vcc, v14, v13, v14
	s_waitcnt vmcnt(0)
	v_fma_f32 v5, -v0, v1, 1.0
	v_fmac_f32_e32 v1, v5, v1
	v_mul_f32_e32 v5, v4, v1
	v_fma_f32 v6, -v0, v5, v4
	v_fmac_f32_e32 v5, v6, v1
	v_fma_f32 v0, -v0, v5, v4
	v_div_fmas_f32 v0, v0, v1, v5
	v_div_fixup_f32 v0, v0, v13, v14
	global_store_dword v[2:3], v0, off
.LBB32_24:
	s_endpgm
	.section	.rodata,"a",@progbits
	.p2align	6, 0x0
	.amdhsa_kernel _ZL33flash_attn_stream_k_fixup_generalILi256ELi16ELi4EEvPfPK15HIP_vector_typeIfLj2EEiiiiS1_IjLj3EES5_S5_S5_
		.amdhsa_group_segment_fixed_size 0
		.amdhsa_private_segment_fixed_size 0
		.amdhsa_kernarg_size 336
		.amdhsa_user_sgpr_count 6
		.amdhsa_user_sgpr_private_segment_buffer 1
		.amdhsa_user_sgpr_dispatch_ptr 0
		.amdhsa_user_sgpr_queue_ptr 0
		.amdhsa_user_sgpr_kernarg_segment_ptr 1
		.amdhsa_user_sgpr_dispatch_id 0
		.amdhsa_user_sgpr_flat_scratch_init 0
		.amdhsa_user_sgpr_kernarg_preload_length 0
		.amdhsa_user_sgpr_kernarg_preload_offset 0
		.amdhsa_user_sgpr_private_segment_size 0
		.amdhsa_uses_dynamic_stack 0
		.amdhsa_system_sgpr_private_segment_wavefront_offset 0
		.amdhsa_system_sgpr_workgroup_id_x 1
		.amdhsa_system_sgpr_workgroup_id_y 1
		.amdhsa_system_sgpr_workgroup_id_z 1
		.amdhsa_system_sgpr_workgroup_info 0
		.amdhsa_system_vgpr_workitem_id 0
		.amdhsa_next_free_vgpr 22
		.amdhsa_next_free_sgpr 32
		.amdhsa_accum_offset 24
		.amdhsa_reserve_vcc 1
		.amdhsa_reserve_flat_scratch 0
		.amdhsa_float_round_mode_32 0
		.amdhsa_float_round_mode_16_64 0
		.amdhsa_float_denorm_mode_32 3
		.amdhsa_float_denorm_mode_16_64 3
		.amdhsa_dx10_clamp 1
		.amdhsa_ieee_mode 1
		.amdhsa_fp16_overflow 0
		.amdhsa_tg_split 0
		.amdhsa_exception_fp_ieee_invalid_op 0
		.amdhsa_exception_fp_denorm_src 0
		.amdhsa_exception_fp_ieee_div_zero 0
		.amdhsa_exception_fp_ieee_overflow 0
		.amdhsa_exception_fp_ieee_underflow 0
		.amdhsa_exception_fp_ieee_inexact 0
		.amdhsa_exception_int_div_zero 0
	.end_amdhsa_kernel
	.section	.text._ZL33flash_attn_stream_k_fixup_generalILi256ELi16ELi4EEvPfPK15HIP_vector_typeIfLj2EEiiiiS1_IjLj3EES5_S5_S5_,"axG",@progbits,_ZL33flash_attn_stream_k_fixup_generalILi256ELi16ELi4EEvPfPK15HIP_vector_typeIfLj2EEiiiiS1_IjLj3EES5_S5_S5_,comdat
.Lfunc_end32:
	.size	_ZL33flash_attn_stream_k_fixup_generalILi256ELi16ELi4EEvPfPK15HIP_vector_typeIfLj2EEiiiiS1_IjLj3EES5_S5_S5_, .Lfunc_end32-_ZL33flash_attn_stream_k_fixup_generalILi256ELi16ELi4EEvPfPK15HIP_vector_typeIfLj2EEiiiiS1_IjLj3EES5_S5_S5_
                                        ; -- End function
	.section	.AMDGPU.csdata,"",@progbits
; Kernel info:
; codeLenInByte = 2824
; NumSgprs: 36
; NumVgprs: 22
; NumAgprs: 0
; TotalNumVgprs: 22
; ScratchSize: 0
; MemoryBound: 0
; FloatMode: 240
; IeeeMode: 1
; LDSByteSize: 0 bytes/workgroup (compile time only)
; SGPRBlocks: 4
; VGPRBlocks: 2
; NumSGPRsForWavesPerEU: 36
; NumVGPRsForWavesPerEU: 22
; AccumOffset: 24
; Occupancy: 8
; WaveLimiterHint : 0
; COMPUTE_PGM_RSRC2:SCRATCH_EN: 0
; COMPUTE_PGM_RSRC2:USER_SGPR: 6
; COMPUTE_PGM_RSRC2:TRAP_HANDLER: 0
; COMPUTE_PGM_RSRC2:TGID_X_EN: 1
; COMPUTE_PGM_RSRC2:TGID_Y_EN: 1
; COMPUTE_PGM_RSRC2:TGID_Z_EN: 1
; COMPUTE_PGM_RSRC2:TIDIG_COMP_CNT: 0
; COMPUTE_PGM_RSRC3_GFX90A:ACCUM_OFFSET: 5
; COMPUTE_PGM_RSRC3_GFX90A:TG_SPLIT: 0
	.section	.text._ZL26flash_attn_combine_resultsILi256EEvPKfPK15HIP_vector_typeIfLj2EEPfi,"axG",@progbits,_ZL26flash_attn_combine_resultsILi256EEvPKfPK15HIP_vector_typeIfLj2EEPfi,comdat
	.globl	_ZL26flash_attn_combine_resultsILi256EEvPKfPK15HIP_vector_typeIfLj2EEPfi ; -- Begin function _ZL26flash_attn_combine_resultsILi256EEvPKfPK15HIP_vector_typeIfLj2EEPfi
	.p2align	8
	.type	_ZL26flash_attn_combine_resultsILi256EEvPKfPK15HIP_vector_typeIfLj2EEPfi,@function
_ZL26flash_attn_combine_resultsILi256EEvPKfPK15HIP_vector_typeIfLj2EEPfi: ; @_ZL26flash_attn_combine_resultsILi256EEvPKfPK15HIP_vector_typeIfLj2EEPfi
; %bb.0:
	s_load_dwordx2 s[10:11], s[4:5], 0x20
	s_load_dword s17, s[4:5], 0x18
	s_load_dwordx4 s[0:3], s[4:5], 0x0
	s_load_dwordx2 s[14:15], s[4:5], 0x10
	s_waitcnt lgkmcnt(0)
	s_mul_i32 s4, s10, s8
	s_add_i32 s4, s4, s6
	s_mul_i32 s16, s4, s11
	s_add_i32 s16, s16, s7
	s_lshl_b32 s18, s17, 1
	s_mul_i32 s4, s16, s17
	v_cmp_gt_i32_e32 vcc, s18, v0
	s_and_saveexec_b64 s[6:7], vcc
	s_cbranch_execz .LBB33_13
; %bb.1:
	v_xad_u32 v1, v0, -1, s18
	s_movk_i32 s8, 0xff
	s_ashr_i32 s5, s4, 31
	v_cmp_lt_u32_e32 vcc, s8, v1
	s_mov_b64 s[10:11], -1
	v_mov_b32_e32 v2, v0
	s_and_saveexec_b64 s[8:9], vcc
	s_cbranch_execz .LBB33_10
; %bb.2:
	v_lshrrev_b32_e32 v6, 8, v1
	s_lshl_b64 s[10:11], s[4:5], 3
	v_add_u32_e32 v2, -1, v6
	s_add_u32 s19, s2, s10
	v_or_b32_e32 v1, 0x100, v0
	v_lshrrev_b32_e32 v3, 1, v2
	s_addc_u32 s20, s3, s11
	v_add_u32_e32 v7, 1, v3
	v_cmp_lt_u32_e32 vcc, 13, v2
	v_mov_b32_e32 v4, 0
	v_pk_mov_b32 v[2:3], v[0:1], v[0:1] op_sel:[0,1]
	s_and_saveexec_b64 s[10:11], vcc
	s_cbranch_execz .LBB33_6
; %bb.3:
	v_and_b32_e32 v8, -8, v7
	s_mov_b32 s21, 0
	v_lshl_add_u32 v9, v0, 2, 0
	s_mov_b64 s[12:13], 0
	v_mov_b32_e32 v10, s20
	v_mov_b32_e32 v5, 0
	v_pk_mov_b32 v[2:3], v[0:1], v[0:1] op_sel:[0,1]
.LBB33_4:                               ; =>This Inner Loop Header: Depth=1
	v_mov_b32_e32 v4, v2
	v_lshlrev_b64 v[26:27], 2, v[4:5]
	v_add_u32_e32 v12, 0x200, v3
	v_mov_b32_e32 v13, v5
	v_add_co_u32_e32 v26, vcc, s19, v26
	v_lshlrev_b64 v[12:13], 2, v[12:13]
	v_addc_co_u32_e32 v27, vcc, v10, v27, vcc
	v_add_u32_e32 v14, 0x400, v3
	v_mov_b32_e32 v15, v5
	v_add_co_u32_e32 v12, vcc, s19, v12
	v_lshlrev_b64 v[14:15], 2, v[14:15]
	v_addc_co_u32_e32 v13, vcc, v10, v13, vcc
	;; [unrolled: 5-line block ×7, first 2 shown]
	v_mov_b32_e32 v4, v3
	v_add_co_u32_e32 v24, vcc, s19, v24
	v_lshlrev_b64 v[28:29], 2, v[4:5]
	v_addc_co_u32_e32 v25, vcc, v10, v25, vcc
	v_add_u32_e32 v4, 0x200, v2
	v_add_co_u32_e32 v28, vcc, s19, v28
	v_addc_co_u32_e32 v29, vcc, v10, v29, vcc
	global_load_dword v1, v[26:27], off
	v_lshlrev_b64 v[26:27], 2, v[4:5]
	v_add_u32_e32 v4, 0x400, v2
	v_add_co_u32_e32 v26, vcc, s19, v26
	v_addc_co_u32_e32 v27, vcc, v10, v27, vcc
	v_lshlrev_b64 v[30:31], 2, v[4:5]
	v_add_u32_e32 v4, 0x600, v2
	global_load_dword v11, v[28:29], off
	global_load_dword v32, v[26:27], off
	;; [unrolled: 1-line block ×3, first 2 shown]
	v_add_co_u32_e32 v12, vcc, s19, v30
	v_addc_co_u32_e32 v13, vcc, v10, v31, vcc
	v_lshlrev_b64 v[26:27], 2, v[4:5]
	v_add_u32_e32 v4, 0x800, v2
	v_add_co_u32_e32 v26, vcc, s19, v26
	v_addc_co_u32_e32 v27, vcc, v10, v27, vcc
	v_lshlrev_b64 v[28:29], 2, v[4:5]
	v_add_u32_e32 v4, 0xa00, v2
	global_load_dword v30, v[12:13], off
	global_load_dword v31, v[14:15], off
	;; [unrolled: 1-line block ×4, first 2 shown]
	v_add_co_u32_e32 v12, vcc, s19, v28
	v_addc_co_u32_e32 v13, vcc, v10, v29, vcc
	v_lshlrev_b64 v[14:15], 2, v[4:5]
	v_add_u32_e32 v4, 0xc00, v2
	v_add_co_u32_e32 v14, vcc, s19, v14
	v_addc_co_u32_e32 v15, vcc, v10, v15, vcc
	v_lshlrev_b64 v[16:17], 2, v[4:5]
	v_add_u32_e32 v4, 0xe00, v2
	global_load_dword v26, v[12:13], off
	global_load_dword v27, v[18:19], off
	;; [unrolled: 1-line block ×4, first 2 shown]
	v_add_co_u32_e32 v12, vcc, s19, v16
	v_addc_co_u32_e32 v13, vcc, v10, v17, vcc
	v_lshlrev_b64 v[14:15], 2, v[4:5]
	v_add_co_u32_e32 v14, vcc, s19, v14
	v_addc_co_u32_e32 v15, vcc, v10, v15, vcc
	global_load_dword v16, v[12:13], off
	global_load_dword v17, v[22:23], off
	;; [unrolled: 1-line block ×4, first 2 shown]
	v_add_u32_e32 v8, -8, v8
	s_add_i32 s21, s21, 16
	v_cmp_eq_u32_e32 vcc, 0, v8
	v_add_u32_e32 v3, 0x1000, v3
	v_mov_b32_e32 v4, s21
	s_or_b64 s[12:13], vcc, s[12:13]
	v_add_u32_e32 v2, 0x1000, v2
	s_waitcnt vmcnt(14)
	ds_write2st64_b32 v9, v1, v11 offset1:4
	s_waitcnt vmcnt(12)
	ds_write2st64_b32 v9, v32, v33 offset0:8 offset1:12
	s_waitcnt vmcnt(10)
	ds_write2st64_b32 v9, v30, v31 offset0:16 offset1:20
	;; [unrolled: 2-line block ×7, first 2 shown]
	v_add_u32_e32 v9, 0x4000, v9
	s_andn2_b64 exec, exec, s[12:13]
	s_cbranch_execnz .LBB33_4
; %bb.5:
	s_or_b64 exec, exec, s[12:13]
.LBB33_6:
	s_or_b64 exec, exec, s[10:11]
	v_and_b32_e32 v1, 7, v7
	v_cmp_ne_u32_e32 vcc, 0, v1
	s_and_saveexec_b64 s[10:11], vcc
	s_cbranch_execz .LBB33_9
; %bb.7:
	v_lshlrev_b32_e32 v5, 2, v0
	v_lshl_or_b32 v4, v4, 10, v5
	v_add_u32_e32 v7, 0, v4
	s_mov_b64 s[12:13], 0
	v_mov_b32_e32 v8, s20
	v_mov_b32_e32 v5, 0
.LBB33_8:                               ; =>This Inner Loop Header: Depth=1
	v_mov_b32_e32 v4, v2
	v_lshlrev_b64 v[10:11], 2, v[4:5]
	v_mov_b32_e32 v4, v3
	v_add_co_u32_e32 v10, vcc, s19, v10
	v_addc_co_u32_e32 v11, vcc, v8, v11, vcc
	v_lshlrev_b64 v[12:13], 2, v[4:5]
	v_add_co_u32_e32 v12, vcc, s19, v12
	v_addc_co_u32_e32 v13, vcc, v8, v13, vcc
	global_load_dword v4, v[10:11], off
	global_load_dword v9, v[12:13], off
	v_add_u32_e32 v1, -1, v1
	v_cmp_eq_u32_e32 vcc, 0, v1
	v_add_u32_e32 v2, 0x200, v2
	v_add_u32_e32 v3, 0x200, v3
	s_or_b64 s[12:13], vcc, s[12:13]
	s_waitcnt vmcnt(0)
	ds_write2st64_b32 v7, v4, v9 offset1:4
	v_add_u32_e32 v7, 0x800, v7
	s_andn2_b64 exec, exec, s[12:13]
	s_cbranch_execnz .LBB33_8
.LBB33_9:
	s_or_b64 exec, exec, s[10:11]
	v_add_u32_e32 v1, 1, v6
	v_and_b32_e32 v3, 0x1fffffe, v1
	v_cmp_ne_u32_e32 vcc, v1, v3
	v_lshl_or_b32 v2, v3, 8, v0
	s_orn2_b64 s[10:11], vcc, exec
.LBB33_10:
	s_or_b64 exec, exec, s[8:9]
	s_and_b64 exec, exec, s[10:11]
	s_cbranch_execz .LBB33_13
; %bb.11:
	s_lshl_b64 s[8:9], s[4:5], 3
	v_mov_b32_e32 v3, 0
	s_add_u32 s2, s2, s8
	v_lshlrev_b64 v[4:5], 2, v[2:3]
	s_addc_u32 s3, s3, s9
	v_mov_b32_e32 v1, s3
	v_add_co_u32_e32 v4, vcc, s2, v4
	v_addc_co_u32_e32 v5, vcc, v1, v5, vcc
	v_lshl_add_u32 v1, v2, 2, 0
	s_mov_b64 s[2:3], 0
.LBB33_12:                              ; =>This Inner Loop Header: Depth=1
	global_load_dword v3, v[4:5], off
	v_add_co_u32_e32 v4, vcc, 0x400, v4
	v_add_u32_e32 v2, 0x100, v2
	v_addc_co_u32_e32 v5, vcc, 0, v5, vcc
	v_cmp_le_i32_e32 vcc, s18, v2
	s_or_b64 s[2:3], vcc, s[2:3]
	s_waitcnt vmcnt(0)
	ds_write_b32 v1, v3
	v_add_u32_e32 v1, 0x400, v1
	s_andn2_b64 exec, exec, s[2:3]
	s_cbranch_execnz .LBB33_12
.LBB33_13:
	s_or_b64 exec, exec, s[6:7]
	v_mov_b32_e32 v1, 0
	s_waitcnt lgkmcnt(0)
	s_barrier
	ds_read_b32 v1, v1
	s_cmp_lt_i32 s17, 2
	s_cbranch_scc1 .LBB33_21
; %bb.14:
	s_add_i32 s2, s17, -1
	s_add_i32 s3, s17, -2
	s_cmp_lt_u32 s3, 7
	s_cbranch_scc1 .LBB33_18
; %bb.15:
	s_mov_b32 s6, 0
	s_add_i32 s3, 0, 8
	s_and_b32 s5, s2, -8
.LBB33_16:                              ; =>This Inner Loop Header: Depth=1
	v_mov_b32_e32 v8, s3
	ds_read2_b32 v[2:3], v8 offset1:2
	ds_read2_b32 v[4:5], v8 offset0:4 offset1:6
	ds_read2_b32 v[6:7], v8 offset0:8 offset1:10
	;; [unrolled: 1-line block ×3, first 2 shown]
	s_mov_b32 s7, s6
	s_waitcnt lgkmcnt(3)
	v_max3_f32 v1, v1, v2, v3
	s_waitcnt lgkmcnt(2)
	v_max3_f32 v1, v1, v4, v5
	s_add_i32 s3, s3, 64
	s_add_i32 s6, s6, 8
	s_waitcnt lgkmcnt(1)
	v_max3_f32 v1, v1, v6, v7
	s_cmp_eq_u32 s5, s6
	s_waitcnt lgkmcnt(0)
	v_max3_f32 v1, v1, v8, v9
	s_cbranch_scc0 .LBB33_16
; %bb.17:
	s_add_i32 s3, s7, 9
	s_and_b32 s2, s2, 7
	s_cmp_eq_u32 s2, 0
	s_cbranch_scc0 .LBB33_19
	s_branch .LBB33_21
.LBB33_18:
	s_mov_b32 s3, 1
	s_and_b32 s2, s2, 7
	s_cmp_eq_u32 s2, 0
	s_cbranch_scc1 .LBB33_21
.LBB33_19:
	s_lshl_b32 s3, s3, 3
	s_add_i32 s3, s3, 0
.LBB33_20:                              ; =>This Inner Loop Header: Depth=1
	v_mov_b32_e32 v2, s3
	ds_read_b32 v2, v2
	s_waitcnt lgkmcnt(1)
	v_max_f32_e32 v1, v1, v1
	s_add_i32 s3, s3, 8
	s_add_i32 s2, s2, -1
	s_cmp_lg_u32 s2, 0
	s_waitcnt lgkmcnt(0)
	v_max_f32_e32 v2, v2, v2
	v_max_f32_e32 v1, v1, v2
	s_cbranch_scc1 .LBB33_20
.LBB33_21:
	s_cmp_lt_i32 s17, 1
	s_cbranch_scc1 .LBB33_26
; %bb.22:
	s_lshl_b32 s2, s4, 8
	s_ashr_i32 s3, s2, 31
	s_lshl_b64 s[2:3], s[2:3], 2
	s_add_u32 s18, s0, s2
	s_addc_u32 s19, s1, s3
	s_cmp_lt_u32 s17, 8
	v_mov_b32_e32 v6, 0
	s_cbranch_scc1 .LBB33_27
; %bb.23:
	s_and_b32 s20, s17, 0x7ffffff8
	v_or_b32_e32 v2, 0x700, v0
	s_mov_b32 s21, 0
	v_mov_b32_e32 v5, 0
	s_mov_b32 s22, 0x3fb8aa3b
	s_mov_b32 s23, 0xc2ce8ed0
	;; [unrolled: 1-line block ×3, first 2 shown]
	v_mov_b32_e32 v8, 0x7f800000
	v_mov_b32_e32 v9, s19
	s_mov_b32 s25, 0
	v_mov_b32_e32 v7, 0
	v_mov_b32_e32 v6, 0
.LBB33_24:                              ; =>This Inner Loop Header: Depth=1
	v_add_u32_e32 v4, 0xfffff900, v2
	v_lshlrev_b64 v[26:27], 2, v[4:5]
	v_mov_b32_e32 v3, v5
	v_add_co_u32_e32 v26, vcc, s18, v26
	v_lshlrev_b64 v[28:29], 2, v[2:3]
	v_addc_co_u32_e32 v27, vcc, v9, v27, vcc
	v_add_u32_e32 v4, 0xfffffa00, v2
	v_add_co_u32_e32 v28, vcc, s18, v28
	v_mov_b32_e32 v22, s21
	v_lshlrev_b64 v[30:31], 2, v[4:5]
	v_addc_co_u32_e32 v29, vcc, v9, v29, vcc
	ds_read2_b64 v[10:13], v22 offset1:1
	ds_read2_b64 v[14:17], v22 offset0:2 offset1:3
	ds_read2_b64 v[18:21], v22 offset0:4 offset1:5
	;; [unrolled: 1-line block ×3, first 2 shown]
	v_add_u32_e32 v4, 0xfffffb00, v2
	global_load_dword v3, v[26:27], off
	v_add_co_u32_e32 v26, vcc, s18, v30
	v_addc_co_u32_e32 v27, vcc, v9, v31, vcc
	v_lshlrev_b64 v[30:31], 2, v[4:5]
	v_add_u32_e32 v4, 0xfffffc00, v2
	v_add_co_u32_e32 v30, vcc, s18, v30
	v_addc_co_u32_e32 v31, vcc, v9, v31, vcc
	v_lshlrev_b64 v[32:33], 2, v[4:5]
	v_add_u32_e32 v4, 0xfffffd00, v2
	global_load_dword v34, v[26:27], off
	global_load_dword v35, v[30:31], off
	v_add_co_u32_e32 v26, vcc, s18, v32
	v_addc_co_u32_e32 v27, vcc, v9, v33, vcc
	v_lshlrev_b64 v[30:31], 2, v[4:5]
	v_add_u32_e32 v4, 0xfffffe00, v2
	v_add_co_u32_e32 v30, vcc, s18, v30
	v_addc_co_u32_e32 v31, vcc, v9, v31, vcc
	v_lshlrev_b64 v[32:33], 2, v[4:5]
	global_load_dword v36, v[26:27], off
	v_add_u32_e32 v4, 0xffffff00, v2
	global_load_dword v28, v[28:29], off
	v_add_co_u32_e32 v26, vcc, s18, v32
	v_addc_co_u32_e32 v27, vcc, v9, v33, vcc
	global_load_dword v42, v[30:31], off
	s_waitcnt lgkmcnt(3)
	v_sub_f32_e32 v12, v12, v1
	global_load_dword v26, v[26:27], off
	v_lshlrev_b64 v[30:31], 2, v[4:5]
	v_add_co_u32_e32 v30, vcc, s18, v30
	v_addc_co_u32_e32 v31, vcc, v9, v31, vcc
	global_load_dword v30, v[30:31], off
	s_waitcnt lgkmcnt(2)
	v_sub_f32_e32 v14, v14, v1
	v_sub_f32_e32 v10, v10, v1
	v_mul_f32_e32 v38, 0x3fb8aa3b, v12
	v_mul_f32_e32 v39, 0x3fb8aa3b, v14
	s_waitcnt lgkmcnt(1)
	v_sub_f32_e32 v18, v18, v1
	s_waitcnt lgkmcnt(0)
	v_sub_f32_e32 v22, v22, v1
	v_mul_f32_e32 v37, 0x3fb8aa3b, v10
	v_fma_f32 v45, v12, s22, -v38
	v_rndne_f32_e32 v46, v38
	v_fma_f32 v47, v14, s22, -v39
	v_rndne_f32_e32 v48, v39
	v_sub_f32_e32 v16, v16, v1
	v_sub_f32_e32 v20, v20, v1
	v_mul_f32_e32 v41, 0x3fb8aa3b, v18
	v_mul_f32_e32 v32, 0x3fb8aa3b, v22
	v_fma_f32 v33, v10, s22, -v37
	v_rndne_f32_e32 v44, v37
	v_fmac_f32_e32 v45, 0x32a5705f, v12
	v_sub_f32_e32 v38, v38, v46
	v_fmac_f32_e32 v47, 0x32a5705f, v14
	v_sub_f32_e32 v39, v39, v48
	v_mul_f32_e32 v40, 0x3fb8aa3b, v16
	v_mul_f32_e32 v43, 0x3fb8aa3b, v20
	v_fma_f32 v27, v18, s22, -v41
	v_rndne_f32_e32 v31, v41
	v_fmac_f32_e32 v33, 0x32a5705f, v10
	v_sub_f32_e32 v37, v37, v44
	v_add_f32_e32 v38, v38, v45
	v_fma_f32 v45, v22, s22, -v32
	v_add_f32_e32 v39, v39, v47
	v_rndne_f32_e32 v47, v32
	v_fma_f32 v49, v16, s22, -v40
	v_rndne_f32_e32 v50, v40
	v_fma_f32 v29, v20, s22, -v43
	v_add_f32_e32 v33, v37, v33
	v_rndne_f32_e32 v37, v43
	v_fmac_f32_e32 v27, 0x32a5705f, v18
	v_sub_f32_e32 v41, v41, v31
	v_fmac_f32_e32 v45, 0x32a5705f, v22
	v_sub_f32_e32 v32, v32, v47
	;; [unrolled: 2-line block ×3, first 2 shown]
	v_add_f32_e32 v27, v41, v27
	v_cvt_i32_f32_e32 v44, v44
	v_fmac_f32_e32 v29, 0x32a5705f, v20
	v_sub_f32_e32 v43, v43, v37
	v_add_f32_e32 v32, v32, v45
	v_exp_f32_e32 v33, v33
	v_add_f32_e32 v40, v40, v49
	v_cvt_i32_f32_e32 v46, v46
	v_cvt_i32_f32_e32 v31, v31
	;; [unrolled: 1-line block ×3, first 2 shown]
	v_add_f32_e32 v29, v43, v29
	v_exp_f32_e32 v38, v38
	v_exp_f32_e32 v27, v27
	;; [unrolled: 1-line block ×3, first 2 shown]
	v_sub_f32_e32 v24, v24, v1
	v_cvt_i32_f32_e32 v48, v48
	v_cvt_i32_f32_e32 v50, v50
	;; [unrolled: 1-line block ×3, first 2 shown]
	v_exp_f32_e32 v39, v39
	v_exp_f32_e32 v40, v40
	;; [unrolled: 1-line block ×3, first 2 shown]
	v_mul_f32_e32 v4, 0x3fb8aa3b, v24
	v_fma_f32 v49, v24, s22, -v4
	v_rndne_f32_e32 v41, v4
	v_ldexp_f32 v33, v33, v44
	v_cmp_ngt_f32_e64 s[12:13], s23, v10
	v_fmac_f32_e32 v49, 0x32a5705f, v24
	v_sub_f32_e32 v4, v4, v41
	v_ldexp_f32 v38, v38, v46
	v_cmp_ngt_f32_e32 vcc, s23, v12
	v_ldexp_f32 v27, v27, v31
	v_ldexp_f32 v31, v32, v47
	v_cndmask_b32_e64 v32, 0, v33, s[12:13]
	v_cmp_nlt_f32_e64 s[12:13], s24, v10
	v_add_f32_e32 v4, v4, v49
	v_ldexp_f32 v39, v39, v48
	v_cmp_ngt_f32_e64 s[0:1], s23, v14
	v_ldexp_f32 v40, v40, v50
	v_cmp_ngt_f32_e64 s[2:3], s23, v16
	v_cmp_ngt_f32_e64 s[4:5], s23, v18
	v_ldexp_f32 v29, v29, v37
	v_cmp_ngt_f32_e64 s[6:7], s23, v20
	v_cmp_ngt_f32_e64 s[8:9], s23, v22
	v_cndmask_b32_e32 v33, 0, v38, vcc
	v_cmp_nlt_f32_e32 vcc, s24, v12
	v_cndmask_b32_e64 v10, v8, v32, s[12:13]
	v_cvt_i32_f32_e32 v41, v41
	v_exp_f32_e32 v4, v4
	v_cndmask_b32_e64 v12, 0, v39, s[0:1]
	v_cmp_nlt_f32_e64 s[0:1], s24, v14
	v_cndmask_b32_e64 v14, 0, v40, s[2:3]
	v_cmp_nlt_f32_e64 s[2:3], s24, v16
	;; [unrolled: 2-line block ×5, first 2 shown]
	v_cndmask_b32_e32 v22, v8, v33, vcc
	v_fmac_f32_e32 v7, v10, v11
	s_waitcnt vmcnt(7)
	v_fmac_f32_e32 v6, v3, v10
	v_cndmask_b32_e64 v12, v8, v12, s[0:1]
	v_fmac_f32_e32 v7, v22, v13
	s_waitcnt vmcnt(6)
	v_fmac_f32_e32 v6, v34, v22
	v_cndmask_b32_e64 v14, v8, v14, s[2:3]
	;; [unrolled: 4-line block ×3, first 2 shown]
	v_fmac_f32_e32 v7, v14, v17
	s_waitcnt vmcnt(4)
	v_fmac_f32_e32 v6, v36, v14
	v_ldexp_f32 v4, v4, v41
	v_cmp_ngt_f32_e64 s[10:11], s23, v24
	v_cndmask_b32_e64 v18, v8, v18, s[6:7]
	v_fmac_f32_e32 v7, v16, v19
	s_waitcnt vmcnt(2)
	v_fmac_f32_e32 v6, v42, v16
	v_cndmask_b32_e64 v4, 0, v4, s[10:11]
	v_cmp_nlt_f32_e64 s[10:11], s24, v24
	v_cndmask_b32_e64 v20, v8, v20, s[8:9]
	v_fmac_f32_e32 v7, v18, v21
	s_waitcnt vmcnt(1)
	v_fmac_f32_e32 v6, v26, v18
	s_add_i32 s25, s25, 8
	s_add_i32 s21, s21, 64
	v_cndmask_b32_e64 v4, v8, v4, s[10:11]
	v_fmac_f32_e32 v7, v20, v23
	s_waitcnt vmcnt(0)
	v_fmac_f32_e32 v6, v30, v20
	s_cmp_eq_u32 s20, s25
	v_add_u32_e32 v2, 0x800, v2
	v_fmac_f32_e32 v7, v4, v25
	v_fmac_f32_e32 v6, v28, v4
	s_cbranch_scc0 .LBB33_24
; %bb.25:
	s_and_b32 s0, s17, 7
	s_cmp_eq_u32 s0, 0
	s_cbranch_scc0 .LBB33_28
	s_branch .LBB33_30
.LBB33_26:
	s_waitcnt lgkmcnt(0)
	v_mov_b32_e32 v1, 0x7fc00000
	s_branch .LBB33_31
.LBB33_27:
	s_mov_b32 s20, 0
	v_mov_b32_e32 v7, 0
	s_and_b32 s0, s17, 7
	s_cmp_eq_u32 s0, 0
	s_cbranch_scc1 .LBB33_30
.LBB33_28:
	s_lshl_b32 s1, s20, 3
	v_lshl_or_b32 v2, s20, 8, v0
	s_add_i32 s1, s1, 0
	s_mov_b32 s2, 0x3fb8aa3b
	s_mov_b32 s3, 0xc2ce8ed0
	;; [unrolled: 1-line block ×3, first 2 shown]
	v_mov_b32_e32 v4, 0x7f800000
	v_mov_b32_e32 v3, 0
	;; [unrolled: 1-line block ×3, first 2 shown]
.LBB33_29:                              ; =>This Inner Loop Header: Depth=1
	v_lshlrev_b64 v[8:9], 2, v[2:3]
	v_add_co_u32_e32 v8, vcc, s18, v8
	v_addc_co_u32_e32 v9, vcc, v5, v9, vcc
	global_load_dword v10, v[8:9], off
	v_mov_b32_e32 v8, s1
	ds_read_b64 v[8:9], v8
	s_add_i32 s1, s1, 8
	s_add_i32 s0, s0, -1
	v_add_u32_e32 v2, 0x100, v2
	s_cmp_lg_u32 s0, 0
	s_waitcnt lgkmcnt(0)
	v_sub_f32_e32 v8, v8, v1
	v_mul_f32_e32 v11, 0x3fb8aa3b, v8
	v_fma_f32 v12, v8, s2, -v11
	v_rndne_f32_e32 v13, v11
	v_fmac_f32_e32 v12, 0x32a5705f, v8
	v_sub_f32_e32 v11, v11, v13
	v_add_f32_e32 v11, v11, v12
	v_cvt_i32_f32_e32 v13, v13
	v_exp_f32_e32 v11, v11
	v_cmp_ngt_f32_e32 vcc, s3, v8
	v_ldexp_f32 v11, v11, v13
	v_cndmask_b32_e32 v11, 0, v11, vcc
	v_cmp_nlt_f32_e32 vcc, s4, v8
	v_cndmask_b32_e32 v8, v4, v11, vcc
	v_fmac_f32_e32 v7, v8, v9
	s_waitcnt vmcnt(0)
	v_fmac_f32_e32 v6, v10, v8
	s_cbranch_scc1 .LBB33_29
.LBB33_30:
	s_waitcnt lgkmcnt(0)
	v_div_scale_f32 v1, s[0:1], v7, v7, v6
	v_rcp_f32_e32 v2, v1
	v_div_scale_f32 v3, vcc, v6, v7, v6
	v_fma_f32 v4, -v1, v2, 1.0
	v_fmac_f32_e32 v2, v4, v2
	v_mul_f32_e32 v4, v3, v2
	v_fma_f32 v5, -v1, v4, v3
	v_fmac_f32_e32 v4, v5, v2
	v_fma_f32 v1, -v1, v4, v3
	v_div_fmas_f32 v1, v1, v2, v4
	v_div_fixup_f32 v1, v1, v7, v6
.LBB33_31:
	s_lshl_b32 s0, s16, 8
	s_ashr_i32 s1, s0, 31
	s_lshl_b64 s[0:1], s[0:1], 2
	s_add_u32 s0, s14, s0
	s_addc_u32 s1, s15, s1
	v_lshlrev_b32_e32 v0, 2, v0
	global_store_dword v0, v1, s[0:1]
	s_endpgm
	.section	.rodata,"a",@progbits
	.p2align	6, 0x0
	.amdhsa_kernel _ZL26flash_attn_combine_resultsILi256EEvPKfPK15HIP_vector_typeIfLj2EEPfi
		.amdhsa_group_segment_fixed_size 0
		.amdhsa_private_segment_fixed_size 0
		.amdhsa_kernarg_size 288
		.amdhsa_user_sgpr_count 6
		.amdhsa_user_sgpr_private_segment_buffer 1
		.amdhsa_user_sgpr_dispatch_ptr 0
		.amdhsa_user_sgpr_queue_ptr 0
		.amdhsa_user_sgpr_kernarg_segment_ptr 1
		.amdhsa_user_sgpr_dispatch_id 0
		.amdhsa_user_sgpr_flat_scratch_init 0
		.amdhsa_user_sgpr_kernarg_preload_length 0
		.amdhsa_user_sgpr_kernarg_preload_offset 0
		.amdhsa_user_sgpr_private_segment_size 0
		.amdhsa_uses_dynamic_stack 0
		.amdhsa_system_sgpr_private_segment_wavefront_offset 0
		.amdhsa_system_sgpr_workgroup_id_x 1
		.amdhsa_system_sgpr_workgroup_id_y 1
		.amdhsa_system_sgpr_workgroup_id_z 1
		.amdhsa_system_sgpr_workgroup_info 0
		.amdhsa_system_vgpr_workitem_id 0
		.amdhsa_next_free_vgpr 51
		.amdhsa_next_free_sgpr 26
		.amdhsa_accum_offset 52
		.amdhsa_reserve_vcc 1
		.amdhsa_reserve_flat_scratch 0
		.amdhsa_float_round_mode_32 0
		.amdhsa_float_round_mode_16_64 0
		.amdhsa_float_denorm_mode_32 3
		.amdhsa_float_denorm_mode_16_64 3
		.amdhsa_dx10_clamp 1
		.amdhsa_ieee_mode 1
		.amdhsa_fp16_overflow 0
		.amdhsa_tg_split 0
		.amdhsa_exception_fp_ieee_invalid_op 0
		.amdhsa_exception_fp_denorm_src 0
		.amdhsa_exception_fp_ieee_div_zero 0
		.amdhsa_exception_fp_ieee_overflow 0
		.amdhsa_exception_fp_ieee_underflow 0
		.amdhsa_exception_fp_ieee_inexact 0
		.amdhsa_exception_int_div_zero 0
	.end_amdhsa_kernel
	.section	.text._ZL26flash_attn_combine_resultsILi256EEvPKfPK15HIP_vector_typeIfLj2EEPfi,"axG",@progbits,_ZL26flash_attn_combine_resultsILi256EEvPKfPK15HIP_vector_typeIfLj2EEPfi,comdat
.Lfunc_end33:
	.size	_ZL26flash_attn_combine_resultsILi256EEvPKfPK15HIP_vector_typeIfLj2EEPfi, .Lfunc_end33-_ZL26flash_attn_combine_resultsILi256EEvPKfPK15HIP_vector_typeIfLj2EEPfi
                                        ; -- End function
	.section	.AMDGPU.csdata,"",@progbits
; Kernel info:
; codeLenInByte = 3048
; NumSgprs: 30
; NumVgprs: 51
; NumAgprs: 0
; TotalNumVgprs: 51
; ScratchSize: 0
; MemoryBound: 0
; FloatMode: 240
; IeeeMode: 1
; LDSByteSize: 0 bytes/workgroup (compile time only)
; SGPRBlocks: 3
; VGPRBlocks: 6
; NumSGPRsForWavesPerEU: 30
; NumVGPRsForWavesPerEU: 51
; AccumOffset: 52
; Occupancy: 8
; WaveLimiterHint : 0
; COMPUTE_PGM_RSRC2:SCRATCH_EN: 0
; COMPUTE_PGM_RSRC2:USER_SGPR: 6
; COMPUTE_PGM_RSRC2:TRAP_HANDLER: 0
; COMPUTE_PGM_RSRC2:TGID_X_EN: 1
; COMPUTE_PGM_RSRC2:TGID_Y_EN: 1
; COMPUTE_PGM_RSRC2:TGID_Z_EN: 1
; COMPUTE_PGM_RSRC2:TIDIG_COMP_CNT: 0
; COMPUTE_PGM_RSRC3_GFX90A:ACCUM_OFFSET: 12
; COMPUTE_PGM_RSRC3_GFX90A:TG_SPLIT: 0
	.section	.text._ZL18flash_attn_ext_f16ILi512ELi512ELi16ELi4ELb0ELb0EEvPKcS1_S1_S1_S1_PKiPfP15HIP_vector_typeIfLj2EEffffjfiS5_IjLj3EEiiiiiiiiiiiliiliiiiil,"axG",@progbits,_ZL18flash_attn_ext_f16ILi512ELi512ELi16ELi4ELb0ELb0EEvPKcS1_S1_S1_S1_PKiPfP15HIP_vector_typeIfLj2EEffffjfiS5_IjLj3EEiiiiiiiiiiiliiliiiiil,comdat
	.globl	_ZL18flash_attn_ext_f16ILi512ELi512ELi16ELi4ELb0ELb0EEvPKcS1_S1_S1_S1_PKiPfP15HIP_vector_typeIfLj2EEffffjfiS5_IjLj3EEiiiiiiiiiiiliiliiiiil ; -- Begin function _ZL18flash_attn_ext_f16ILi512ELi512ELi16ELi4ELb0ELb0EEvPKcS1_S1_S1_S1_PKiPfP15HIP_vector_typeIfLj2EEffffjfiS5_IjLj3EEiiiiiiiiiiiliiliiiiil
	.p2align	8
	.type	_ZL18flash_attn_ext_f16ILi512ELi512ELi16ELi4ELb0ELb0EEvPKcS1_S1_S1_S1_PKiPfP15HIP_vector_typeIfLj2EEffffjfiS5_IjLj3EEiiiiiiiiiiiliiliiiiil,@function
_ZL18flash_attn_ext_f16ILi512ELi512ELi16ELi4ELb0ELb0EEvPKcS1_S1_S1_S1_PKiPfP15HIP_vector_typeIfLj2EEffffjfiS5_IjLj3EEiiiiiiiiiiiliiliiiiil: ; @_ZL18flash_attn_ext_f16ILi512ELi512ELi16ELi4ELb0ELb0EEvPKcS1_S1_S1_S1_PKiPfP15HIP_vector_typeIfLj2EEffffjfiS5_IjLj3EEiiiiiiiiiiiliiliiiiil
; %bb.0:
	s_add_u32 flat_scratch_lo, s6, s9
	s_addc_u32 flat_scratch_hi, s7, 0
	s_add_u32 s0, s0, s9
	s_addc_u32 s1, s1, 0
	s_add_u32 s8, s4, 0xd0
	s_addc_u32 s9, s5, 0
	v_mov_b32_e32 v0, 0x6ea
	s_mov_b32 s32, 0
	s_getpc_b64 s[4:5]
	s_add_u32 s4, s4, _ZL14no_device_codePKciS0_iS0_@rel32@lo+4
	s_addc_u32 s5, s5, _ZL14no_device_codePKciS0_iS0_@rel32@hi+12
	s_swappc_b64 s[30:31], s[4:5]
	.section	.rodata,"a",@progbits
	.p2align	6, 0x0
	.amdhsa_kernel _ZL18flash_attn_ext_f16ILi512ELi512ELi16ELi4ELb0ELb0EEvPKcS1_S1_S1_S1_PKiPfP15HIP_vector_typeIfLj2EEffffjfiS5_IjLj3EEiiiiiiiiiiiliiliiiiil
		.amdhsa_group_segment_fixed_size 0
		.amdhsa_private_segment_fixed_size 16
		.amdhsa_kernarg_size 464
		.amdhsa_user_sgpr_count 8
		.amdhsa_user_sgpr_private_segment_buffer 1
		.amdhsa_user_sgpr_dispatch_ptr 0
		.amdhsa_user_sgpr_queue_ptr 0
		.amdhsa_user_sgpr_kernarg_segment_ptr 1
		.amdhsa_user_sgpr_dispatch_id 0
		.amdhsa_user_sgpr_flat_scratch_init 1
		.amdhsa_user_sgpr_kernarg_preload_length 0
		.amdhsa_user_sgpr_kernarg_preload_offset 0
		.amdhsa_user_sgpr_private_segment_size 0
		.amdhsa_uses_dynamic_stack 0
		.amdhsa_system_sgpr_private_segment_wavefront_offset 1
		.amdhsa_system_sgpr_workgroup_id_x 1
		.amdhsa_system_sgpr_workgroup_id_y 0
		.amdhsa_system_sgpr_workgroup_id_z 0
		.amdhsa_system_sgpr_workgroup_info 0
		.amdhsa_system_vgpr_workitem_id 0
		.amdhsa_next_free_vgpr 39
		.amdhsa_next_free_sgpr 34
		.amdhsa_accum_offset 40
		.amdhsa_reserve_vcc 1
		.amdhsa_reserve_flat_scratch 1
		.amdhsa_float_round_mode_32 0
		.amdhsa_float_round_mode_16_64 0
		.amdhsa_float_denorm_mode_32 3
		.amdhsa_float_denorm_mode_16_64 3
		.amdhsa_dx10_clamp 1
		.amdhsa_ieee_mode 1
		.amdhsa_fp16_overflow 0
		.amdhsa_tg_split 0
		.amdhsa_exception_fp_ieee_invalid_op 0
		.amdhsa_exception_fp_denorm_src 0
		.amdhsa_exception_fp_ieee_div_zero 0
		.amdhsa_exception_fp_ieee_overflow 0
		.amdhsa_exception_fp_ieee_underflow 0
		.amdhsa_exception_fp_ieee_inexact 0
		.amdhsa_exception_int_div_zero 0
	.end_amdhsa_kernel
	.section	.text._ZL18flash_attn_ext_f16ILi512ELi512ELi16ELi4ELb0ELb0EEvPKcS1_S1_S1_S1_PKiPfP15HIP_vector_typeIfLj2EEffffjfiS5_IjLj3EEiiiiiiiiiiiliiliiiiil,"axG",@progbits,_ZL18flash_attn_ext_f16ILi512ELi512ELi16ELi4ELb0ELb0EEvPKcS1_S1_S1_S1_PKiPfP15HIP_vector_typeIfLj2EEffffjfiS5_IjLj3EEiiiiiiiiiiiliiliiiiil,comdat
.Lfunc_end34:
	.size	_ZL18flash_attn_ext_f16ILi512ELi512ELi16ELi4ELb0ELb0EEvPKcS1_S1_S1_S1_PKiPfP15HIP_vector_typeIfLj2EEffffjfiS5_IjLj3EEiiiiiiiiiiiliiliiiiil, .Lfunc_end34-_ZL18flash_attn_ext_f16ILi512ELi512ELi16ELi4ELb0ELb0EEvPKcS1_S1_S1_S1_PKiPfP15HIP_vector_typeIfLj2EEffffjfiS5_IjLj3EEiiiiiiiiiiiliiliiiiil
                                        ; -- End function
	.section	.AMDGPU.csdata,"",@progbits
; Kernel info:
; codeLenInByte = 64
; NumSgprs: 40
; NumVgprs: 39
; NumAgprs: 0
; TotalNumVgprs: 39
; ScratchSize: 16
; MemoryBound: 0
; FloatMode: 240
; IeeeMode: 1
; LDSByteSize: 0 bytes/workgroup (compile time only)
; SGPRBlocks: 4
; VGPRBlocks: 4
; NumSGPRsForWavesPerEU: 40
; NumVGPRsForWavesPerEU: 39
; AccumOffset: 40
; Occupancy: 8
; WaveLimiterHint : 1
; COMPUTE_PGM_RSRC2:SCRATCH_EN: 1
; COMPUTE_PGM_RSRC2:USER_SGPR: 8
; COMPUTE_PGM_RSRC2:TRAP_HANDLER: 0
; COMPUTE_PGM_RSRC2:TGID_X_EN: 1
; COMPUTE_PGM_RSRC2:TGID_Y_EN: 0
; COMPUTE_PGM_RSRC2:TGID_Z_EN: 0
; COMPUTE_PGM_RSRC2:TIDIG_COMP_CNT: 0
; COMPUTE_PGM_RSRC3_GFX90A:ACCUM_OFFSET: 9
; COMPUTE_PGM_RSRC3_GFX90A:TG_SPLIT: 0
	.section	.text._ZL18flash_attn_ext_f16ILi512ELi512ELi16ELi4ELb1ELb0EEvPKcS1_S1_S1_S1_PKiPfP15HIP_vector_typeIfLj2EEffffjfiS5_IjLj3EEiiiiiiiiiiiliiliiiiil,"axG",@progbits,_ZL18flash_attn_ext_f16ILi512ELi512ELi16ELi4ELb1ELb0EEvPKcS1_S1_S1_S1_PKiPfP15HIP_vector_typeIfLj2EEffffjfiS5_IjLj3EEiiiiiiiiiiiliiliiiiil,comdat
	.globl	_ZL18flash_attn_ext_f16ILi512ELi512ELi16ELi4ELb1ELb0EEvPKcS1_S1_S1_S1_PKiPfP15HIP_vector_typeIfLj2EEffffjfiS5_IjLj3EEiiiiiiiiiiiliiliiiiil ; -- Begin function _ZL18flash_attn_ext_f16ILi512ELi512ELi16ELi4ELb1ELb0EEvPKcS1_S1_S1_S1_PKiPfP15HIP_vector_typeIfLj2EEffffjfiS5_IjLj3EEiiiiiiiiiiiliiliiiiil
	.p2align	8
	.type	_ZL18flash_attn_ext_f16ILi512ELi512ELi16ELi4ELb1ELb0EEvPKcS1_S1_S1_S1_PKiPfP15HIP_vector_typeIfLj2EEffffjfiS5_IjLj3EEiiiiiiiiiiiliiliiiiil,@function
_ZL18flash_attn_ext_f16ILi512ELi512ELi16ELi4ELb1ELb0EEvPKcS1_S1_S1_S1_PKiPfP15HIP_vector_typeIfLj2EEffffjfiS5_IjLj3EEiiiiiiiiiiiliiliiiiil: ; @_ZL18flash_attn_ext_f16ILi512ELi512ELi16ELi4ELb1ELb0EEvPKcS1_S1_S1_S1_PKiPfP15HIP_vector_typeIfLj2EEffffjfiS5_IjLj3EEiiiiiiiiiiiliiliiiiil
; %bb.0:
	s_add_u32 flat_scratch_lo, s6, s9
	s_addc_u32 flat_scratch_hi, s7, 0
	s_add_u32 s0, s0, s9
	s_addc_u32 s1, s1, 0
	s_add_u32 s8, s4, 0xd0
	s_addc_u32 s9, s5, 0
	v_mov_b32_e32 v0, 0x6ea
	s_mov_b32 s32, 0
	s_getpc_b64 s[4:5]
	s_add_u32 s4, s4, _ZL14no_device_codePKciS0_iS0_@rel32@lo+4
	s_addc_u32 s5, s5, _ZL14no_device_codePKciS0_iS0_@rel32@hi+12
	s_swappc_b64 s[30:31], s[4:5]
	.section	.rodata,"a",@progbits
	.p2align	6, 0x0
	.amdhsa_kernel _ZL18flash_attn_ext_f16ILi512ELi512ELi16ELi4ELb1ELb0EEvPKcS1_S1_S1_S1_PKiPfP15HIP_vector_typeIfLj2EEffffjfiS5_IjLj3EEiiiiiiiiiiiliiliiiiil
		.amdhsa_group_segment_fixed_size 0
		.amdhsa_private_segment_fixed_size 16
		.amdhsa_kernarg_size 464
		.amdhsa_user_sgpr_count 8
		.amdhsa_user_sgpr_private_segment_buffer 1
		.amdhsa_user_sgpr_dispatch_ptr 0
		.amdhsa_user_sgpr_queue_ptr 0
		.amdhsa_user_sgpr_kernarg_segment_ptr 1
		.amdhsa_user_sgpr_dispatch_id 0
		.amdhsa_user_sgpr_flat_scratch_init 1
		.amdhsa_user_sgpr_kernarg_preload_length 0
		.amdhsa_user_sgpr_kernarg_preload_offset 0
		.amdhsa_user_sgpr_private_segment_size 0
		.amdhsa_uses_dynamic_stack 0
		.amdhsa_system_sgpr_private_segment_wavefront_offset 1
		.amdhsa_system_sgpr_workgroup_id_x 1
		.amdhsa_system_sgpr_workgroup_id_y 0
		.amdhsa_system_sgpr_workgroup_id_z 0
		.amdhsa_system_sgpr_workgroup_info 0
		.amdhsa_system_vgpr_workitem_id 0
		.amdhsa_next_free_vgpr 39
		.amdhsa_next_free_sgpr 34
		.amdhsa_accum_offset 40
		.amdhsa_reserve_vcc 1
		.amdhsa_reserve_flat_scratch 1
		.amdhsa_float_round_mode_32 0
		.amdhsa_float_round_mode_16_64 0
		.amdhsa_float_denorm_mode_32 3
		.amdhsa_float_denorm_mode_16_64 3
		.amdhsa_dx10_clamp 1
		.amdhsa_ieee_mode 1
		.amdhsa_fp16_overflow 0
		.amdhsa_tg_split 0
		.amdhsa_exception_fp_ieee_invalid_op 0
		.amdhsa_exception_fp_denorm_src 0
		.amdhsa_exception_fp_ieee_div_zero 0
		.amdhsa_exception_fp_ieee_overflow 0
		.amdhsa_exception_fp_ieee_underflow 0
		.amdhsa_exception_fp_ieee_inexact 0
		.amdhsa_exception_int_div_zero 0
	.end_amdhsa_kernel
	.section	.text._ZL18flash_attn_ext_f16ILi512ELi512ELi16ELi4ELb1ELb0EEvPKcS1_S1_S1_S1_PKiPfP15HIP_vector_typeIfLj2EEffffjfiS5_IjLj3EEiiiiiiiiiiiliiliiiiil,"axG",@progbits,_ZL18flash_attn_ext_f16ILi512ELi512ELi16ELi4ELb1ELb0EEvPKcS1_S1_S1_S1_PKiPfP15HIP_vector_typeIfLj2EEffffjfiS5_IjLj3EEiiiiiiiiiiiliiliiiiil,comdat
.Lfunc_end35:
	.size	_ZL18flash_attn_ext_f16ILi512ELi512ELi16ELi4ELb1ELb0EEvPKcS1_S1_S1_S1_PKiPfP15HIP_vector_typeIfLj2EEffffjfiS5_IjLj3EEiiiiiiiiiiiliiliiiiil, .Lfunc_end35-_ZL18flash_attn_ext_f16ILi512ELi512ELi16ELi4ELb1ELb0EEvPKcS1_S1_S1_S1_PKiPfP15HIP_vector_typeIfLj2EEffffjfiS5_IjLj3EEiiiiiiiiiiiliiliiiiil
                                        ; -- End function
	.section	.AMDGPU.csdata,"",@progbits
; Kernel info:
; codeLenInByte = 64
; NumSgprs: 40
; NumVgprs: 39
; NumAgprs: 0
; TotalNumVgprs: 39
; ScratchSize: 16
; MemoryBound: 0
; FloatMode: 240
; IeeeMode: 1
; LDSByteSize: 0 bytes/workgroup (compile time only)
; SGPRBlocks: 4
; VGPRBlocks: 4
; NumSGPRsForWavesPerEU: 40
; NumVGPRsForWavesPerEU: 39
; AccumOffset: 40
; Occupancy: 8
; WaveLimiterHint : 1
; COMPUTE_PGM_RSRC2:SCRATCH_EN: 1
; COMPUTE_PGM_RSRC2:USER_SGPR: 8
; COMPUTE_PGM_RSRC2:TRAP_HANDLER: 0
; COMPUTE_PGM_RSRC2:TGID_X_EN: 1
; COMPUTE_PGM_RSRC2:TGID_Y_EN: 0
; COMPUTE_PGM_RSRC2:TGID_Z_EN: 0
; COMPUTE_PGM_RSRC2:TIDIG_COMP_CNT: 0
; COMPUTE_PGM_RSRC3_GFX90A:ACCUM_OFFSET: 9
; COMPUTE_PGM_RSRC3_GFX90A:TG_SPLIT: 0
	.section	.text._ZL33flash_attn_stream_k_fixup_uniformILi512ELi16ELi4EEvPfPK15HIP_vector_typeIfLj2EEiiiiiiS1_IjLj3EES5_S5_,"axG",@progbits,_ZL33flash_attn_stream_k_fixup_uniformILi512ELi16ELi4EEvPfPK15HIP_vector_typeIfLj2EEiiiiiiS1_IjLj3EES5_S5_,comdat
	.globl	_ZL33flash_attn_stream_k_fixup_uniformILi512ELi16ELi4EEvPfPK15HIP_vector_typeIfLj2EEiiiiiiS1_IjLj3EES5_S5_ ; -- Begin function _ZL33flash_attn_stream_k_fixup_uniformILi512ELi16ELi4EEvPfPK15HIP_vector_typeIfLj2EEiiiiiiS1_IjLj3EES5_S5_
	.p2align	8
	.type	_ZL33flash_attn_stream_k_fixup_uniformILi512ELi16ELi4EEvPfPK15HIP_vector_typeIfLj2EEiiiiiiS1_IjLj3EES5_S5_,@function
_ZL33flash_attn_stream_k_fixup_uniformILi512ELi16ELi4EEvPfPK15HIP_vector_typeIfLj2EEiiiiiiS1_IjLj3EES5_S5_: ; @_ZL33flash_attn_stream_k_fixup_uniformILi512ELi16ELi4EEvPfPK15HIP_vector_typeIfLj2EEiiiiiiS1_IjLj3EES5_S5_
; %bb.0:
	s_load_dwordx8 s[12:19], s[4:5], 0x1c
	s_load_dwordx2 s[10:11], s[4:5], 0x10
	s_load_dwordx4 s[0:3], s[4:5], 0x3c
	s_waitcnt lgkmcnt(0)
	s_mul_hi_u32 s9, s15, s6
	s_add_i32 s9, s6, s9
	s_lshr_b32 s9, s9, s16
	s_mul_i32 s15, s9, s17
	s_sub_i32 s15, s6, s15
	s_mul_hi_u32 s16, s15, s18
	s_add_i32 s16, s15, s16
	s_lshr_b32 s16, s16, s19
	s_mul_i32 s0, s16, s0
	s_sub_i32 s0, s15, s0
	;; [unrolled: 5-line block ×3, first 2 shown]
	s_lshl_b32 s0, s17, 4
	s_lshl_b32 s15, s1, 2
	s_add_i32 s0, s0, s7
	s_cmp_lt_i32 s0, s10
	s_cselect_b64 s[0:1], -1, 0
	s_add_i32 s2, s15, s8
	s_cmp_lt_i32 s2, s13
	s_cselect_b64 s[2:3], -1, 0
	s_and_b64 s[0:1], s[0:1], s[2:3]
	s_andn2_b64 vcc, exec, s[0:1]
	s_cbranch_vccnz .LBB36_6
; %bb.1:
	s_load_dwordx4 s[0:3], s[4:5], 0x0
	s_mul_i32 s4, s9, s10
	s_add_i32 s4, s4, s7
	s_mul_i32 s4, s4, s11
	s_mul_i32 s16, s16, s13
	s_add_i32 s4, s4, s8
	s_add_i32 s4, s4, s16
	s_mul_i32 s5, s11, s17
	s_add_i32 s4, s4, s15
	s_lshl_b32 s5, s5, 13
	s_lshl_b32 s4, s4, 9
	s_add_i32 s5, s5, s4
	v_or_b32_e32 v2, s5, v0
	v_ashrrev_i32_e32 v3, 31, v2
	v_lshlrev_b64 v[2:3], 2, v[2:3]
	s_waitcnt lgkmcnt(0)
	v_mov_b32_e32 v1, s1
	v_add_co_u32_e32 v2, vcc, s0, v2
	v_addc_co_u32_e32 v3, vcc, v1, v3, vcc
	global_load_dword v8, v[2:3], off
	s_mul_i32 s9, s6, s14
	s_lshl_b32 s4, s7, 2
	s_add_i32 s11, s9, s14
	s_add_i32 s0, s4, s8
	s_lshl_b32 s1, s11, 6
	s_add_i32 s0, s0, s1
	s_sub_i32 s0, s0, 64
	s_ashr_i32 s1, s0, 31
	s_lshl_b64 s[0:1], s[0:1], 3
	s_add_u32 s0, s2, s0
	s_addc_u32 s1, s3, s1
	s_load_dword s5, s[0:1], 0x4
	s_add_i32 s10, s11, -2
	s_cmp_lt_i32 s10, s9
	s_cbranch_scc1 .LBB36_4
; %bb.2:
	s_lshl_b32 s16, s12, 8
	s_ashr_i32 s17, s16, 31
	s_lshl_b64 s[16:17], s[16:17], 2
	s_add_u32 s10, s2, s16
	s_addc_u32 s13, s3, s17
	s_add_i32 s6, s6, 1
	s_load_dword s0, s[0:1], 0x0
	s_mul_i32 s1, s14, s6
	s_lshl_b32 s7, s7, 11
	s_lshl_b32 s14, s8, 9
	;; [unrolled: 1-line block ×3, first 2 shown]
	s_add_i32 s7, s14, s7
	s_lshl_b32 s1, s1, 6
	s_add_i32 s7, s7, s6
	s_add_i32 s1, s8, s1
	s_lshl_b32 s6, s12, 6
	s_add_i32 s1, s1, s6
	v_or_b32_e32 v0, s7, v0
	s_add_i32 s1, s1, s4
	s_add_i32 s11, s11, -1
	v_add_u32_e32 v0, 0xffff0000, v0
	s_add_i32 s4, s1, 0xffffff80
	s_waitcnt lgkmcnt(0)
	v_mov_b32_e32 v7, s5
	v_mov_b32_e32 v6, s0
	;; [unrolled: 1-line block ×3, first 2 shown]
	s_mov_b32 s6, 0x3fb8aa3b
	s_mov_b32 s7, 0xc2ce8ed0
	s_mov_b32 s8, 0x42b17218
	v_mov_b32_e32 v5, 0x7f800000
	s_mov_b32 s12, 0xc1a00000
.LBB36_3:                               ; =>This Inner Loop Header: Depth=1
	v_ashrrev_i32_e32 v1, 31, v0
	v_lshlrev_b64 v[10:11], 2, v[0:1]
	v_add_co_u32_e32 v10, vcc, s10, v10
	v_addc_co_u32_e32 v11, vcc, v4, v11, vcc
	global_load_dword v1, v[10:11], off
	s_ashr_i32 s5, s4, 31
	s_lshl_b64 s[0:1], s[4:5], 3
	s_add_u32 s0, s2, s0
	s_addc_u32 s1, s3, s1
	s_load_dwordx2 s[14:15], s[0:1], 0x0
	s_waitcnt vmcnt(1)
	v_mov_b32_e32 v9, v8
	v_max_f32_e32 v8, v6, v6
	v_mov_b32_e32 v10, v7
	s_add_i32 s11, s11, -1
	s_waitcnt lgkmcnt(0)
	v_max_f32_e64 v7, s14, s14
	v_max_f32_e32 v7, v8, v7
	v_sub_f32_e32 v11, s14, v7
	v_sub_f32_e32 v8, v6, v7
	v_mul_f32_e32 v12, 0x3fb8aa3b, v11
	v_mov_b32_e32 v6, v7
	v_mul_f32_e32 v7, 0x3fb8aa3b, v8
	v_fma_f32 v15, v11, s6, -v12
	v_rndne_f32_e32 v16, v12
	v_fma_f32 v13, v8, s6, -v7
	v_rndne_f32_e32 v14, v7
	v_fmac_f32_e32 v15, 0x32a5705f, v11
	v_sub_f32_e32 v12, v12, v16
	v_fmac_f32_e32 v13, 0x32a5705f, v8
	v_sub_f32_e32 v7, v7, v14
	v_add_f32_e32 v12, v12, v15
	v_cvt_i32_f32_e32 v16, v16
	v_add_f32_e32 v7, v7, v13
	v_exp_f32_e32 v12, v12
	v_cvt_i32_f32_e32 v14, v14
	v_exp_f32_e32 v7, v7
	v_cmp_ngt_f32_e32 vcc, s7, v11
	v_ldexp_f32 v12, v12, v16
	v_cmp_ngt_f32_e64 s[0:1], s7, v8
	v_ldexp_f32 v7, v7, v14
	v_cndmask_b32_e32 v12, 0, v12, vcc
	v_cmp_nlt_f32_e32 vcc, s8, v11
	v_cndmask_b32_e64 v7, 0, v7, s[0:1]
	v_cmp_nlt_f32_e64 s[0:1], s8, v8
	v_cndmask_b32_e32 v12, v5, v12, vcc
	v_cmp_le_f32_e32 vcc, s12, v11
	v_cndmask_b32_e64 v7, v5, v7, s[0:1]
	v_cmp_le_f32_e64 s[0:1], s12, v8
	v_cndmask_b32_e32 v8, 0, v12, vcc
	s_sub_i32 s4, s4, 64
	v_cndmask_b32_e64 v11, 0, v7, s[0:1]
	v_mul_f32_e32 v7, s15, v8
	v_add_u32_e32 v0, 0xffff8000, v0
	s_cmp_le_i32 s11, s9
	v_fmac_f32_e32 v7, v10, v11
	s_waitcnt vmcnt(0)
	v_mul_f32_e32 v8, v1, v8
	v_fmac_f32_e32 v8, v9, v11
	s_cbranch_scc0 .LBB36_3
	s_branch .LBB36_5
.LBB36_4:
	s_waitcnt lgkmcnt(0)
	v_mov_b32_e32 v7, s5
.LBB36_5:
	s_waitcnt vmcnt(0)
	v_div_scale_f32 v0, s[0:1], v7, v7, v8
	v_rcp_f32_e32 v1, v0
	v_div_scale_f32 v4, vcc, v8, v7, v8
	v_fma_f32 v5, -v0, v1, 1.0
	v_fmac_f32_e32 v1, v5, v1
	v_mul_f32_e32 v5, v4, v1
	v_fma_f32 v6, -v0, v5, v4
	v_fmac_f32_e32 v5, v6, v1
	v_fma_f32 v0, -v0, v5, v4
	v_div_fmas_f32 v0, v0, v1, v5
	v_div_fixup_f32 v0, v0, v7, v8
	global_store_dword v[2:3], v0, off
.LBB36_6:
	s_endpgm
	.section	.rodata,"a",@progbits
	.p2align	6, 0x0
	.amdhsa_kernel _ZL33flash_attn_stream_k_fixup_uniformILi512ELi16ELi4EEvPfPK15HIP_vector_typeIfLj2EEiiiiiiS1_IjLj3EES5_S5_
		.amdhsa_group_segment_fixed_size 0
		.amdhsa_private_segment_fixed_size 0
		.amdhsa_kernarg_size 76
		.amdhsa_user_sgpr_count 6
		.amdhsa_user_sgpr_private_segment_buffer 1
		.amdhsa_user_sgpr_dispatch_ptr 0
		.amdhsa_user_sgpr_queue_ptr 0
		.amdhsa_user_sgpr_kernarg_segment_ptr 1
		.amdhsa_user_sgpr_dispatch_id 0
		.amdhsa_user_sgpr_flat_scratch_init 0
		.amdhsa_user_sgpr_kernarg_preload_length 0
		.amdhsa_user_sgpr_kernarg_preload_offset 0
		.amdhsa_user_sgpr_private_segment_size 0
		.amdhsa_uses_dynamic_stack 0
		.amdhsa_system_sgpr_private_segment_wavefront_offset 0
		.amdhsa_system_sgpr_workgroup_id_x 1
		.amdhsa_system_sgpr_workgroup_id_y 1
		.amdhsa_system_sgpr_workgroup_id_z 1
		.amdhsa_system_sgpr_workgroup_info 0
		.amdhsa_system_vgpr_workitem_id 0
		.amdhsa_next_free_vgpr 17
		.amdhsa_next_free_sgpr 20
		.amdhsa_accum_offset 20
		.amdhsa_reserve_vcc 1
		.amdhsa_reserve_flat_scratch 0
		.amdhsa_float_round_mode_32 0
		.amdhsa_float_round_mode_16_64 0
		.amdhsa_float_denorm_mode_32 3
		.amdhsa_float_denorm_mode_16_64 3
		.amdhsa_dx10_clamp 1
		.amdhsa_ieee_mode 1
		.amdhsa_fp16_overflow 0
		.amdhsa_tg_split 0
		.amdhsa_exception_fp_ieee_invalid_op 0
		.amdhsa_exception_fp_denorm_src 0
		.amdhsa_exception_fp_ieee_div_zero 0
		.amdhsa_exception_fp_ieee_overflow 0
		.amdhsa_exception_fp_ieee_underflow 0
		.amdhsa_exception_fp_ieee_inexact 0
		.amdhsa_exception_int_div_zero 0
	.end_amdhsa_kernel
	.section	.text._ZL33flash_attn_stream_k_fixup_uniformILi512ELi16ELi4EEvPfPK15HIP_vector_typeIfLj2EEiiiiiiS1_IjLj3EES5_S5_,"axG",@progbits,_ZL33flash_attn_stream_k_fixup_uniformILi512ELi16ELi4EEvPfPK15HIP_vector_typeIfLj2EEiiiiiiS1_IjLj3EES5_S5_,comdat
.Lfunc_end36:
	.size	_ZL33flash_attn_stream_k_fixup_uniformILi512ELi16ELi4EEvPfPK15HIP_vector_typeIfLj2EEiiiiiiS1_IjLj3EES5_S5_, .Lfunc_end36-_ZL33flash_attn_stream_k_fixup_uniformILi512ELi16ELi4EEvPfPK15HIP_vector_typeIfLj2EEiiiiiiS1_IjLj3EES5_S5_
                                        ; -- End function
	.section	.AMDGPU.csdata,"",@progbits
; Kernel info:
; codeLenInByte = 860
; NumSgprs: 24
; NumVgprs: 17
; NumAgprs: 0
; TotalNumVgprs: 17
; ScratchSize: 0
; MemoryBound: 0
; FloatMode: 240
; IeeeMode: 1
; LDSByteSize: 0 bytes/workgroup (compile time only)
; SGPRBlocks: 2
; VGPRBlocks: 2
; NumSGPRsForWavesPerEU: 24
; NumVGPRsForWavesPerEU: 17
; AccumOffset: 20
; Occupancy: 8
; WaveLimiterHint : 0
; COMPUTE_PGM_RSRC2:SCRATCH_EN: 0
; COMPUTE_PGM_RSRC2:USER_SGPR: 6
; COMPUTE_PGM_RSRC2:TRAP_HANDLER: 0
; COMPUTE_PGM_RSRC2:TGID_X_EN: 1
; COMPUTE_PGM_RSRC2:TGID_Y_EN: 1
; COMPUTE_PGM_RSRC2:TGID_Z_EN: 1
; COMPUTE_PGM_RSRC2:TIDIG_COMP_CNT: 0
; COMPUTE_PGM_RSRC3_GFX90A:ACCUM_OFFSET: 4
; COMPUTE_PGM_RSRC3_GFX90A:TG_SPLIT: 0
	.section	.text._ZL33flash_attn_stream_k_fixup_generalILi512ELi16ELi4EEvPfPK15HIP_vector_typeIfLj2EEiiiiS1_IjLj3EES5_S5_S5_,"axG",@progbits,_ZL33flash_attn_stream_k_fixup_generalILi512ELi16ELi4EEvPfPK15HIP_vector_typeIfLj2EEiiiiS1_IjLj3EES5_S5_S5_,comdat
	.globl	_ZL33flash_attn_stream_k_fixup_generalILi512ELi16ELi4EEvPfPK15HIP_vector_typeIfLj2EEiiiiS1_IjLj3EES5_S5_S5_ ; -- Begin function _ZL33flash_attn_stream_k_fixup_generalILi512ELi16ELi4EEvPfPK15HIP_vector_typeIfLj2EEiiiiS1_IjLj3EES5_S5_S5_
	.p2align	8
	.type	_ZL33flash_attn_stream_k_fixup_generalILi512ELi16ELi4EEvPfPK15HIP_vector_typeIfLj2EEiiiiS1_IjLj3EES5_S5_S5_,@function
_ZL33flash_attn_stream_k_fixup_generalILi512ELi16ELi4EEvPfPK15HIP_vector_typeIfLj2EEiiiiS1_IjLj3EES5_S5_S5_: ; @_ZL33flash_attn_stream_k_fixup_generalILi512ELi16ELi4EEvPfPK15HIP_vector_typeIfLj2EEiiiiS1_IjLj3EES5_S5_S5_
; %bb.0:
	s_load_dwordx4 s[12:15], s[4:5], 0x10
	s_load_dword s9, s[4:5], 0x50
	s_mov_b32 s2, 0
	s_waitcnt lgkmcnt(0)
	s_mul_hi_i32 s3, s15, s6
	s_cmp_lg_u64 s[2:3], 0
	s_mul_i32 s2, s15, s6
	s_cbranch_scc0 .LBB37_21
; %bb.1:
	v_cvt_f32_u32_e32 v1, s9
	v_cvt_f32_ubyte0_e32 v2, 0
	s_sub_u32 s10, 0, s9
	s_subb_u32 s11, 0, 0
	v_madmk_f32 v1, v2, 0x4f800000, v1
	v_rcp_f32_e32 v1, v1
	v_mul_f32_e32 v1, 0x5f7ffffc, v1
	v_mul_f32_e32 v2, 0x2f800000, v1
	v_trunc_f32_e32 v2, v2
	v_madmk_f32 v1, v2, 0xcf800000, v1
	v_cvt_u32_f32_e32 v2, v2
	v_cvt_u32_f32_e32 v1, v1
	v_readfirstlane_b32 s16, v2
	v_readfirstlane_b32 s17, v1
	s_mul_i32 s18, s10, s16
	s_mul_hi_u32 s20, s10, s17
	s_mul_i32 s19, s11, s17
	s_add_i32 s18, s20, s18
	s_add_i32 s18, s18, s19
	s_mul_i32 s21, s10, s17
	s_mul_hi_u32 s19, s17, s18
	s_mul_i32 s20, s17, s18
	s_mul_hi_u32 s17, s17, s21
	s_add_u32 s17, s17, s20
	s_addc_u32 s19, 0, s19
	s_mul_hi_u32 s22, s16, s21
	s_mul_i32 s21, s16, s21
	s_add_u32 s17, s17, s21
	s_mul_hi_u32 s20, s16, s18
	s_addc_u32 s17, s19, s22
	s_addc_u32 s19, s20, 0
	s_mul_i32 s18, s16, s18
	s_add_u32 s17, s17, s18
	s_addc_u32 s18, 0, s19
	v_add_co_u32_e32 v1, vcc, s17, v1
	s_cmp_lg_u64 vcc, 0
	s_addc_u32 s16, s16, s18
	v_readfirstlane_b32 s18, v1
	s_mul_i32 s17, s10, s16
	s_mul_hi_u32 s19, s10, s18
	s_add_i32 s17, s19, s17
	s_mul_i32 s11, s11, s18
	s_add_i32 s17, s17, s11
	s_mul_i32 s10, s10, s18
	s_mul_hi_u32 s19, s16, s10
	s_mul_i32 s20, s16, s10
	s_mul_i32 s22, s18, s17
	s_mul_hi_u32 s10, s18, s10
	s_mul_hi_u32 s21, s18, s17
	s_add_u32 s10, s10, s22
	s_addc_u32 s18, 0, s21
	s_add_u32 s10, s10, s20
	s_mul_hi_u32 s11, s16, s17
	s_addc_u32 s10, s18, s19
	s_addc_u32 s11, s11, 0
	s_mul_i32 s17, s16, s17
	s_add_u32 s10, s10, s17
	s_addc_u32 s11, 0, s11
	v_add_co_u32_e32 v1, vcc, s10, v1
	s_cmp_lg_u64 vcc, 0
	s_addc_u32 s18, s16, s11
	s_ashr_i32 s10, s3, 31
	s_add_u32 s16, s2, s10
	s_mov_b32 s11, s10
	s_addc_u32 s17, s3, s10
	s_xor_b64 s[16:17], s[16:17], s[10:11]
	v_readfirstlane_b32 s20, v1
	s_mul_i32 s19, s16, s18
	s_mul_hi_u32 s21, s16, s20
	s_mul_hi_u32 s3, s16, s18
	s_add_u32 s19, s21, s19
	s_addc_u32 s3, 0, s3
	s_mul_hi_u32 s22, s17, s20
	s_mul_i32 s20, s17, s20
	s_add_u32 s19, s19, s20
	s_mul_hi_u32 s21, s17, s18
	s_addc_u32 s3, s3, s22
	s_addc_u32 s19, s21, 0
	s_mul_i32 s18, s17, s18
	s_add_u32 s3, s3, s18
	s_addc_u32 s18, 0, s19
	s_add_u32 s19, s3, 1
	s_addc_u32 s20, s18, 0
	s_add_u32 s21, s3, 2
	s_mul_i32 s23, s9, s18
	s_mul_hi_u32 s24, s9, s3
	s_addc_u32 s22, s18, 0
	s_add_i32 s24, s24, s23
	s_mul_i32 s23, s9, s3
	v_mov_b32_e32 v1, s23
	v_sub_co_u32_e32 v1, vcc, s16, v1
	s_cmp_lg_u64 vcc, 0
	s_subb_u32 s16, s17, s24
	v_subrev_co_u32_e32 v2, vcc, s9, v1
	s_cmp_lg_u64 vcc, 0
	s_subb_u32 s17, s16, 0
	v_readfirstlane_b32 s23, v2
	s_cmp_ge_u32 s23, s9
	s_cselect_b32 s23, -1, 0
	s_cmp_eq_u32 s17, 0
	s_cselect_b32 s17, s23, -1
	s_cmp_lg_u32 s17, 0
	s_cselect_b32 s17, s22, s20
	v_readfirstlane_b32 s20, v1
	s_cselect_b32 s19, s21, s19
	s_cmp_ge_u32 s20, s9
	s_cselect_b32 s20, -1, 0
	s_cmp_eq_u32 s16, 0
	s_cselect_b32 s16, s20, -1
	s_cmp_lg_u32 s16, 0
	s_cselect_b32 s17, s17, s18
	s_cselect_b32 s16, s19, s3
	s_xor_b64 s[16:17], s[16:17], s[10:11]
	s_sub_u32 s20, s16, s10
	s_load_dwordx4 s[16:19], s[4:5], 0x44
	s_cbranch_execnz .LBB37_3
.LBB37_2:
	v_cvt_f32_u32_e32 v1, s9
	s_sub_i32 s0, 0, s9
	v_rcp_iflag_f32_e32 v1, v1
	v_mul_f32_e32 v1, 0x4f7ffffe, v1
	v_cvt_u32_f32_e32 v1, v1
	v_readfirstlane_b32 s1, v1
	s_mul_i32 s0, s0, s1
	s_mul_hi_u32 s0, s1, s0
	s_add_i32 s1, s1, s0
	s_mul_hi_u32 s0, s2, s1
	s_mul_i32 s3, s0, s9
	s_sub_i32 s2, s2, s3
	s_add_i32 s1, s0, 1
	s_sub_i32 s3, s2, s9
	s_cmp_ge_u32 s2, s9
	s_cselect_b32 s0, s1, s0
	s_cselect_b32 s2, s3, s2
	s_add_i32 s1, s0, 1
	s_cmp_ge_u32 s2, s9
	s_cselect_b32 s20, s1, s0
.LBB37_3:
	s_add_i32 s0, s6, 1
	s_mul_hi_i32 s3, s15, s0
	s_mov_b32 s2, 0
	s_cmp_lg_u64 s[2:3], 0
	s_mul_i32 s2, s15, s0
	s_cbranch_scc0 .LBB37_22
; %bb.4:
	v_cvt_f32_u32_e32 v1, s9
	v_cvt_f32_ubyte0_e32 v2, 0
	s_sub_u32 s10, 0, s9
	s_subb_u32 s11, 0, 0
	v_madmk_f32 v1, v2, 0x4f800000, v1
	v_rcp_f32_e32 v1, v1
	v_mul_f32_e32 v1, 0x5f7ffffc, v1
	v_mul_f32_e32 v2, 0x2f800000, v1
	v_trunc_f32_e32 v2, v2
	v_madmk_f32 v1, v2, 0xcf800000, v1
	v_cvt_u32_f32_e32 v2, v2
	v_cvt_u32_f32_e32 v1, v1
	s_waitcnt lgkmcnt(0)
	v_readfirstlane_b32 s19, v2
	v_readfirstlane_b32 s21, v1
	s_mul_i32 s22, s10, s19
	s_mul_hi_u32 s24, s10, s21
	s_mul_i32 s23, s11, s21
	s_add_i32 s22, s24, s22
	s_add_i32 s22, s22, s23
	s_mul_i32 s25, s10, s21
	s_mul_hi_u32 s23, s21, s22
	s_mul_i32 s24, s21, s22
	s_mul_hi_u32 s21, s21, s25
	s_add_u32 s21, s21, s24
	s_addc_u32 s23, 0, s23
	s_mul_hi_u32 s26, s19, s25
	s_mul_i32 s25, s19, s25
	s_add_u32 s21, s21, s25
	s_mul_hi_u32 s24, s19, s22
	s_addc_u32 s21, s23, s26
	s_addc_u32 s23, s24, 0
	s_mul_i32 s22, s19, s22
	s_add_u32 s21, s21, s22
	s_addc_u32 s22, 0, s23
	v_add_co_u32_e32 v1, vcc, s21, v1
	s_cmp_lg_u64 vcc, 0
	s_addc_u32 s19, s19, s22
	v_readfirstlane_b32 s22, v1
	s_mul_i32 s21, s10, s19
	s_mul_hi_u32 s23, s10, s22
	s_add_i32 s21, s23, s21
	s_mul_i32 s11, s11, s22
	s_add_i32 s21, s21, s11
	s_mul_i32 s10, s10, s22
	s_mul_hi_u32 s23, s19, s10
	s_mul_i32 s24, s19, s10
	s_mul_i32 s26, s22, s21
	s_mul_hi_u32 s10, s22, s10
	s_mul_hi_u32 s25, s22, s21
	s_add_u32 s10, s10, s26
	s_addc_u32 s22, 0, s25
	s_add_u32 s10, s10, s24
	s_mul_hi_u32 s11, s19, s21
	s_addc_u32 s10, s22, s23
	s_addc_u32 s11, s11, 0
	s_mul_i32 s21, s19, s21
	s_add_u32 s10, s10, s21
	s_addc_u32 s11, 0, s11
	v_add_co_u32_e32 v1, vcc, s10, v1
	s_cmp_lg_u64 vcc, 0
	s_addc_u32 s19, s19, s11
	s_ashr_i32 s10, s3, 31
	s_add_u32 s22, s2, s10
	s_mov_b32 s11, s10
	s_addc_u32 s23, s3, s10
	s_xor_b64 s[22:23], s[22:23], s[10:11]
	v_readfirstlane_b32 s21, v1
	s_mul_i32 s11, s22, s19
	s_mul_hi_u32 s24, s22, s21
	s_mul_hi_u32 s3, s22, s19
	s_add_u32 s11, s24, s11
	s_addc_u32 s3, 0, s3
	s_mul_hi_u32 s25, s23, s21
	s_mul_i32 s21, s23, s21
	s_add_u32 s11, s11, s21
	s_mul_hi_u32 s24, s23, s19
	s_addc_u32 s3, s3, s25
	s_addc_u32 s11, s24, 0
	s_mul_i32 s19, s23, s19
	s_add_u32 s3, s3, s19
	s_addc_u32 s11, 0, s11
	s_mul_i32 s11, s9, s11
	s_mul_hi_u32 s24, s9, s3
	s_add_i32 s24, s24, s11
	s_mul_i32 s11, s9, s3
	v_mov_b32_e32 v1, s11
	s_add_u32 s19, s3, 1
	s_add_u32 s21, s3, 2
	v_sub_co_u32_e32 v1, vcc, s22, v1
	s_cmp_lg_u64 vcc, 0
	s_subb_u32 s11, s23, s24
	v_subrev_co_u32_e32 v2, vcc, s9, v1
	s_cmp_lg_u64 vcc, 0
	s_subb_u32 s22, s11, 0
	v_cmp_le_u32_e32 vcc, s9, v2
	s_cmp_eq_u32 s22, 0
	v_cndmask_b32_e64 v2, 0, -1, vcc
	s_cselect_b64 vcc, -1, 0
	v_cndmask_b32_e32 v2, -1, v2, vcc
	v_mov_b32_e32 v3, s19
	v_mov_b32_e32 v4, s21
	v_cmp_ne_u32_e32 vcc, 0, v2
	v_cndmask_b32_e32 v2, v3, v4, vcc
	v_cmp_le_u32_e32 vcc, s9, v1
	s_cmp_eq_u32 s11, 0
	v_cndmask_b32_e64 v1, 0, -1, vcc
	s_cselect_b64 vcc, -1, 0
	v_cndmask_b32_e32 v1, -1, v1, vcc
	v_mov_b32_e32 v3, s3
	v_cmp_ne_u32_e32 vcc, 0, v1
	v_cndmask_b32_e32 v1, v3, v2, vcc
	v_xor_b32_e32 v1, s10, v1
	v_subrev_co_u32_e32 v2, vcc, s10, v1
	s_cbranch_execnz .LBB37_6
.LBB37_5:
	v_cvt_f32_u32_e32 v1, s9
	s_sub_i32 s0, 0, s9
	s_mov_b32 s1, 0
	v_rcp_iflag_f32_e32 v1, v1
	v_mul_f32_e32 v1, 0x4f7ffffe, v1
	v_cvt_u32_f32_e32 v1, v1
	v_readfirstlane_b32 s3, v1
	s_mul_i32 s0, s0, s3
	s_mul_hi_u32 s0, s3, s0
	s_add_i32 s3, s3, s0
	s_mul_hi_u32 s0, s2, s3
	s_mul_i32 s10, s0, s9
	s_sub_i32 s2, s2, s10
	s_add_i32 s3, s0, 1
	s_sub_i32 s10, s2, s9
	s_cmp_ge_u32 s2, s9
	s_cselect_b32 s0, s3, s0
	s_cselect_b32 s2, s10, s2
	s_add_i32 s3, s0, 1
	s_cmp_ge_u32 s2, s9
	s_cselect_b32 s0, s3, s0
	v_pk_mov_b32 v[2:3], s[0:1], s[0:1] op_sel:[0,1]
.LBB37_6:
	s_waitcnt lgkmcnt(0)
	s_mul_hi_u32 s0, s20, s16
	s_add_i32 s0, s0, s20
	v_mul_hi_u32 v1, v2, s16
	s_lshr_b32 s19, s0, s17
	v_add_u32_e32 v1, v1, v2
	s_mul_i32 s0, s19, s18
	v_lshrrev_b32_e32 v1, s17, v1
	s_cmp_eq_u32 s0, s20
	v_cmp_eq_u32_e64 s[0:1], s19, v1
	v_mul_lo_u32 v1, v1, s18
	v_cmp_eq_u32_e32 vcc, s20, v2
	s_cselect_b64 s[10:11], -1, 0
	v_cmp_ne_u32_e64 s[2:3], v1, v2
	s_and_b64 s[0:1], s[0:1], s[2:3]
	s_or_b64 s[2:3], vcc, s[10:11]
	s_or_b64 s[0:1], s[2:3], s[0:1]
	s_and_b64 vcc, exec, s[0:1]
	s_cbranch_vccnz .LBB37_24
; %bb.7:
	s_load_dwordx8 s[24:31], s[4:5], 0x20
	s_load_dword s0, s[4:5], 0x40
	s_mov_b32 s10, 0
	s_waitcnt lgkmcnt(0)
	s_mul_hi_u32 s1, s20, s24
	s_add_i32 s1, s1, s20
	s_lshr_b32 s11, s1, s25
	s_mul_i32 s1, s11, s26
	s_sub_i32 s1, s20, s1
	s_mul_hi_u32 s2, s1, s27
	s_add_i32 s2, s1, s2
	s_lshr_b32 s24, s2, s28
	s_mul_i32 s2, s24, s29
	s_sub_i32 s1, s1, s2
	s_mul_hi_u32 s2, s1, s30
	s_add_i32 s2, s1, s2
	s_lshr_b32 s2, s2, s31
	s_mul_i32 s0, s2, s0
	s_sub_i32 s0, s1, s0
	s_mul_hi_u32 s1, s0, s16
	s_add_i32 s0, s0, s1
	s_lshr_b32 s26, s0, s17
	s_lshl_b32 s0, s26, 4
	s_lshl_b32 s25, s2, 2
	s_add_i32 s0, s0, s7
	s_cmp_lt_i32 s0, s12
	s_cselect_b64 s[0:1], -1, 0
	s_add_i32 s2, s25, s8
	s_cmp_lt_i32 s2, s14
	s_cselect_b64 s[2:3], -1, 0
	s_and_b64 s[0:1], s[0:1], s[2:3]
	s_andn2_b64 vcc, exec, s[0:1]
	s_cbranch_vccnz .LBB37_24
; %bb.8:
	s_load_dwordx4 s[0:3], s[4:5], 0x0
	s_lshl_b32 s21, s7, 2
	s_lshl_b32 s4, s9, 8
	s_mov_b32 s5, s10
	s_add_i32 s21, s21, s8
	s_lshl_b64 s[4:5], s[4:5], 2
	s_waitcnt lgkmcnt(0)
	s_add_u32 s22, s2, s4
	s_mul_i32 s4, s11, s12
	s_addc_u32 s23, s3, s5
	s_add_i32 s4, s4, s7
	s_mul_i32 s4, s4, s13
	s_mul_i32 s24, s24, s14
	s_add_i32 s4, s4, s8
	s_add_i32 s4, s4, s24
	s_mul_i32 s5, s13, s26
	s_add_i32 s4, s4, s25
	s_lshl_b32 s5, s5, 13
	s_lshl_b32 s4, s4, 9
	s_add_i32 s5, s5, s4
	v_or_b32_e32 v2, s5, v0
	v_ashrrev_i32_e32 v3, 31, v2
	v_lshlrev_b64 v[2:3], 2, v[2:3]
	v_mov_b32_e32 v1, s1
	v_add_co_u32_e32 v2, vcc, s0, v2
	v_addc_co_u32_e32 v3, vcc, v1, v3, vcc
	global_load_dword v5, v[2:3], off
	v_lshl_or_b32 v4, s21, 9, v0
	v_cvt_f32_u32_e32 v0, s9
	v_cvt_f32_ubyte0_e32 v1, 0
	s_lshl_b32 s0, s6, 6
	s_add_i32 s0, s21, s0
	v_mac_f32_e32 v0, 0x4f800000, v1
	v_rcp_f32_e32 v0, v0
	v_cvt_f32_u32_e32 v1, s9
	s_ashr_i32 s1, s0, 31
	s_lshl_b64 s[0:1], s[0:1], 3
	v_mul_f32_e32 v0, 0x5f7ffffc, v0
	v_rcp_iflag_f32_e32 v1, v1
	s_add_u32 s0, s2, s0
	v_mul_f32_e32 v9, 0x2f800000, v0
	s_addc_u32 s1, s3, s1
	v_trunc_f32_e32 v10, v9
	s_load_dwordx2 s[0:1], s[0:1], 0x0
	v_mac_f32_e32 v0, 0xcf800000, v10
	v_cvt_u32_f32_e32 v9, v0
	v_mul_f32_e32 v0, 0x4f7ffffe, v1
	v_cvt_u32_f32_e32 v10, v10
	v_cvt_u32_f32_e32 v11, v0
	s_add_i32 s8, s6, -1
	s_waitcnt lgkmcnt(0)
	v_mov_b32_e32 v6, s1
	v_mov_b32_e32 v7, s0
	;; [unrolled: 1-line block ×3, first 2 shown]
	s_mov_b32 s6, 0x3fb8aa3b
	s_mov_b32 s7, 0xc2ce8ed0
	;; [unrolled: 1-line block ×4, first 2 shown]
	v_mov_b32_e32 v12, 0x7f800000
	s_mul_hi_i32 s11, s8, s15
	s_cmp_lg_u64 s[10:11], 0
	s_mul_i32 s4, s8, s15
	s_cbranch_scc0 .LBB37_15
.LBB37_9:
	s_sub_u32 s0, 0, s9
	v_readfirstlane_b32 s5, v9
	v_readfirstlane_b32 s24, v10
	s_subb_u32 s1, 0, 0
	s_mul_hi_u32 s20, s0, s5
	s_mul_i32 s25, s0, s24
	s_mul_i32 s14, s1, s5
	s_add_i32 s20, s20, s25
	s_add_i32 s20, s20, s14
	s_mul_i32 s26, s0, s5
	s_mul_hi_u32 s14, s5, s20
	s_mul_i32 s25, s5, s20
	s_mul_hi_u32 s5, s5, s26
	s_add_u32 s5, s5, s25
	s_addc_u32 s14, 0, s14
	s_mul_hi_u32 s27, s24, s26
	s_mul_i32 s26, s24, s26
	s_add_u32 s5, s5, s26
	s_mul_hi_u32 s25, s24, s20
	s_addc_u32 s5, s14, s27
	s_addc_u32 s14, s25, 0
	s_mul_i32 s20, s24, s20
	s_add_u32 s5, s5, s20
	s_addc_u32 s14, 0, s14
	v_add_co_u32_e32 v0, vcc, s5, v9
	s_cmp_lg_u64 vcc, 0
	s_addc_u32 s5, s24, s14
	v_readfirstlane_b32 s20, v0
	s_mul_i32 s14, s0, s5
	s_mul_hi_u32 s24, s0, s20
	s_add_i32 s14, s24, s14
	s_mul_i32 s1, s1, s20
	s_add_i32 s14, s14, s1
	s_mul_i32 s0, s0, s20
	s_mul_hi_u32 s24, s5, s0
	s_mul_i32 s25, s5, s0
	s_mul_i32 s27, s20, s14
	s_mul_hi_u32 s0, s20, s0
	s_mul_hi_u32 s26, s20, s14
	s_add_u32 s0, s0, s27
	s_addc_u32 s20, 0, s26
	s_add_u32 s0, s0, s25
	s_mul_hi_u32 s1, s5, s14
	s_addc_u32 s0, s20, s24
	s_addc_u32 s1, s1, 0
	s_mul_i32 s14, s5, s14
	s_add_u32 s0, s0, s14
	s_addc_u32 s1, 0, s1
	v_add_co_u32_e32 v0, vcc, s0, v0
	s_cmp_lg_u64 vcc, 0
	s_addc_u32 s5, s5, s1
	s_ashr_i32 s0, s11, 31
	s_add_u32 s24, s4, s0
	s_mov_b32 s1, s0
	s_addc_u32 s25, s11, s0
	s_xor_b64 s[24:25], s[24:25], s[0:1]
	v_readfirstlane_b32 s14, v0
	s_mul_i32 s11, s24, s5
	s_mul_hi_u32 s20, s24, s14
	s_mul_hi_u32 s1, s24, s5
	s_add_u32 s11, s20, s11
	s_addc_u32 s1, 0, s1
	s_mul_hi_u32 s26, s25, s14
	s_mul_i32 s14, s25, s14
	s_add_u32 s11, s11, s14
	s_mul_hi_u32 s20, s25, s5
	s_addc_u32 s1, s1, s26
	s_addc_u32 s11, s20, 0
	s_mul_i32 s5, s25, s5
	s_add_u32 s1, s1, s5
	s_addc_u32 s5, 0, s11
	s_mul_i32 s5, s9, s5
	s_mul_hi_u32 s20, s9, s1
	s_add_i32 s20, s20, s5
	s_mul_i32 s5, s9, s1
	v_mov_b32_e32 v0, s5
	s_add_u32 s11, s1, 1
	s_add_u32 s14, s1, 2
	v_sub_co_u32_e32 v0, vcc, s24, v0
	s_cmp_lg_u64 vcc, 0
	s_subb_u32 s5, s25, s20
	v_subrev_co_u32_e32 v1, vcc, s9, v0
	s_cmp_lg_u64 vcc, 0
	s_subb_u32 s20, s5, 0
	v_cmp_le_u32_e32 vcc, s9, v1
	s_cmp_eq_u32 s20, 0
	v_cndmask_b32_e64 v1, 0, -1, vcc
	s_cselect_b64 vcc, -1, 0
	v_cndmask_b32_e32 v1, -1, v1, vcc
	v_mov_b32_e32 v13, s11
	v_mov_b32_e32 v14, s14
	v_cmp_ne_u32_e32 vcc, 0, v1
	v_cndmask_b32_e32 v1, v13, v14, vcc
	v_cmp_le_u32_e32 vcc, s9, v0
	s_cmp_eq_u32 s5, 0
	v_cndmask_b32_e64 v0, 0, -1, vcc
	s_cselect_b64 vcc, -1, 0
	v_cndmask_b32_e32 v0, -1, v0, vcc
	v_mov_b32_e32 v13, s1
	v_cmp_ne_u32_e32 vcc, 0, v0
	v_cndmask_b32_e32 v0, v13, v1, vcc
	v_xor_b32_e32 v0, s0, v0
	v_subrev_co_u32_e32 v0, vcc, s0, v0
	s_cbranch_execnz .LBB37_11
.LBB37_10:
	s_sub_i32 s0, 0, s9
	v_mul_lo_u32 v0, s0, v11
	v_mul_hi_u32 v0, v11, v0
	v_add_u32_e32 v0, v11, v0
	v_mul_hi_u32 v0, s4, v0
	v_mul_lo_u32 v13, v0, s9
	v_sub_u32_e32 v13, s4, v13
	v_add_u32_e32 v1, 1, v0
	v_subrev_u32_e32 v14, s9, v13
	v_cmp_le_u32_e32 vcc, s9, v13
	v_cndmask_b32_e32 v13, v13, v14, vcc
	v_cndmask_b32_e32 v0, v0, v1, vcc
	v_add_u32_e32 v1, 1, v0
	v_cmp_le_u32_e32 vcc, s9, v13
	v_cndmask_b32_e32 v0, v0, v1, vcc
.LBB37_11:
	v_cmp_ne_u32_e32 vcc, v8, v0
	s_cbranch_vccz .LBB37_14
; %bb.12:
	s_add_i32 s0, s8, s9
	s_lshl_b32 s0, s0, 6
	v_mul_hi_u32 v1, v0, s16
	s_add_i32 s0, s0, s21
	s_mov_b32 s1, s10
	v_add_u32_e32 v1, v1, v0
	s_lshl_b64 s[0:1], s[0:1], 3
	v_lshrrev_b32_e32 v1, s17, v1
	s_add_u32 s4, s2, s0
	v_mul_lo_u32 v13, v1, s18
	s_addc_u32 s5, s3, s1
	v_cmp_eq_u32_e32 vcc, v13, v0
	v_cmp_gt_u32_e64 s[0:1], s19, v1
	s_or_b64 s[0:1], s[0:1], vcc
	s_and_b64 vcc, exec, s[0:1]
	s_cbranch_vccnz .LBB37_16
; %bb.13:
	s_add_i32 s11, s8, -1
	s_mov_b64 s[0:1], 0
	s_branch .LBB37_17
.LBB37_14:
                                        ; implicit-def: $sgpr0_sgpr1
                                        ; implicit-def: $vgpr14
                                        ; implicit-def: $vgpr1
                                        ; implicit-def: $vgpr13
                                        ; implicit-def: $sgpr11
                                        ; implicit-def: $vgpr0
	s_branch .LBB37_18
.LBB37_15:
                                        ; implicit-def: $vgpr0_vgpr1
	s_branch .LBB37_10
.LBB37_16:
	s_mov_b64 s[0:1], -1
	s_mov_b32 s11, s8
	v_mov_b32_e32 v0, v8
.LBB37_17:
	v_lshl_add_u32 v14, s8, 15, v4
	v_ashrrev_i32_e32 v15, 31, v14
	v_lshlrev_b64 v[14:15], 2, v[14:15]
	v_mov_b32_e32 v1, s23
	v_add_co_u32_e32 v14, vcc, s22, v14
	v_addc_co_u32_e32 v15, vcc, v1, v15, vcc
	global_load_dword v14, v[14:15], off
	s_load_dwordx2 s[4:5], s[4:5], 0x0
	v_max_f32_e32 v1, v7, v7
	s_waitcnt lgkmcnt(0)
	v_max_f32_e64 v13, s4, s4
	v_max_f32_e32 v1, v1, v13
	v_sub_f32_e32 v13, v7, v1
	v_sub_f32_e32 v15, s4, v1
	v_mul_f32_e32 v16, 0x3fb8aa3b, v13
	v_mul_f32_e32 v17, 0x3fb8aa3b, v15
	v_fma_f32 v18, v13, s6, -v16
	v_rndne_f32_e32 v19, v16
	v_fma_f32 v20, v15, s6, -v17
	v_rndne_f32_e32 v21, v17
	v_fmac_f32_e32 v18, 0x32a5705f, v13
	v_sub_f32_e32 v16, v16, v19
	v_fmac_f32_e32 v20, 0x32a5705f, v15
	v_sub_f32_e32 v17, v17, v21
	v_add_f32_e32 v16, v16, v18
	v_cvt_i32_f32_e32 v19, v19
	v_add_f32_e32 v17, v17, v20
	v_exp_f32_e32 v16, v16
	v_cvt_i32_f32_e32 v21, v21
	v_exp_f32_e32 v17, v17
	v_cmp_ngt_f32_e32 vcc, s7, v13
	v_ldexp_f32 v16, v16, v19
	v_cndmask_b32_e32 v16, 0, v16, vcc
	v_ldexp_f32 v17, v17, v21
	v_cmp_ngt_f32_e32 vcc, s7, v15
	v_cndmask_b32_e32 v17, 0, v17, vcc
	v_cmp_nlt_f32_e32 vcc, s12, v13
	v_cndmask_b32_e32 v16, v12, v16, vcc
	v_cmp_nlt_f32_e32 vcc, s12, v15
	v_cndmask_b32_e32 v17, v12, v17, vcc
	v_cmp_le_f32_e32 vcc, s13, v13
	v_cndmask_b32_e32 v16, 0, v16, vcc
	v_cmp_le_f32_e32 vcc, s13, v15
	v_cndmask_b32_e32 v15, 0, v17, vcc
	v_mul_f32_e32 v13, s5, v15
	v_fmac_f32_e32 v13, v6, v16
	s_waitcnt vmcnt(0)
	v_mul_f32_e32 v14, v14, v15
	v_fmac_f32_e32 v14, v5, v16
	s_cbranch_execnz .LBB37_19
.LBB37_18:
	s_add_i32 s11, s8, -1
	s_mov_b64 s[0:1], 0
	v_mov_b32_e32 v0, v8
	v_mov_b32_e32 v13, v6
	;; [unrolled: 1-line block ×3, first 2 shown]
	s_waitcnt vmcnt(0)
	v_mov_b32_e32 v14, v5
.LBB37_19:
	s_andn2_b64 vcc, exec, s[0:1]
	s_cbranch_vccz .LBB37_23
; %bb.20:
	v_mov_b32_e32 v8, v0
	s_mov_b32 s8, s11
	v_mov_b32_e32 v6, v13
	v_mov_b32_e32 v7, v1
	s_waitcnt vmcnt(0)
	v_mov_b32_e32 v5, v14
	s_mul_hi_i32 s11, s8, s15
	s_cmp_lg_u64 s[10:11], 0
	s_mul_i32 s4, s8, s15
	s_cbranch_scc1 .LBB37_9
	s_branch .LBB37_15
.LBB37_21:
                                        ; implicit-def: $sgpr20_sgpr21
	s_load_dwordx4 s[16:19], s[4:5], 0x44
	s_branch .LBB37_2
.LBB37_22:
                                        ; implicit-def: $vgpr2_vgpr3
	s_branch .LBB37_5
.LBB37_23:
	v_div_scale_f32 v0, s[0:1], v13, v13, v14
	v_rcp_f32_e32 v1, v0
	v_div_scale_f32 v4, vcc, v14, v13, v14
	s_waitcnt vmcnt(0)
	v_fma_f32 v5, -v0, v1, 1.0
	v_fmac_f32_e32 v1, v5, v1
	v_mul_f32_e32 v5, v4, v1
	v_fma_f32 v6, -v0, v5, v4
	v_fmac_f32_e32 v5, v6, v1
	v_fma_f32 v0, -v0, v5, v4
	v_div_fmas_f32 v0, v0, v1, v5
	v_div_fixup_f32 v0, v0, v13, v14
	global_store_dword v[2:3], v0, off
.LBB37_24:
	s_endpgm
	.section	.rodata,"a",@progbits
	.p2align	6, 0x0
	.amdhsa_kernel _ZL33flash_attn_stream_k_fixup_generalILi512ELi16ELi4EEvPfPK15HIP_vector_typeIfLj2EEiiiiS1_IjLj3EES5_S5_S5_
		.amdhsa_group_segment_fixed_size 0
		.amdhsa_private_segment_fixed_size 0
		.amdhsa_kernarg_size 336
		.amdhsa_user_sgpr_count 6
		.amdhsa_user_sgpr_private_segment_buffer 1
		.amdhsa_user_sgpr_dispatch_ptr 0
		.amdhsa_user_sgpr_queue_ptr 0
		.amdhsa_user_sgpr_kernarg_segment_ptr 1
		.amdhsa_user_sgpr_dispatch_id 0
		.amdhsa_user_sgpr_flat_scratch_init 0
		.amdhsa_user_sgpr_kernarg_preload_length 0
		.amdhsa_user_sgpr_kernarg_preload_offset 0
		.amdhsa_user_sgpr_private_segment_size 0
		.amdhsa_uses_dynamic_stack 0
		.amdhsa_system_sgpr_private_segment_wavefront_offset 0
		.amdhsa_system_sgpr_workgroup_id_x 1
		.amdhsa_system_sgpr_workgroup_id_y 1
		.amdhsa_system_sgpr_workgroup_id_z 1
		.amdhsa_system_sgpr_workgroup_info 0
		.amdhsa_system_vgpr_workitem_id 0
		.amdhsa_next_free_vgpr 22
		.amdhsa_next_free_sgpr 32
		.amdhsa_accum_offset 24
		.amdhsa_reserve_vcc 1
		.amdhsa_reserve_flat_scratch 0
		.amdhsa_float_round_mode_32 0
		.amdhsa_float_round_mode_16_64 0
		.amdhsa_float_denorm_mode_32 3
		.amdhsa_float_denorm_mode_16_64 3
		.amdhsa_dx10_clamp 1
		.amdhsa_ieee_mode 1
		.amdhsa_fp16_overflow 0
		.amdhsa_tg_split 0
		.amdhsa_exception_fp_ieee_invalid_op 0
		.amdhsa_exception_fp_denorm_src 0
		.amdhsa_exception_fp_ieee_div_zero 0
		.amdhsa_exception_fp_ieee_overflow 0
		.amdhsa_exception_fp_ieee_underflow 0
		.amdhsa_exception_fp_ieee_inexact 0
		.amdhsa_exception_int_div_zero 0
	.end_amdhsa_kernel
	.section	.text._ZL33flash_attn_stream_k_fixup_generalILi512ELi16ELi4EEvPfPK15HIP_vector_typeIfLj2EEiiiiS1_IjLj3EES5_S5_S5_,"axG",@progbits,_ZL33flash_attn_stream_k_fixup_generalILi512ELi16ELi4EEvPfPK15HIP_vector_typeIfLj2EEiiiiS1_IjLj3EES5_S5_S5_,comdat
.Lfunc_end37:
	.size	_ZL33flash_attn_stream_k_fixup_generalILi512ELi16ELi4EEvPfPK15HIP_vector_typeIfLj2EEiiiiS1_IjLj3EES5_S5_S5_, .Lfunc_end37-_ZL33flash_attn_stream_k_fixup_generalILi512ELi16ELi4EEvPfPK15HIP_vector_typeIfLj2EEiiiiS1_IjLj3EES5_S5_S5_
                                        ; -- End function
	.section	.AMDGPU.csdata,"",@progbits
; Kernel info:
; codeLenInByte = 2824
; NumSgprs: 36
; NumVgprs: 22
; NumAgprs: 0
; TotalNumVgprs: 22
; ScratchSize: 0
; MemoryBound: 0
; FloatMode: 240
; IeeeMode: 1
; LDSByteSize: 0 bytes/workgroup (compile time only)
; SGPRBlocks: 4
; VGPRBlocks: 2
; NumSGPRsForWavesPerEU: 36
; NumVGPRsForWavesPerEU: 22
; AccumOffset: 24
; Occupancy: 8
; WaveLimiterHint : 0
; COMPUTE_PGM_RSRC2:SCRATCH_EN: 0
; COMPUTE_PGM_RSRC2:USER_SGPR: 6
; COMPUTE_PGM_RSRC2:TRAP_HANDLER: 0
; COMPUTE_PGM_RSRC2:TGID_X_EN: 1
; COMPUTE_PGM_RSRC2:TGID_Y_EN: 1
; COMPUTE_PGM_RSRC2:TGID_Z_EN: 1
; COMPUTE_PGM_RSRC2:TIDIG_COMP_CNT: 0
; COMPUTE_PGM_RSRC3_GFX90A:ACCUM_OFFSET: 5
; COMPUTE_PGM_RSRC3_GFX90A:TG_SPLIT: 0
	.section	.text._ZL26flash_attn_combine_resultsILi512EEvPKfPK15HIP_vector_typeIfLj2EEPfi,"axG",@progbits,_ZL26flash_attn_combine_resultsILi512EEvPKfPK15HIP_vector_typeIfLj2EEPfi,comdat
	.globl	_ZL26flash_attn_combine_resultsILi512EEvPKfPK15HIP_vector_typeIfLj2EEPfi ; -- Begin function _ZL26flash_attn_combine_resultsILi512EEvPKfPK15HIP_vector_typeIfLj2EEPfi
	.p2align	8
	.type	_ZL26flash_attn_combine_resultsILi512EEvPKfPK15HIP_vector_typeIfLj2EEPfi,@function
_ZL26flash_attn_combine_resultsILi512EEvPKfPK15HIP_vector_typeIfLj2EEPfi: ; @_ZL26flash_attn_combine_resultsILi512EEvPKfPK15HIP_vector_typeIfLj2EEPfi
; %bb.0:
	s_load_dwordx2 s[10:11], s[4:5], 0x20
	s_load_dword s17, s[4:5], 0x18
	s_load_dwordx4 s[0:3], s[4:5], 0x0
	s_load_dwordx2 s[14:15], s[4:5], 0x10
	s_waitcnt lgkmcnt(0)
	s_mul_i32 s4, s10, s8
	s_add_i32 s4, s4, s6
	s_mul_i32 s16, s4, s11
	s_add_i32 s16, s16, s7
	s_lshl_b32 s18, s17, 1
	s_mul_i32 s4, s16, s17
	v_cmp_gt_i32_e32 vcc, s18, v0
	s_and_saveexec_b64 s[6:7], vcc
	s_cbranch_execz .LBB38_13
; %bb.1:
	v_xad_u32 v1, v0, -1, s18
	s_movk_i32 s8, 0x1ff
	s_ashr_i32 s5, s4, 31
	v_cmp_lt_u32_e32 vcc, s8, v1
	s_mov_b64 s[10:11], -1
	v_mov_b32_e32 v2, v0
	s_and_saveexec_b64 s[8:9], vcc
	s_cbranch_execz .LBB38_10
; %bb.2:
	v_lshrrev_b32_e32 v6, 9, v1
	s_lshl_b64 s[10:11], s[4:5], 3
	v_add_u32_e32 v2, -1, v6
	s_add_u32 s19, s2, s10
	v_or_b32_e32 v1, 0x200, v0
	v_lshrrev_b32_e32 v3, 1, v2
	s_addc_u32 s20, s3, s11
	v_add_u32_e32 v7, 1, v3
	v_cmp_lt_u32_e32 vcc, 13, v2
	v_mov_b32_e32 v4, 0
	v_pk_mov_b32 v[2:3], v[0:1], v[0:1] op_sel:[0,1]
	s_and_saveexec_b64 s[10:11], vcc
	s_cbranch_execz .LBB38_6
; %bb.3:
	v_and_b32_e32 v8, -8, v7
	s_mov_b32 s21, 0
	v_lshl_add_u32 v9, v0, 2, 0
	s_mov_b64 s[12:13], 0
	v_mov_b32_e32 v10, s20
	v_mov_b32_e32 v5, 0
	v_pk_mov_b32 v[2:3], v[0:1], v[0:1] op_sel:[0,1]
.LBB38_4:                               ; =>This Inner Loop Header: Depth=1
	v_mov_b32_e32 v4, v2
	v_lshlrev_b64 v[26:27], 2, v[4:5]
	v_add_u32_e32 v12, 0x400, v3
	v_mov_b32_e32 v13, v5
	v_add_co_u32_e32 v26, vcc, s19, v26
	v_lshlrev_b64 v[12:13], 2, v[12:13]
	v_addc_co_u32_e32 v27, vcc, v10, v27, vcc
	v_add_u32_e32 v14, 0x800, v3
	v_mov_b32_e32 v15, v5
	v_add_co_u32_e32 v12, vcc, s19, v12
	v_lshlrev_b64 v[14:15], 2, v[14:15]
	v_addc_co_u32_e32 v13, vcc, v10, v13, vcc
	;; [unrolled: 5-line block ×7, first 2 shown]
	v_mov_b32_e32 v4, v3
	v_add_co_u32_e32 v24, vcc, s19, v24
	v_lshlrev_b64 v[28:29], 2, v[4:5]
	v_addc_co_u32_e32 v25, vcc, v10, v25, vcc
	v_add_u32_e32 v4, 0x400, v2
	v_add_co_u32_e32 v28, vcc, s19, v28
	v_addc_co_u32_e32 v29, vcc, v10, v29, vcc
	global_load_dword v1, v[26:27], off
	v_lshlrev_b64 v[26:27], 2, v[4:5]
	v_add_u32_e32 v4, 0x800, v2
	v_add_co_u32_e32 v26, vcc, s19, v26
	v_addc_co_u32_e32 v27, vcc, v10, v27, vcc
	v_lshlrev_b64 v[30:31], 2, v[4:5]
	v_add_u32_e32 v4, 0xc00, v2
	global_load_dword v11, v[28:29], off
	global_load_dword v32, v[26:27], off
	;; [unrolled: 1-line block ×3, first 2 shown]
	v_add_co_u32_e32 v12, vcc, s19, v30
	v_addc_co_u32_e32 v13, vcc, v10, v31, vcc
	v_lshlrev_b64 v[26:27], 2, v[4:5]
	v_add_u32_e32 v4, 0x1000, v2
	v_add_co_u32_e32 v26, vcc, s19, v26
	v_addc_co_u32_e32 v27, vcc, v10, v27, vcc
	v_lshlrev_b64 v[28:29], 2, v[4:5]
	v_add_u32_e32 v4, 0x1400, v2
	global_load_dword v30, v[12:13], off
	global_load_dword v31, v[14:15], off
	;; [unrolled: 1-line block ×4, first 2 shown]
	v_add_co_u32_e32 v12, vcc, s19, v28
	v_addc_co_u32_e32 v13, vcc, v10, v29, vcc
	v_lshlrev_b64 v[14:15], 2, v[4:5]
	v_add_u32_e32 v4, 0x1800, v2
	v_add_co_u32_e32 v14, vcc, s19, v14
	v_addc_co_u32_e32 v15, vcc, v10, v15, vcc
	v_lshlrev_b64 v[16:17], 2, v[4:5]
	v_add_u32_e32 v4, 0x1c00, v2
	global_load_dword v26, v[12:13], off
	global_load_dword v27, v[18:19], off
	;; [unrolled: 1-line block ×4, first 2 shown]
	v_add_co_u32_e32 v12, vcc, s19, v16
	v_addc_co_u32_e32 v13, vcc, v10, v17, vcc
	v_lshlrev_b64 v[14:15], 2, v[4:5]
	v_add_co_u32_e32 v14, vcc, s19, v14
	v_addc_co_u32_e32 v15, vcc, v10, v15, vcc
	global_load_dword v16, v[12:13], off
	global_load_dword v17, v[22:23], off
	;; [unrolled: 1-line block ×4, first 2 shown]
	v_add_u32_e32 v8, -8, v8
	s_add_i32 s21, s21, 16
	v_cmp_eq_u32_e32 vcc, 0, v8
	v_add_u32_e32 v3, 0x2000, v3
	v_mov_b32_e32 v4, s21
	s_or_b64 s[12:13], vcc, s[12:13]
	v_add_u32_e32 v2, 0x2000, v2
	s_waitcnt vmcnt(14)
	ds_write2st64_b32 v9, v1, v11 offset1:8
	s_waitcnt vmcnt(12)
	ds_write2st64_b32 v9, v32, v33 offset0:16 offset1:24
	s_waitcnt vmcnt(10)
	ds_write2st64_b32 v9, v30, v31 offset0:32 offset1:40
	;; [unrolled: 2-line block ×7, first 2 shown]
	v_add_u32_e32 v9, 0x8000, v9
	s_andn2_b64 exec, exec, s[12:13]
	s_cbranch_execnz .LBB38_4
; %bb.5:
	s_or_b64 exec, exec, s[12:13]
.LBB38_6:
	s_or_b64 exec, exec, s[10:11]
	v_and_b32_e32 v1, 7, v7
	v_cmp_ne_u32_e32 vcc, 0, v1
	s_and_saveexec_b64 s[10:11], vcc
	s_cbranch_execz .LBB38_9
; %bb.7:
	v_lshlrev_b32_e32 v5, 2, v0
	v_lshl_or_b32 v4, v4, 11, v5
	v_add_u32_e32 v7, 0, v4
	s_mov_b64 s[12:13], 0
	v_mov_b32_e32 v8, s20
	v_mov_b32_e32 v5, 0
.LBB38_8:                               ; =>This Inner Loop Header: Depth=1
	v_mov_b32_e32 v4, v2
	v_lshlrev_b64 v[10:11], 2, v[4:5]
	v_mov_b32_e32 v4, v3
	v_add_co_u32_e32 v10, vcc, s19, v10
	v_addc_co_u32_e32 v11, vcc, v8, v11, vcc
	v_lshlrev_b64 v[12:13], 2, v[4:5]
	v_add_co_u32_e32 v12, vcc, s19, v12
	v_addc_co_u32_e32 v13, vcc, v8, v13, vcc
	global_load_dword v4, v[10:11], off
	global_load_dword v9, v[12:13], off
	v_add_u32_e32 v1, -1, v1
	v_cmp_eq_u32_e32 vcc, 0, v1
	v_add_u32_e32 v2, 0x400, v2
	v_add_u32_e32 v3, 0x400, v3
	s_or_b64 s[12:13], vcc, s[12:13]
	s_waitcnt vmcnt(0)
	ds_write2st64_b32 v7, v4, v9 offset1:8
	v_add_u32_e32 v7, 0x1000, v7
	s_andn2_b64 exec, exec, s[12:13]
	s_cbranch_execnz .LBB38_8
.LBB38_9:
	s_or_b64 exec, exec, s[10:11]
	v_add_u32_e32 v1, 1, v6
	v_and_b32_e32 v3, 0xfffffe, v1
	v_cmp_ne_u32_e32 vcc, v1, v3
	v_lshl_or_b32 v2, v3, 9, v0
	s_orn2_b64 s[10:11], vcc, exec
.LBB38_10:
	s_or_b64 exec, exec, s[8:9]
	s_and_b64 exec, exec, s[10:11]
	s_cbranch_execz .LBB38_13
; %bb.11:
	s_lshl_b64 s[8:9], s[4:5], 3
	v_mov_b32_e32 v3, 0
	s_add_u32 s2, s2, s8
	v_lshlrev_b64 v[4:5], 2, v[2:3]
	s_addc_u32 s3, s3, s9
	v_mov_b32_e32 v1, s3
	v_add_co_u32_e32 v4, vcc, s2, v4
	v_addc_co_u32_e32 v5, vcc, v1, v5, vcc
	v_lshl_add_u32 v1, v2, 2, 0
	s_mov_b64 s[2:3], 0
.LBB38_12:                              ; =>This Inner Loop Header: Depth=1
	global_load_dword v3, v[4:5], off
	v_add_co_u32_e32 v4, vcc, 0x800, v4
	v_add_u32_e32 v2, 0x200, v2
	v_addc_co_u32_e32 v5, vcc, 0, v5, vcc
	v_cmp_le_i32_e32 vcc, s18, v2
	s_or_b64 s[2:3], vcc, s[2:3]
	s_waitcnt vmcnt(0)
	ds_write_b32 v1, v3
	v_add_u32_e32 v1, 0x800, v1
	s_andn2_b64 exec, exec, s[2:3]
	s_cbranch_execnz .LBB38_12
.LBB38_13:
	s_or_b64 exec, exec, s[6:7]
	v_mov_b32_e32 v1, 0
	s_waitcnt lgkmcnt(0)
	s_barrier
	ds_read_b32 v1, v1
	s_cmp_lt_i32 s17, 2
	s_cbranch_scc1 .LBB38_21
; %bb.14:
	s_add_i32 s2, s17, -1
	s_add_i32 s3, s17, -2
	s_cmp_lt_u32 s3, 7
	s_cbranch_scc1 .LBB38_18
; %bb.15:
	s_mov_b32 s6, 0
	s_add_i32 s3, 0, 8
	s_and_b32 s5, s2, -8
.LBB38_16:                              ; =>This Inner Loop Header: Depth=1
	v_mov_b32_e32 v8, s3
	ds_read2_b32 v[2:3], v8 offset1:2
	ds_read2_b32 v[4:5], v8 offset0:4 offset1:6
	ds_read2_b32 v[6:7], v8 offset0:8 offset1:10
	;; [unrolled: 1-line block ×3, first 2 shown]
	s_mov_b32 s7, s6
	s_waitcnt lgkmcnt(3)
	v_max3_f32 v1, v1, v2, v3
	s_waitcnt lgkmcnt(2)
	v_max3_f32 v1, v1, v4, v5
	s_add_i32 s3, s3, 64
	s_add_i32 s6, s6, 8
	s_waitcnt lgkmcnt(1)
	v_max3_f32 v1, v1, v6, v7
	s_cmp_eq_u32 s5, s6
	s_waitcnt lgkmcnt(0)
	v_max3_f32 v1, v1, v8, v9
	s_cbranch_scc0 .LBB38_16
; %bb.17:
	s_add_i32 s3, s7, 9
	s_and_b32 s2, s2, 7
	s_cmp_eq_u32 s2, 0
	s_cbranch_scc0 .LBB38_19
	s_branch .LBB38_21
.LBB38_18:
	s_mov_b32 s3, 1
	s_and_b32 s2, s2, 7
	s_cmp_eq_u32 s2, 0
	s_cbranch_scc1 .LBB38_21
.LBB38_19:
	s_lshl_b32 s3, s3, 3
	s_add_i32 s3, s3, 0
.LBB38_20:                              ; =>This Inner Loop Header: Depth=1
	v_mov_b32_e32 v2, s3
	ds_read_b32 v2, v2
	s_waitcnt lgkmcnt(1)
	v_max_f32_e32 v1, v1, v1
	s_add_i32 s3, s3, 8
	s_add_i32 s2, s2, -1
	s_cmp_lg_u32 s2, 0
	s_waitcnt lgkmcnt(0)
	v_max_f32_e32 v2, v2, v2
	v_max_f32_e32 v1, v1, v2
	s_cbranch_scc1 .LBB38_20
.LBB38_21:
	s_cmp_lt_i32 s17, 1
	s_cbranch_scc1 .LBB38_26
; %bb.22:
	s_lshl_b32 s2, s4, 9
	s_ashr_i32 s3, s2, 31
	s_lshl_b64 s[2:3], s[2:3], 2
	s_add_u32 s18, s0, s2
	s_addc_u32 s19, s1, s3
	s_cmp_lt_u32 s17, 8
	v_mov_b32_e32 v6, 0
	s_cbranch_scc1 .LBB38_27
; %bb.23:
	s_and_b32 s20, s17, 0x7ffffff8
	v_or_b32_e32 v2, 0xe00, v0
	s_mov_b32 s21, 0
	v_mov_b32_e32 v5, 0
	s_mov_b32 s22, 0x3fb8aa3b
	s_mov_b32 s23, 0xc2ce8ed0
	;; [unrolled: 1-line block ×3, first 2 shown]
	v_mov_b32_e32 v8, 0x7f800000
	v_mov_b32_e32 v9, s19
	s_mov_b32 s25, 0
	v_mov_b32_e32 v7, 0
	v_mov_b32_e32 v6, 0
.LBB38_24:                              ; =>This Inner Loop Header: Depth=1
	v_add_u32_e32 v4, 0xfffff200, v2
	v_lshlrev_b64 v[26:27], 2, v[4:5]
	v_mov_b32_e32 v3, v5
	v_add_co_u32_e32 v26, vcc, s18, v26
	v_lshlrev_b64 v[28:29], 2, v[2:3]
	v_addc_co_u32_e32 v27, vcc, v9, v27, vcc
	v_add_u32_e32 v4, 0xfffff400, v2
	v_add_co_u32_e32 v28, vcc, s18, v28
	v_mov_b32_e32 v22, s21
	v_lshlrev_b64 v[30:31], 2, v[4:5]
	v_addc_co_u32_e32 v29, vcc, v9, v29, vcc
	ds_read2_b64 v[10:13], v22 offset1:1
	ds_read2_b64 v[14:17], v22 offset0:2 offset1:3
	ds_read2_b64 v[18:21], v22 offset0:4 offset1:5
	;; [unrolled: 1-line block ×3, first 2 shown]
	v_add_u32_e32 v4, 0xfffff600, v2
	global_load_dword v3, v[26:27], off
	v_add_co_u32_e32 v26, vcc, s18, v30
	v_addc_co_u32_e32 v27, vcc, v9, v31, vcc
	v_lshlrev_b64 v[30:31], 2, v[4:5]
	v_add_u32_e32 v4, 0xfffff800, v2
	v_add_co_u32_e32 v30, vcc, s18, v30
	v_addc_co_u32_e32 v31, vcc, v9, v31, vcc
	v_lshlrev_b64 v[32:33], 2, v[4:5]
	v_add_u32_e32 v4, 0xfffffa00, v2
	global_load_dword v34, v[26:27], off
	global_load_dword v35, v[30:31], off
	v_add_co_u32_e32 v26, vcc, s18, v32
	v_addc_co_u32_e32 v27, vcc, v9, v33, vcc
	v_lshlrev_b64 v[30:31], 2, v[4:5]
	v_add_u32_e32 v4, 0xfffffc00, v2
	v_add_co_u32_e32 v30, vcc, s18, v30
	v_addc_co_u32_e32 v31, vcc, v9, v31, vcc
	v_lshlrev_b64 v[32:33], 2, v[4:5]
	global_load_dword v36, v[26:27], off
	v_add_u32_e32 v4, 0xfffffe00, v2
	global_load_dword v28, v[28:29], off
	v_add_co_u32_e32 v26, vcc, s18, v32
	v_addc_co_u32_e32 v27, vcc, v9, v33, vcc
	global_load_dword v42, v[30:31], off
	s_waitcnt lgkmcnt(3)
	v_sub_f32_e32 v12, v12, v1
	global_load_dword v26, v[26:27], off
	v_lshlrev_b64 v[30:31], 2, v[4:5]
	v_add_co_u32_e32 v30, vcc, s18, v30
	v_addc_co_u32_e32 v31, vcc, v9, v31, vcc
	global_load_dword v30, v[30:31], off
	s_waitcnt lgkmcnt(2)
	v_sub_f32_e32 v14, v14, v1
	v_sub_f32_e32 v10, v10, v1
	v_mul_f32_e32 v38, 0x3fb8aa3b, v12
	v_mul_f32_e32 v39, 0x3fb8aa3b, v14
	s_waitcnt lgkmcnt(1)
	v_sub_f32_e32 v18, v18, v1
	s_waitcnt lgkmcnt(0)
	v_sub_f32_e32 v22, v22, v1
	v_mul_f32_e32 v37, 0x3fb8aa3b, v10
	v_fma_f32 v45, v12, s22, -v38
	v_rndne_f32_e32 v46, v38
	v_fma_f32 v47, v14, s22, -v39
	v_rndne_f32_e32 v48, v39
	v_sub_f32_e32 v16, v16, v1
	v_sub_f32_e32 v20, v20, v1
	v_mul_f32_e32 v41, 0x3fb8aa3b, v18
	v_mul_f32_e32 v32, 0x3fb8aa3b, v22
	v_fma_f32 v33, v10, s22, -v37
	v_rndne_f32_e32 v44, v37
	v_fmac_f32_e32 v45, 0x32a5705f, v12
	v_sub_f32_e32 v38, v38, v46
	v_fmac_f32_e32 v47, 0x32a5705f, v14
	v_sub_f32_e32 v39, v39, v48
	v_mul_f32_e32 v40, 0x3fb8aa3b, v16
	v_mul_f32_e32 v43, 0x3fb8aa3b, v20
	v_fma_f32 v27, v18, s22, -v41
	v_rndne_f32_e32 v31, v41
	v_fmac_f32_e32 v33, 0x32a5705f, v10
	v_sub_f32_e32 v37, v37, v44
	v_add_f32_e32 v38, v38, v45
	v_fma_f32 v45, v22, s22, -v32
	v_add_f32_e32 v39, v39, v47
	v_rndne_f32_e32 v47, v32
	v_fma_f32 v49, v16, s22, -v40
	v_rndne_f32_e32 v50, v40
	v_fma_f32 v29, v20, s22, -v43
	v_add_f32_e32 v33, v37, v33
	v_rndne_f32_e32 v37, v43
	v_fmac_f32_e32 v27, 0x32a5705f, v18
	v_sub_f32_e32 v41, v41, v31
	v_fmac_f32_e32 v45, 0x32a5705f, v22
	v_sub_f32_e32 v32, v32, v47
	;; [unrolled: 2-line block ×3, first 2 shown]
	v_add_f32_e32 v27, v41, v27
	v_cvt_i32_f32_e32 v44, v44
	v_fmac_f32_e32 v29, 0x32a5705f, v20
	v_sub_f32_e32 v43, v43, v37
	v_add_f32_e32 v32, v32, v45
	v_exp_f32_e32 v33, v33
	v_add_f32_e32 v40, v40, v49
	v_cvt_i32_f32_e32 v46, v46
	v_cvt_i32_f32_e32 v31, v31
	;; [unrolled: 1-line block ×3, first 2 shown]
	v_add_f32_e32 v29, v43, v29
	v_exp_f32_e32 v38, v38
	v_exp_f32_e32 v27, v27
	;; [unrolled: 1-line block ×3, first 2 shown]
	v_sub_f32_e32 v24, v24, v1
	v_cvt_i32_f32_e32 v48, v48
	v_cvt_i32_f32_e32 v50, v50
	;; [unrolled: 1-line block ×3, first 2 shown]
	v_exp_f32_e32 v39, v39
	v_exp_f32_e32 v40, v40
	;; [unrolled: 1-line block ×3, first 2 shown]
	v_mul_f32_e32 v4, 0x3fb8aa3b, v24
	v_fma_f32 v49, v24, s22, -v4
	v_rndne_f32_e32 v41, v4
	v_ldexp_f32 v33, v33, v44
	v_cmp_ngt_f32_e64 s[12:13], s23, v10
	v_fmac_f32_e32 v49, 0x32a5705f, v24
	v_sub_f32_e32 v4, v4, v41
	v_ldexp_f32 v38, v38, v46
	v_cmp_ngt_f32_e32 vcc, s23, v12
	v_ldexp_f32 v27, v27, v31
	v_ldexp_f32 v31, v32, v47
	v_cndmask_b32_e64 v32, 0, v33, s[12:13]
	v_cmp_nlt_f32_e64 s[12:13], s24, v10
	v_add_f32_e32 v4, v4, v49
	v_ldexp_f32 v39, v39, v48
	v_cmp_ngt_f32_e64 s[0:1], s23, v14
	v_ldexp_f32 v40, v40, v50
	v_cmp_ngt_f32_e64 s[2:3], s23, v16
	v_cmp_ngt_f32_e64 s[4:5], s23, v18
	v_ldexp_f32 v29, v29, v37
	v_cmp_ngt_f32_e64 s[6:7], s23, v20
	v_cmp_ngt_f32_e64 s[8:9], s23, v22
	v_cndmask_b32_e32 v33, 0, v38, vcc
	v_cmp_nlt_f32_e32 vcc, s24, v12
	v_cndmask_b32_e64 v10, v8, v32, s[12:13]
	v_cvt_i32_f32_e32 v41, v41
	v_exp_f32_e32 v4, v4
	v_cndmask_b32_e64 v12, 0, v39, s[0:1]
	v_cmp_nlt_f32_e64 s[0:1], s24, v14
	v_cndmask_b32_e64 v14, 0, v40, s[2:3]
	v_cmp_nlt_f32_e64 s[2:3], s24, v16
	;; [unrolled: 2-line block ×5, first 2 shown]
	v_cndmask_b32_e32 v22, v8, v33, vcc
	v_fmac_f32_e32 v7, v10, v11
	s_waitcnt vmcnt(7)
	v_fmac_f32_e32 v6, v3, v10
	v_cndmask_b32_e64 v12, v8, v12, s[0:1]
	v_fmac_f32_e32 v7, v22, v13
	s_waitcnt vmcnt(6)
	v_fmac_f32_e32 v6, v34, v22
	v_cndmask_b32_e64 v14, v8, v14, s[2:3]
	;; [unrolled: 4-line block ×3, first 2 shown]
	v_fmac_f32_e32 v7, v14, v17
	s_waitcnt vmcnt(4)
	v_fmac_f32_e32 v6, v36, v14
	v_ldexp_f32 v4, v4, v41
	v_cmp_ngt_f32_e64 s[10:11], s23, v24
	v_cndmask_b32_e64 v18, v8, v18, s[6:7]
	v_fmac_f32_e32 v7, v16, v19
	s_waitcnt vmcnt(2)
	v_fmac_f32_e32 v6, v42, v16
	v_cndmask_b32_e64 v4, 0, v4, s[10:11]
	v_cmp_nlt_f32_e64 s[10:11], s24, v24
	v_cndmask_b32_e64 v20, v8, v20, s[8:9]
	v_fmac_f32_e32 v7, v18, v21
	s_waitcnt vmcnt(1)
	v_fmac_f32_e32 v6, v26, v18
	s_add_i32 s25, s25, 8
	s_add_i32 s21, s21, 64
	v_cndmask_b32_e64 v4, v8, v4, s[10:11]
	v_fmac_f32_e32 v7, v20, v23
	s_waitcnt vmcnt(0)
	v_fmac_f32_e32 v6, v30, v20
	s_cmp_eq_u32 s20, s25
	v_add_u32_e32 v2, 0x1000, v2
	v_fmac_f32_e32 v7, v4, v25
	v_fmac_f32_e32 v6, v28, v4
	s_cbranch_scc0 .LBB38_24
; %bb.25:
	s_and_b32 s0, s17, 7
	s_cmp_eq_u32 s0, 0
	s_cbranch_scc0 .LBB38_28
	s_branch .LBB38_30
.LBB38_26:
	s_waitcnt lgkmcnt(0)
	v_mov_b32_e32 v1, 0x7fc00000
	s_branch .LBB38_31
.LBB38_27:
	s_mov_b32 s20, 0
	v_mov_b32_e32 v7, 0
	s_and_b32 s0, s17, 7
	s_cmp_eq_u32 s0, 0
	s_cbranch_scc1 .LBB38_30
.LBB38_28:
	s_lshl_b32 s1, s20, 3
	v_lshl_or_b32 v2, s20, 9, v0
	s_add_i32 s1, s1, 0
	s_mov_b32 s2, 0x3fb8aa3b
	s_mov_b32 s3, 0xc2ce8ed0
	s_mov_b32 s4, 0x42b17218
	v_mov_b32_e32 v4, 0x7f800000
	v_mov_b32_e32 v3, 0
	;; [unrolled: 1-line block ×3, first 2 shown]
.LBB38_29:                              ; =>This Inner Loop Header: Depth=1
	v_lshlrev_b64 v[8:9], 2, v[2:3]
	v_add_co_u32_e32 v8, vcc, s18, v8
	v_addc_co_u32_e32 v9, vcc, v5, v9, vcc
	global_load_dword v10, v[8:9], off
	v_mov_b32_e32 v8, s1
	ds_read_b64 v[8:9], v8
	s_add_i32 s1, s1, 8
	s_add_i32 s0, s0, -1
	v_add_u32_e32 v2, 0x200, v2
	s_cmp_lg_u32 s0, 0
	s_waitcnt lgkmcnt(0)
	v_sub_f32_e32 v8, v8, v1
	v_mul_f32_e32 v11, 0x3fb8aa3b, v8
	v_fma_f32 v12, v8, s2, -v11
	v_rndne_f32_e32 v13, v11
	v_fmac_f32_e32 v12, 0x32a5705f, v8
	v_sub_f32_e32 v11, v11, v13
	v_add_f32_e32 v11, v11, v12
	v_cvt_i32_f32_e32 v13, v13
	v_exp_f32_e32 v11, v11
	v_cmp_ngt_f32_e32 vcc, s3, v8
	v_ldexp_f32 v11, v11, v13
	v_cndmask_b32_e32 v11, 0, v11, vcc
	v_cmp_nlt_f32_e32 vcc, s4, v8
	v_cndmask_b32_e32 v8, v4, v11, vcc
	v_fmac_f32_e32 v7, v8, v9
	s_waitcnt vmcnt(0)
	v_fmac_f32_e32 v6, v10, v8
	s_cbranch_scc1 .LBB38_29
.LBB38_30:
	s_waitcnt lgkmcnt(0)
	v_div_scale_f32 v1, s[0:1], v7, v7, v6
	v_rcp_f32_e32 v2, v1
	v_div_scale_f32 v3, vcc, v6, v7, v6
	v_fma_f32 v4, -v1, v2, 1.0
	v_fmac_f32_e32 v2, v4, v2
	v_mul_f32_e32 v4, v3, v2
	v_fma_f32 v5, -v1, v4, v3
	v_fmac_f32_e32 v4, v5, v2
	v_fma_f32 v1, -v1, v4, v3
	v_div_fmas_f32 v1, v1, v2, v4
	v_div_fixup_f32 v1, v1, v7, v6
.LBB38_31:
	s_lshl_b32 s0, s16, 9
	s_ashr_i32 s1, s0, 31
	s_lshl_b64 s[0:1], s[0:1], 2
	s_add_u32 s0, s14, s0
	s_addc_u32 s1, s15, s1
	v_lshlrev_b32_e32 v0, 2, v0
	global_store_dword v0, v1, s[0:1]
	s_endpgm
	.section	.rodata,"a",@progbits
	.p2align	6, 0x0
	.amdhsa_kernel _ZL26flash_attn_combine_resultsILi512EEvPKfPK15HIP_vector_typeIfLj2EEPfi
		.amdhsa_group_segment_fixed_size 0
		.amdhsa_private_segment_fixed_size 0
		.amdhsa_kernarg_size 288
		.amdhsa_user_sgpr_count 6
		.amdhsa_user_sgpr_private_segment_buffer 1
		.amdhsa_user_sgpr_dispatch_ptr 0
		.amdhsa_user_sgpr_queue_ptr 0
		.amdhsa_user_sgpr_kernarg_segment_ptr 1
		.amdhsa_user_sgpr_dispatch_id 0
		.amdhsa_user_sgpr_flat_scratch_init 0
		.amdhsa_user_sgpr_kernarg_preload_length 0
		.amdhsa_user_sgpr_kernarg_preload_offset 0
		.amdhsa_user_sgpr_private_segment_size 0
		.amdhsa_uses_dynamic_stack 0
		.amdhsa_system_sgpr_private_segment_wavefront_offset 0
		.amdhsa_system_sgpr_workgroup_id_x 1
		.amdhsa_system_sgpr_workgroup_id_y 1
		.amdhsa_system_sgpr_workgroup_id_z 1
		.amdhsa_system_sgpr_workgroup_info 0
		.amdhsa_system_vgpr_workitem_id 0
		.amdhsa_next_free_vgpr 51
		.amdhsa_next_free_sgpr 26
		.amdhsa_accum_offset 52
		.amdhsa_reserve_vcc 1
		.amdhsa_reserve_flat_scratch 0
		.amdhsa_float_round_mode_32 0
		.amdhsa_float_round_mode_16_64 0
		.amdhsa_float_denorm_mode_32 3
		.amdhsa_float_denorm_mode_16_64 3
		.amdhsa_dx10_clamp 1
		.amdhsa_ieee_mode 1
		.amdhsa_fp16_overflow 0
		.amdhsa_tg_split 0
		.amdhsa_exception_fp_ieee_invalid_op 0
		.amdhsa_exception_fp_denorm_src 0
		.amdhsa_exception_fp_ieee_div_zero 0
		.amdhsa_exception_fp_ieee_overflow 0
		.amdhsa_exception_fp_ieee_underflow 0
		.amdhsa_exception_fp_ieee_inexact 0
		.amdhsa_exception_int_div_zero 0
	.end_amdhsa_kernel
	.section	.text._ZL26flash_attn_combine_resultsILi512EEvPKfPK15HIP_vector_typeIfLj2EEPfi,"axG",@progbits,_ZL26flash_attn_combine_resultsILi512EEvPKfPK15HIP_vector_typeIfLj2EEPfi,comdat
.Lfunc_end38:
	.size	_ZL26flash_attn_combine_resultsILi512EEvPKfPK15HIP_vector_typeIfLj2EEPfi, .Lfunc_end38-_ZL26flash_attn_combine_resultsILi512EEvPKfPK15HIP_vector_typeIfLj2EEPfi
                                        ; -- End function
	.section	.AMDGPU.csdata,"",@progbits
; Kernel info:
; codeLenInByte = 3048
; NumSgprs: 30
; NumVgprs: 51
; NumAgprs: 0
; TotalNumVgprs: 51
; ScratchSize: 0
; MemoryBound: 0
; FloatMode: 240
; IeeeMode: 1
; LDSByteSize: 0 bytes/workgroup (compile time only)
; SGPRBlocks: 3
; VGPRBlocks: 6
; NumSGPRsForWavesPerEU: 30
; NumVGPRsForWavesPerEU: 51
; AccumOffset: 52
; Occupancy: 8
; WaveLimiterHint : 0
; COMPUTE_PGM_RSRC2:SCRATCH_EN: 0
; COMPUTE_PGM_RSRC2:USER_SGPR: 6
; COMPUTE_PGM_RSRC2:TRAP_HANDLER: 0
; COMPUTE_PGM_RSRC2:TGID_X_EN: 1
; COMPUTE_PGM_RSRC2:TGID_Y_EN: 1
; COMPUTE_PGM_RSRC2:TGID_Z_EN: 1
; COMPUTE_PGM_RSRC2:TIDIG_COMP_CNT: 0
; COMPUTE_PGM_RSRC3_GFX90A:ACCUM_OFFSET: 12
; COMPUTE_PGM_RSRC3_GFX90A:TG_SPLIT: 0
	.section	.text._ZL18flash_attn_ext_f16ILi576ELi512ELi16ELi4ELb0ELb1EEvPKcS1_S1_S1_S1_PKiPfP15HIP_vector_typeIfLj2EEffffjfiS5_IjLj3EEiiiiiiiiiiiliiliiiiil,"axG",@progbits,_ZL18flash_attn_ext_f16ILi576ELi512ELi16ELi4ELb0ELb1EEvPKcS1_S1_S1_S1_PKiPfP15HIP_vector_typeIfLj2EEffffjfiS5_IjLj3EEiiiiiiiiiiiliiliiiiil,comdat
	.globl	_ZL18flash_attn_ext_f16ILi576ELi512ELi16ELi4ELb0ELb1EEvPKcS1_S1_S1_S1_PKiPfP15HIP_vector_typeIfLj2EEffffjfiS5_IjLj3EEiiiiiiiiiiiliiliiiiil ; -- Begin function _ZL18flash_attn_ext_f16ILi576ELi512ELi16ELi4ELb0ELb1EEvPKcS1_S1_S1_S1_PKiPfP15HIP_vector_typeIfLj2EEffffjfiS5_IjLj3EEiiiiiiiiiiiliiliiiiil
	.p2align	8
	.type	_ZL18flash_attn_ext_f16ILi576ELi512ELi16ELi4ELb0ELb1EEvPKcS1_S1_S1_S1_PKiPfP15HIP_vector_typeIfLj2EEffffjfiS5_IjLj3EEiiiiiiiiiiiliiliiiiil,@function
_ZL18flash_attn_ext_f16ILi576ELi512ELi16ELi4ELb0ELb1EEvPKcS1_S1_S1_S1_PKiPfP15HIP_vector_typeIfLj2EEffffjfiS5_IjLj3EEiiiiiiiiiiiliiliiiiil: ; @_ZL18flash_attn_ext_f16ILi576ELi512ELi16ELi4ELb0ELb1EEvPKcS1_S1_S1_S1_PKiPfP15HIP_vector_typeIfLj2EEffffjfiS5_IjLj3EEiiiiiiiiiiiliiliiiiil
; %bb.0:
	s_add_u32 flat_scratch_lo, s6, s9
	s_addc_u32 flat_scratch_hi, s7, 0
	s_add_u32 s0, s0, s9
	s_addc_u32 s1, s1, 0
	s_add_u32 s8, s4, 0xd0
	s_addc_u32 s9, s5, 0
	v_mov_b32_e32 v0, 0x6ea
	s_mov_b32 s32, 0
	s_getpc_b64 s[4:5]
	s_add_u32 s4, s4, _ZL14no_device_codePKciS0_iS0_@rel32@lo+4
	s_addc_u32 s5, s5, _ZL14no_device_codePKciS0_iS0_@rel32@hi+12
	s_swappc_b64 s[30:31], s[4:5]
	.section	.rodata,"a",@progbits
	.p2align	6, 0x0
	.amdhsa_kernel _ZL18flash_attn_ext_f16ILi576ELi512ELi16ELi4ELb0ELb1EEvPKcS1_S1_S1_S1_PKiPfP15HIP_vector_typeIfLj2EEffffjfiS5_IjLj3EEiiiiiiiiiiiliiliiiiil
		.amdhsa_group_segment_fixed_size 0
		.amdhsa_private_segment_fixed_size 16
		.amdhsa_kernarg_size 464
		.amdhsa_user_sgpr_count 8
		.amdhsa_user_sgpr_private_segment_buffer 1
		.amdhsa_user_sgpr_dispatch_ptr 0
		.amdhsa_user_sgpr_queue_ptr 0
		.amdhsa_user_sgpr_kernarg_segment_ptr 1
		.amdhsa_user_sgpr_dispatch_id 0
		.amdhsa_user_sgpr_flat_scratch_init 1
		.amdhsa_user_sgpr_kernarg_preload_length 0
		.amdhsa_user_sgpr_kernarg_preload_offset 0
		.amdhsa_user_sgpr_private_segment_size 0
		.amdhsa_uses_dynamic_stack 0
		.amdhsa_system_sgpr_private_segment_wavefront_offset 1
		.amdhsa_system_sgpr_workgroup_id_x 1
		.amdhsa_system_sgpr_workgroup_id_y 0
		.amdhsa_system_sgpr_workgroup_id_z 0
		.amdhsa_system_sgpr_workgroup_info 0
		.amdhsa_system_vgpr_workitem_id 0
		.amdhsa_next_free_vgpr 39
		.amdhsa_next_free_sgpr 34
		.amdhsa_accum_offset 40
		.amdhsa_reserve_vcc 1
		.amdhsa_reserve_flat_scratch 1
		.amdhsa_float_round_mode_32 0
		.amdhsa_float_round_mode_16_64 0
		.amdhsa_float_denorm_mode_32 3
		.amdhsa_float_denorm_mode_16_64 3
		.amdhsa_dx10_clamp 1
		.amdhsa_ieee_mode 1
		.amdhsa_fp16_overflow 0
		.amdhsa_tg_split 0
		.amdhsa_exception_fp_ieee_invalid_op 0
		.amdhsa_exception_fp_denorm_src 0
		.amdhsa_exception_fp_ieee_div_zero 0
		.amdhsa_exception_fp_ieee_overflow 0
		.amdhsa_exception_fp_ieee_underflow 0
		.amdhsa_exception_fp_ieee_inexact 0
		.amdhsa_exception_int_div_zero 0
	.end_amdhsa_kernel
	.section	.text._ZL18flash_attn_ext_f16ILi576ELi512ELi16ELi4ELb0ELb1EEvPKcS1_S1_S1_S1_PKiPfP15HIP_vector_typeIfLj2EEffffjfiS5_IjLj3EEiiiiiiiiiiiliiliiiiil,"axG",@progbits,_ZL18flash_attn_ext_f16ILi576ELi512ELi16ELi4ELb0ELb1EEvPKcS1_S1_S1_S1_PKiPfP15HIP_vector_typeIfLj2EEffffjfiS5_IjLj3EEiiiiiiiiiiiliiliiiiil,comdat
.Lfunc_end39:
	.size	_ZL18flash_attn_ext_f16ILi576ELi512ELi16ELi4ELb0ELb1EEvPKcS1_S1_S1_S1_PKiPfP15HIP_vector_typeIfLj2EEffffjfiS5_IjLj3EEiiiiiiiiiiiliiliiiiil, .Lfunc_end39-_ZL18flash_attn_ext_f16ILi576ELi512ELi16ELi4ELb0ELb1EEvPKcS1_S1_S1_S1_PKiPfP15HIP_vector_typeIfLj2EEffffjfiS5_IjLj3EEiiiiiiiiiiiliiliiiiil
                                        ; -- End function
	.section	.AMDGPU.csdata,"",@progbits
; Kernel info:
; codeLenInByte = 64
; NumSgprs: 40
; NumVgprs: 39
; NumAgprs: 0
; TotalNumVgprs: 39
; ScratchSize: 16
; MemoryBound: 0
; FloatMode: 240
; IeeeMode: 1
; LDSByteSize: 0 bytes/workgroup (compile time only)
; SGPRBlocks: 4
; VGPRBlocks: 4
; NumSGPRsForWavesPerEU: 40
; NumVGPRsForWavesPerEU: 39
; AccumOffset: 40
; Occupancy: 8
; WaveLimiterHint : 1
; COMPUTE_PGM_RSRC2:SCRATCH_EN: 1
; COMPUTE_PGM_RSRC2:USER_SGPR: 8
; COMPUTE_PGM_RSRC2:TRAP_HANDLER: 0
; COMPUTE_PGM_RSRC2:TGID_X_EN: 1
; COMPUTE_PGM_RSRC2:TGID_Y_EN: 0
; COMPUTE_PGM_RSRC2:TGID_Z_EN: 0
; COMPUTE_PGM_RSRC2:TIDIG_COMP_CNT: 0
; COMPUTE_PGM_RSRC3_GFX90A:ACCUM_OFFSET: 9
; COMPUTE_PGM_RSRC3_GFX90A:TG_SPLIT: 0
	.section	.text._ZL18flash_attn_ext_f16ILi576ELi512ELi16ELi4ELb1ELb1EEvPKcS1_S1_S1_S1_PKiPfP15HIP_vector_typeIfLj2EEffffjfiS5_IjLj3EEiiiiiiiiiiiliiliiiiil,"axG",@progbits,_ZL18flash_attn_ext_f16ILi576ELi512ELi16ELi4ELb1ELb1EEvPKcS1_S1_S1_S1_PKiPfP15HIP_vector_typeIfLj2EEffffjfiS5_IjLj3EEiiiiiiiiiiiliiliiiiil,comdat
	.globl	_ZL18flash_attn_ext_f16ILi576ELi512ELi16ELi4ELb1ELb1EEvPKcS1_S1_S1_S1_PKiPfP15HIP_vector_typeIfLj2EEffffjfiS5_IjLj3EEiiiiiiiiiiiliiliiiiil ; -- Begin function _ZL18flash_attn_ext_f16ILi576ELi512ELi16ELi4ELb1ELb1EEvPKcS1_S1_S1_S1_PKiPfP15HIP_vector_typeIfLj2EEffffjfiS5_IjLj3EEiiiiiiiiiiiliiliiiiil
	.p2align	8
	.type	_ZL18flash_attn_ext_f16ILi576ELi512ELi16ELi4ELb1ELb1EEvPKcS1_S1_S1_S1_PKiPfP15HIP_vector_typeIfLj2EEffffjfiS5_IjLj3EEiiiiiiiiiiiliiliiiiil,@function
_ZL18flash_attn_ext_f16ILi576ELi512ELi16ELi4ELb1ELb1EEvPKcS1_S1_S1_S1_PKiPfP15HIP_vector_typeIfLj2EEffffjfiS5_IjLj3EEiiiiiiiiiiiliiliiiiil: ; @_ZL18flash_attn_ext_f16ILi576ELi512ELi16ELi4ELb1ELb1EEvPKcS1_S1_S1_S1_PKiPfP15HIP_vector_typeIfLj2EEffffjfiS5_IjLj3EEiiiiiiiiiiiliiliiiiil
; %bb.0:
	s_add_u32 flat_scratch_lo, s6, s9
	s_addc_u32 flat_scratch_hi, s7, 0
	s_add_u32 s0, s0, s9
	s_addc_u32 s1, s1, 0
	s_add_u32 s8, s4, 0xd0
	s_addc_u32 s9, s5, 0
	v_mov_b32_e32 v0, 0x6cc
	s_mov_b32 s32, 0
	s_getpc_b64 s[4:5]
	s_add_u32 s4, s4, _ZL14no_device_codePKciS0_iS0_@rel32@lo+4
	s_addc_u32 s5, s5, _ZL14no_device_codePKciS0_iS0_@rel32@hi+12
	s_swappc_b64 s[30:31], s[4:5]
	.section	.rodata,"a",@progbits
	.p2align	6, 0x0
	.amdhsa_kernel _ZL18flash_attn_ext_f16ILi576ELi512ELi16ELi4ELb1ELb1EEvPKcS1_S1_S1_S1_PKiPfP15HIP_vector_typeIfLj2EEffffjfiS5_IjLj3EEiiiiiiiiiiiliiliiiiil
		.amdhsa_group_segment_fixed_size 0
		.amdhsa_private_segment_fixed_size 16
		.amdhsa_kernarg_size 464
		.amdhsa_user_sgpr_count 8
		.amdhsa_user_sgpr_private_segment_buffer 1
		.amdhsa_user_sgpr_dispatch_ptr 0
		.amdhsa_user_sgpr_queue_ptr 0
		.amdhsa_user_sgpr_kernarg_segment_ptr 1
		.amdhsa_user_sgpr_dispatch_id 0
		.amdhsa_user_sgpr_flat_scratch_init 1
		.amdhsa_user_sgpr_kernarg_preload_length 0
		.amdhsa_user_sgpr_kernarg_preload_offset 0
		.amdhsa_user_sgpr_private_segment_size 0
		.amdhsa_uses_dynamic_stack 0
		.amdhsa_system_sgpr_private_segment_wavefront_offset 1
		.amdhsa_system_sgpr_workgroup_id_x 1
		.amdhsa_system_sgpr_workgroup_id_y 0
		.amdhsa_system_sgpr_workgroup_id_z 0
		.amdhsa_system_sgpr_workgroup_info 0
		.amdhsa_system_vgpr_workitem_id 0
		.amdhsa_next_free_vgpr 39
		.amdhsa_next_free_sgpr 34
		.amdhsa_accum_offset 40
		.amdhsa_reserve_vcc 1
		.amdhsa_reserve_flat_scratch 1
		.amdhsa_float_round_mode_32 0
		.amdhsa_float_round_mode_16_64 0
		.amdhsa_float_denorm_mode_32 3
		.amdhsa_float_denorm_mode_16_64 3
		.amdhsa_dx10_clamp 1
		.amdhsa_ieee_mode 1
		.amdhsa_fp16_overflow 0
		.amdhsa_tg_split 0
		.amdhsa_exception_fp_ieee_invalid_op 0
		.amdhsa_exception_fp_denorm_src 0
		.amdhsa_exception_fp_ieee_div_zero 0
		.amdhsa_exception_fp_ieee_overflow 0
		.amdhsa_exception_fp_ieee_underflow 0
		.amdhsa_exception_fp_ieee_inexact 0
		.amdhsa_exception_int_div_zero 0
	.end_amdhsa_kernel
	.section	.text._ZL18flash_attn_ext_f16ILi576ELi512ELi16ELi4ELb1ELb1EEvPKcS1_S1_S1_S1_PKiPfP15HIP_vector_typeIfLj2EEffffjfiS5_IjLj3EEiiiiiiiiiiiliiliiiiil,"axG",@progbits,_ZL18flash_attn_ext_f16ILi576ELi512ELi16ELi4ELb1ELb1EEvPKcS1_S1_S1_S1_PKiPfP15HIP_vector_typeIfLj2EEffffjfiS5_IjLj3EEiiiiiiiiiiiliiliiiiil,comdat
.Lfunc_end40:
	.size	_ZL18flash_attn_ext_f16ILi576ELi512ELi16ELi4ELb1ELb1EEvPKcS1_S1_S1_S1_PKiPfP15HIP_vector_typeIfLj2EEffffjfiS5_IjLj3EEiiiiiiiiiiiliiliiiiil, .Lfunc_end40-_ZL18flash_attn_ext_f16ILi576ELi512ELi16ELi4ELb1ELb1EEvPKcS1_S1_S1_S1_PKiPfP15HIP_vector_typeIfLj2EEffffjfiS5_IjLj3EEiiiiiiiiiiiliiliiiiil
                                        ; -- End function
	.section	.AMDGPU.csdata,"",@progbits
; Kernel info:
; codeLenInByte = 64
; NumSgprs: 40
; NumVgprs: 39
; NumAgprs: 0
; TotalNumVgprs: 39
; ScratchSize: 16
; MemoryBound: 0
; FloatMode: 240
; IeeeMode: 1
; LDSByteSize: 0 bytes/workgroup (compile time only)
; SGPRBlocks: 4
; VGPRBlocks: 4
; NumSGPRsForWavesPerEU: 40
; NumVGPRsForWavesPerEU: 39
; AccumOffset: 40
; Occupancy: 8
; WaveLimiterHint : 1
; COMPUTE_PGM_RSRC2:SCRATCH_EN: 1
; COMPUTE_PGM_RSRC2:USER_SGPR: 8
; COMPUTE_PGM_RSRC2:TRAP_HANDLER: 0
; COMPUTE_PGM_RSRC2:TGID_X_EN: 1
; COMPUTE_PGM_RSRC2:TGID_Y_EN: 0
; COMPUTE_PGM_RSRC2:TGID_Z_EN: 0
; COMPUTE_PGM_RSRC2:TIDIG_COMP_CNT: 0
; COMPUTE_PGM_RSRC3_GFX90A:ACCUM_OFFSET: 9
; COMPUTE_PGM_RSRC3_GFX90A:TG_SPLIT: 0
	.text
	.p2alignl 6, 3212836864
	.fill 256, 4, 3212836864
	.type	.str.1,@object                  ; @.str.1
	.section	.rodata.str1.1,"aMS",@progbits,1
.str.1:
	.asciz	"/root/src/amdgpu-assembly/repos/ggml-org__llama.cpp/ggml/src/ggml-cuda/template-instances/../fattn-mma-f16.cuh"
	.size	.str.1, 111

	.type	__FUNCTION__._ZL18flash_attn_ext_f16ILi64ELi64ELi16ELi4ELb1ELb0EEvPKcS1_S1_S1_S1_PKiPfP15HIP_vector_typeIfLj2EEffffjfiS5_IjLj3EEiiiiiiiiiiiliiliiiiil,@object ; @__FUNCTION__._ZL18flash_attn_ext_f16ILi64ELi64ELi16ELi4ELb1ELb0EEvPKcS1_S1_S1_S1_PKiPfP15HIP_vector_typeIfLj2EEffffjfiS5_IjLj3EEiiiiiiiiiiiliiliiiiil
__FUNCTION__._ZL18flash_attn_ext_f16ILi64ELi64ELi16ELi4ELb1ELb0EEvPKcS1_S1_S1_S1_PKiPfP15HIP_vector_typeIfLj2EEffffjfiS5_IjLj3EEiiiiiiiiiiiliiliiiiil:
	.asciz	"flash_attn_ext_f16"
	.size	__FUNCTION__._ZL18flash_attn_ext_f16ILi64ELi64ELi16ELi4ELb1ELb0EEvPKcS1_S1_S1_S1_PKiPfP15HIP_vector_typeIfLj2EEffffjfiS5_IjLj3EEiiiiiiiiiiiliiliiiiil, 19

	.type	.str.3,@object                  ; @.str.3
.str.3:
	.asciz	"%s:%d: ERROR: HIP kernel %s has no device code compatible with HIP arch %d.\n"
	.size	.str.3, 77

	.type	__hip_cuid_4f131e885c654878,@object ; @__hip_cuid_4f131e885c654878
	.section	.bss,"aw",@nobits
	.globl	__hip_cuid_4f131e885c654878
__hip_cuid_4f131e885c654878:
	.byte	0                               ; 0x0
	.size	__hip_cuid_4f131e885c654878, 1

	.ident	"AMD clang version 19.0.0git (https://github.com/RadeonOpenCompute/llvm-project roc-6.4.0 25133 c7fe45cf4b819c5991fe208aaa96edf142730f1d)"
	.section	".note.GNU-stack","",@progbits
	.addrsig
	.addrsig_sym __hip_cuid_4f131e885c654878
	.amdgpu_metadata
---
amdhsa.kernels:
  - .agpr_count:     0
    .args:
      - .address_space:  global
        .offset:         0
        .size:           8
        .value_kind:     global_buffer
      - .address_space:  global
        .offset:         8
        .size:           8
        .value_kind:     global_buffer
      - .address_space:  global
        .offset:         16
        .size:           8
        .value_kind:     global_buffer
      - .address_space:  global
        .offset:         24
        .size:           8
        .value_kind:     global_buffer
      - .address_space:  global
        .offset:         32
        .size:           8
        .value_kind:     global_buffer
      - .address_space:  global
        .offset:         40
        .size:           8
        .value_kind:     global_buffer
      - .address_space:  global
        .offset:         48
        .size:           8
        .value_kind:     global_buffer
      - .address_space:  global
        .offset:         56
        .size:           8
        .value_kind:     global_buffer
      - .offset:         64
        .size:           4
        .value_kind:     by_value
      - .offset:         68
        .size:           4
        .value_kind:     by_value
      - .offset:         72
        .size:           4
        .value_kind:     by_value
      - .offset:         76
        .size:           4
        .value_kind:     by_value
      - .offset:         80
        .size:           4
        .value_kind:     by_value
      - .offset:         84
        .size:           4
        .value_kind:     by_value
      - .offset:         88
        .size:           4
        .value_kind:     by_value
      - .offset:         92
        .size:           12
        .value_kind:     by_value
      - .offset:         104
        .size:           4
        .value_kind:     by_value
      - .offset:         108
        .size:           4
        .value_kind:     by_value
      - .offset:         112
        .size:           4
        .value_kind:     by_value
      - .offset:         116
        .size:           4
        .value_kind:     by_value
      - .offset:         120
        .size:           4
        .value_kind:     by_value
      - .offset:         124
        .size:           4
        .value_kind:     by_value
      - .offset:         128
        .size:           4
        .value_kind:     by_value
      - .offset:         132
        .size:           4
        .value_kind:     by_value
      - .offset:         136
        .size:           4
        .value_kind:     by_value
      - .offset:         140
        .size:           4
        .value_kind:     by_value
      - .offset:         144
        .size:           4
        .value_kind:     by_value
      - .offset:         152
        .size:           8
        .value_kind:     by_value
      - .offset:         160
        .size:           4
        .value_kind:     by_value
      - .offset:         164
        .size:           4
        .value_kind:     by_value
      - .offset:         168
        .size:           8
        .value_kind:     by_value
      - .offset:         176
        .size:           4
        .value_kind:     by_value
      - .offset:         180
        .size:           4
        .value_kind:     by_value
      - .offset:         184
        .size:           4
        .value_kind:     by_value
      - .offset:         188
        .size:           4
        .value_kind:     by_value
      - .offset:         192
        .size:           4
        .value_kind:     by_value
      - .offset:         200
        .size:           8
        .value_kind:     by_value
      - .offset:         208
        .size:           4
        .value_kind:     hidden_block_count_x
      - .offset:         212
        .size:           4
        .value_kind:     hidden_block_count_y
      - .offset:         216
        .size:           4
        .value_kind:     hidden_block_count_z
      - .offset:         220
        .size:           2
        .value_kind:     hidden_group_size_x
      - .offset:         222
        .size:           2
        .value_kind:     hidden_group_size_y
      - .offset:         224
        .size:           2
        .value_kind:     hidden_group_size_z
      - .offset:         226
        .size:           2
        .value_kind:     hidden_remainder_x
      - .offset:         228
        .size:           2
        .value_kind:     hidden_remainder_y
      - .offset:         230
        .size:           2
        .value_kind:     hidden_remainder_z
      - .offset:         248
        .size:           8
        .value_kind:     hidden_global_offset_x
      - .offset:         256
        .size:           8
        .value_kind:     hidden_global_offset_y
      - .offset:         264
        .size:           8
        .value_kind:     hidden_global_offset_z
      - .offset:         272
        .size:           2
        .value_kind:     hidden_grid_dims
      - .offset:         328
        .size:           4
        .value_kind:     hidden_dynamic_lds_size
    .group_segment_fixed_size: 0
    .kernarg_segment_align: 8
    .kernarg_segment_size: 464
    .language:       OpenCL C
    .language_version:
      - 2
      - 0
    .max_flat_workgroup_size: 256
    .name:           _ZL18flash_attn_ext_f16ILi64ELi64ELi16ELi4ELb0ELb0EEvPKcS1_S1_S1_S1_PKiPfP15HIP_vector_typeIfLj2EEffffjfiS5_IjLj3EEiiiiiiiiiiiliiliiiiil
    .private_segment_fixed_size: 176
    .sgpr_count:     104
    .sgpr_spill_count: 32
    .symbol:         _ZL18flash_attn_ext_f16ILi64ELi64ELi16ELi4ELb0ELb0EEvPKcS1_S1_S1_S1_PKiPfP15HIP_vector_typeIfLj2EEffffjfiS5_IjLj3EEiiiiiiiiiiiliiliiiiil.kd
    .uniform_work_group_size: 1
    .uses_dynamic_stack: false
    .vgpr_count:     128
    .vgpr_spill_count: 45
    .wavefront_size: 64
  - .agpr_count:     0
    .args:
      - .address_space:  global
        .offset:         0
        .size:           8
        .value_kind:     global_buffer
      - .address_space:  global
        .offset:         8
        .size:           8
        .value_kind:     global_buffer
      - .address_space:  global
        .offset:         16
        .size:           8
        .value_kind:     global_buffer
      - .address_space:  global
        .offset:         24
        .size:           8
        .value_kind:     global_buffer
      - .address_space:  global
        .offset:         32
        .size:           8
        .value_kind:     global_buffer
      - .address_space:  global
        .offset:         40
        .size:           8
        .value_kind:     global_buffer
      - .address_space:  global
        .offset:         48
        .size:           8
        .value_kind:     global_buffer
      - .address_space:  global
        .offset:         56
        .size:           8
        .value_kind:     global_buffer
      - .offset:         64
        .size:           4
        .value_kind:     by_value
      - .offset:         68
        .size:           4
        .value_kind:     by_value
      - .offset:         72
        .size:           4
        .value_kind:     by_value
      - .offset:         76
        .size:           4
        .value_kind:     by_value
      - .offset:         80
        .size:           4
        .value_kind:     by_value
      - .offset:         84
        .size:           4
        .value_kind:     by_value
      - .offset:         88
        .size:           4
        .value_kind:     by_value
      - .offset:         92
        .size:           12
        .value_kind:     by_value
      - .offset:         104
        .size:           4
        .value_kind:     by_value
      - .offset:         108
        .size:           4
        .value_kind:     by_value
      - .offset:         112
        .size:           4
        .value_kind:     by_value
      - .offset:         116
        .size:           4
        .value_kind:     by_value
      - .offset:         120
        .size:           4
        .value_kind:     by_value
      - .offset:         124
        .size:           4
        .value_kind:     by_value
      - .offset:         128
        .size:           4
        .value_kind:     by_value
      - .offset:         132
        .size:           4
        .value_kind:     by_value
      - .offset:         136
        .size:           4
        .value_kind:     by_value
      - .offset:         140
        .size:           4
        .value_kind:     by_value
      - .offset:         144
        .size:           4
        .value_kind:     by_value
      - .offset:         152
        .size:           8
        .value_kind:     by_value
      - .offset:         160
        .size:           4
        .value_kind:     by_value
      - .offset:         164
        .size:           4
        .value_kind:     by_value
      - .offset:         168
        .size:           8
        .value_kind:     by_value
      - .offset:         176
        .size:           4
        .value_kind:     by_value
      - .offset:         180
        .size:           4
        .value_kind:     by_value
      - .offset:         184
        .size:           4
        .value_kind:     by_value
      - .offset:         188
        .size:           4
        .value_kind:     by_value
      - .offset:         192
        .size:           4
        .value_kind:     by_value
      - .offset:         200
        .size:           8
        .value_kind:     by_value
      - .offset:         208
        .size:           4
        .value_kind:     hidden_block_count_x
      - .offset:         212
        .size:           4
        .value_kind:     hidden_block_count_y
      - .offset:         216
        .size:           4
        .value_kind:     hidden_block_count_z
      - .offset:         220
        .size:           2
        .value_kind:     hidden_group_size_x
      - .offset:         222
        .size:           2
        .value_kind:     hidden_group_size_y
      - .offset:         224
        .size:           2
        .value_kind:     hidden_group_size_z
      - .offset:         226
        .size:           2
        .value_kind:     hidden_remainder_x
      - .offset:         228
        .size:           2
        .value_kind:     hidden_remainder_y
      - .offset:         230
        .size:           2
        .value_kind:     hidden_remainder_z
      - .offset:         248
        .size:           8
        .value_kind:     hidden_global_offset_x
      - .offset:         256
        .size:           8
        .value_kind:     hidden_global_offset_y
      - .offset:         264
        .size:           8
        .value_kind:     hidden_global_offset_z
      - .offset:         272
        .size:           2
        .value_kind:     hidden_grid_dims
      - .offset:         288
        .size:           8
        .value_kind:     hidden_hostcall_buffer
    .group_segment_fixed_size: 0
    .kernarg_segment_align: 8
    .kernarg_segment_size: 464
    .language:       OpenCL C
    .language_version:
      - 2
      - 0
    .max_flat_workgroup_size: 256
    .name:           _ZL18flash_attn_ext_f16ILi64ELi64ELi16ELi4ELb1ELb0EEvPKcS1_S1_S1_S1_PKiPfP15HIP_vector_typeIfLj2EEffffjfiS5_IjLj3EEiiiiiiiiiiiliiliiiiil
    .private_segment_fixed_size: 16
    .sgpr_count:     40
    .sgpr_spill_count: 0
    .symbol:         _ZL18flash_attn_ext_f16ILi64ELi64ELi16ELi4ELb1ELb0EEvPKcS1_S1_S1_S1_PKiPfP15HIP_vector_typeIfLj2EEffffjfiS5_IjLj3EEiiiiiiiiiiiliiliiiiil.kd
    .uniform_work_group_size: 1
    .uses_dynamic_stack: false
    .vgpr_count:     39
    .vgpr_spill_count: 0
    .wavefront_size: 64
  - .agpr_count:     0
    .args:
      - .actual_access:  read_only
        .address_space:  global
        .offset:         0
        .size:           8
        .value_kind:     global_buffer
      - .actual_access:  write_only
        .address_space:  global
        .offset:         8
        .size:           8
        .value_kind:     global_buffer
      - .offset:         16
        .size:           4
        .value_kind:     by_value
      - .offset:         20
        .size:           4
        .value_kind:     by_value
      - .offset:         24
        .size:           4
        .value_kind:     by_value
      - .offset:         32
        .size:           4
        .value_kind:     hidden_block_count_x
      - .offset:         36
        .size:           4
        .value_kind:     hidden_block_count_y
      - .offset:         40
        .size:           4
        .value_kind:     hidden_block_count_z
      - .offset:         44
        .size:           2
        .value_kind:     hidden_group_size_x
      - .offset:         46
        .size:           2
        .value_kind:     hidden_group_size_y
      - .offset:         48
        .size:           2
        .value_kind:     hidden_group_size_z
      - .offset:         50
        .size:           2
        .value_kind:     hidden_remainder_x
      - .offset:         52
        .size:           2
        .value_kind:     hidden_remainder_y
      - .offset:         54
        .size:           2
        .value_kind:     hidden_remainder_z
      - .offset:         72
        .size:           8
        .value_kind:     hidden_global_offset_x
      - .offset:         80
        .size:           8
        .value_kind:     hidden_global_offset_y
      - .offset:         88
        .size:           8
        .value_kind:     hidden_global_offset_z
      - .offset:         96
        .size:           2
        .value_kind:     hidden_grid_dims
    .group_segment_fixed_size: 128
    .kernarg_segment_align: 8
    .kernarg_segment_size: 288
    .language:       OpenCL C
    .language_version:
      - 2
      - 0
    .max_flat_workgroup_size: 128
    .name:           _ZL25flash_attn_mask_to_KV_maxILi16EEvPK7__half2Piiii
    .private_segment_fixed_size: 0
    .sgpr_count:     86
    .sgpr_spill_count: 0
    .symbol:         _ZL25flash_attn_mask_to_KV_maxILi16EEvPK7__half2Piiii.kd
    .uniform_work_group_size: 1
    .uses_dynamic_stack: false
    .vgpr_count:     12
    .vgpr_spill_count: 0
    .wavefront_size: 64
  - .agpr_count:     0
    .args:
      - .address_space:  global
        .offset:         0
        .size:           8
        .value_kind:     global_buffer
      - .address_space:  global
        .offset:         8
        .size:           8
        .value_kind:     global_buffer
      - .offset:         16
        .size:           4
        .value_kind:     by_value
      - .offset:         20
        .size:           4
        .value_kind:     by_value
      - .offset:         24
        .size:           4
        .value_kind:     by_value
      - .offset:         28
        .size:           4
        .value_kind:     by_value
      - .offset:         32
        .size:           4
        .value_kind:     by_value
      - .offset:         36
        .size:           4
        .value_kind:     by_value
      - .offset:         40
        .size:           12
        .value_kind:     by_value
      - .offset:         52
        .size:           12
        .value_kind:     by_value
      - .offset:         64
        .size:           12
        .value_kind:     by_value
    .group_segment_fixed_size: 0
    .kernarg_segment_align: 8
    .kernarg_segment_size: 76
    .language:       OpenCL C
    .language_version:
      - 2
      - 0
    .max_flat_workgroup_size: 64
    .name:           _ZL33flash_attn_stream_k_fixup_uniformILi64ELi16ELi4EEvPfPK15HIP_vector_typeIfLj2EEiiiiiiS1_IjLj3EES5_S5_
    .private_segment_fixed_size: 0
    .sgpr_count:     24
    .sgpr_spill_count: 0
    .symbol:         _ZL33flash_attn_stream_k_fixup_uniformILi64ELi16ELi4EEvPfPK15HIP_vector_typeIfLj2EEiiiiiiS1_IjLj3EES5_S5_.kd
    .uniform_work_group_size: 1
    .uses_dynamic_stack: false
    .vgpr_count:     17
    .vgpr_spill_count: 0
    .wavefront_size: 64
  - .agpr_count:     0
    .args:
      - .address_space:  global
        .offset:         0
        .size:           8
        .value_kind:     global_buffer
      - .address_space:  global
        .offset:         8
        .size:           8
        .value_kind:     global_buffer
      - .offset:         16
        .size:           4
        .value_kind:     by_value
      - .offset:         20
        .size:           4
        .value_kind:     by_value
      - .offset:         24
        .size:           4
        .value_kind:     by_value
      - .offset:         28
        .size:           4
        .value_kind:     by_value
      - .offset:         32
        .size:           12
        .value_kind:     by_value
      - .offset:         44
        .size:           12
        .value_kind:     by_value
      - .offset:         56
        .size:           12
        .value_kind:     by_value
      - .offset:         68
        .size:           12
        .value_kind:     by_value
      - .offset:         80
        .size:           4
        .value_kind:     hidden_block_count_x
      - .offset:         84
        .size:           4
        .value_kind:     hidden_block_count_y
      - .offset:         88
        .size:           4
        .value_kind:     hidden_block_count_z
      - .offset:         92
        .size:           2
        .value_kind:     hidden_group_size_x
      - .offset:         94
        .size:           2
        .value_kind:     hidden_group_size_y
      - .offset:         96
        .size:           2
        .value_kind:     hidden_group_size_z
      - .offset:         98
        .size:           2
        .value_kind:     hidden_remainder_x
      - .offset:         100
        .size:           2
        .value_kind:     hidden_remainder_y
      - .offset:         102
        .size:           2
        .value_kind:     hidden_remainder_z
      - .offset:         120
        .size:           8
        .value_kind:     hidden_global_offset_x
      - .offset:         128
        .size:           8
        .value_kind:     hidden_global_offset_y
      - .offset:         136
        .size:           8
        .value_kind:     hidden_global_offset_z
      - .offset:         144
        .size:           2
        .value_kind:     hidden_grid_dims
    .group_segment_fixed_size: 0
    .kernarg_segment_align: 8
    .kernarg_segment_size: 336
    .language:       OpenCL C
    .language_version:
      - 2
      - 0
    .max_flat_workgroup_size: 64
    .name:           _ZL33flash_attn_stream_k_fixup_generalILi64ELi16ELi4EEvPfPK15HIP_vector_typeIfLj2EEiiiiS1_IjLj3EES5_S5_S5_
    .private_segment_fixed_size: 0
    .sgpr_count:     36
    .sgpr_spill_count: 0
    .symbol:         _ZL33flash_attn_stream_k_fixup_generalILi64ELi16ELi4EEvPfPK15HIP_vector_typeIfLj2EEiiiiS1_IjLj3EES5_S5_S5_.kd
    .uniform_work_group_size: 1
    .uses_dynamic_stack: false
    .vgpr_count:     22
    .vgpr_spill_count: 0
    .wavefront_size: 64
  - .agpr_count:     0
    .args:
      - .address_space:  global
        .offset:         0
        .size:           8
        .value_kind:     global_buffer
      - .address_space:  global
        .offset:         8
        .size:           8
        .value_kind:     global_buffer
      - .address_space:  global
        .offset:         16
        .size:           8
        .value_kind:     global_buffer
      - .offset:         24
        .size:           4
        .value_kind:     by_value
      - .offset:         32
        .size:           4
        .value_kind:     hidden_block_count_x
      - .offset:         36
        .size:           4
        .value_kind:     hidden_block_count_y
      - .offset:         40
        .size:           4
        .value_kind:     hidden_block_count_z
      - .offset:         44
        .size:           2
        .value_kind:     hidden_group_size_x
      - .offset:         46
        .size:           2
        .value_kind:     hidden_group_size_y
      - .offset:         48
        .size:           2
        .value_kind:     hidden_group_size_z
      - .offset:         50
        .size:           2
        .value_kind:     hidden_remainder_x
      - .offset:         52
        .size:           2
        .value_kind:     hidden_remainder_y
      - .offset:         54
        .size:           2
        .value_kind:     hidden_remainder_z
      - .offset:         72
        .size:           8
        .value_kind:     hidden_global_offset_x
      - .offset:         80
        .size:           8
        .value_kind:     hidden_global_offset_y
      - .offset:         88
        .size:           8
        .value_kind:     hidden_global_offset_z
      - .offset:         96
        .size:           2
        .value_kind:     hidden_grid_dims
      - .offset:         152
        .size:           4
        .value_kind:     hidden_dynamic_lds_size
    .group_segment_fixed_size: 0
    .kernarg_segment_align: 8
    .kernarg_segment_size: 288
    .language:       OpenCL C
    .language_version:
      - 2
      - 0
    .max_flat_workgroup_size: 64
    .name:           _ZL26flash_attn_combine_resultsILi64EEvPKfPK15HIP_vector_typeIfLj2EEPfi
    .private_segment_fixed_size: 0
    .sgpr_count:     30
    .sgpr_spill_count: 0
    .symbol:         _ZL26flash_attn_combine_resultsILi64EEvPKfPK15HIP_vector_typeIfLj2EEPfi.kd
    .uniform_work_group_size: 1
    .uses_dynamic_stack: false
    .vgpr_count:     51
    .vgpr_spill_count: 0
    .wavefront_size: 64
  - .agpr_count:     0
    .args:
      - .address_space:  global
        .offset:         0
        .size:           8
        .value_kind:     global_buffer
      - .address_space:  global
        .offset:         8
        .size:           8
        .value_kind:     global_buffer
      - .address_space:  global
        .offset:         16
        .size:           8
        .value_kind:     global_buffer
      - .address_space:  global
        .offset:         24
        .size:           8
        .value_kind:     global_buffer
      - .address_space:  global
        .offset:         32
        .size:           8
        .value_kind:     global_buffer
      - .address_space:  global
        .offset:         40
        .size:           8
        .value_kind:     global_buffer
      - .address_space:  global
        .offset:         48
        .size:           8
        .value_kind:     global_buffer
      - .address_space:  global
        .offset:         56
        .size:           8
        .value_kind:     global_buffer
      - .offset:         64
        .size:           4
        .value_kind:     by_value
      - .offset:         68
        .size:           4
        .value_kind:     by_value
      - .offset:         72
        .size:           4
        .value_kind:     by_value
      - .offset:         76
        .size:           4
        .value_kind:     by_value
      - .offset:         80
        .size:           4
        .value_kind:     by_value
      - .offset:         84
        .size:           4
        .value_kind:     by_value
      - .offset:         88
        .size:           4
        .value_kind:     by_value
      - .offset:         92
        .size:           12
        .value_kind:     by_value
      - .offset:         104
        .size:           4
        .value_kind:     by_value
      - .offset:         108
        .size:           4
        .value_kind:     by_value
      - .offset:         112
        .size:           4
        .value_kind:     by_value
      - .offset:         116
        .size:           4
        .value_kind:     by_value
      - .offset:         120
        .size:           4
        .value_kind:     by_value
      - .offset:         124
        .size:           4
        .value_kind:     by_value
      - .offset:         128
        .size:           4
        .value_kind:     by_value
      - .offset:         132
        .size:           4
        .value_kind:     by_value
      - .offset:         136
        .size:           4
        .value_kind:     by_value
      - .offset:         140
        .size:           4
        .value_kind:     by_value
      - .offset:         144
        .size:           4
        .value_kind:     by_value
      - .offset:         152
        .size:           8
        .value_kind:     by_value
      - .offset:         160
        .size:           4
        .value_kind:     by_value
      - .offset:         164
        .size:           4
        .value_kind:     by_value
      - .offset:         168
        .size:           8
        .value_kind:     by_value
      - .offset:         176
        .size:           4
        .value_kind:     by_value
      - .offset:         180
        .size:           4
        .value_kind:     by_value
      - .offset:         184
        .size:           4
        .value_kind:     by_value
      - .offset:         188
        .size:           4
        .value_kind:     by_value
      - .offset:         192
        .size:           4
        .value_kind:     by_value
      - .offset:         200
        .size:           8
        .value_kind:     by_value
      - .offset:         208
        .size:           4
        .value_kind:     hidden_block_count_x
      - .offset:         212
        .size:           4
        .value_kind:     hidden_block_count_y
      - .offset:         216
        .size:           4
        .value_kind:     hidden_block_count_z
      - .offset:         220
        .size:           2
        .value_kind:     hidden_group_size_x
      - .offset:         222
        .size:           2
        .value_kind:     hidden_group_size_y
      - .offset:         224
        .size:           2
        .value_kind:     hidden_group_size_z
      - .offset:         226
        .size:           2
        .value_kind:     hidden_remainder_x
      - .offset:         228
        .size:           2
        .value_kind:     hidden_remainder_y
      - .offset:         230
        .size:           2
        .value_kind:     hidden_remainder_z
      - .offset:         248
        .size:           8
        .value_kind:     hidden_global_offset_x
      - .offset:         256
        .size:           8
        .value_kind:     hidden_global_offset_y
      - .offset:         264
        .size:           8
        .value_kind:     hidden_global_offset_z
      - .offset:         272
        .size:           2
        .value_kind:     hidden_grid_dims
      - .offset:         328
        .size:           4
        .value_kind:     hidden_dynamic_lds_size
    .group_segment_fixed_size: 0
    .kernarg_segment_align: 8
    .kernarg_segment_size: 464
    .language:       OpenCL C
    .language_version:
      - 2
      - 0
    .max_flat_workgroup_size: 256
    .name:           _ZL18flash_attn_ext_f16ILi80ELi80ELi16ELi4ELb0ELb0EEvPKcS1_S1_S1_S1_PKiPfP15HIP_vector_typeIfLj2EEffffjfiS5_IjLj3EEiiiiiiiiiiiliiliiiiil
    .private_segment_fixed_size: 0
    .sgpr_count:     100
    .sgpr_spill_count: 41
    .symbol:         _ZL18flash_attn_ext_f16ILi80ELi80ELi16ELi4ELb0ELb0EEvPKcS1_S1_S1_S1_PKiPfP15HIP_vector_typeIfLj2EEffffjfiS5_IjLj3EEiiiiiiiiiiiliiliiiiil.kd
    .uniform_work_group_size: 1
    .uses_dynamic_stack: false
    .vgpr_count:     193
    .vgpr_spill_count: 0
    .wavefront_size: 64
  - .agpr_count:     0
    .args:
      - .address_space:  global
        .offset:         0
        .size:           8
        .value_kind:     global_buffer
      - .address_space:  global
        .offset:         8
        .size:           8
        .value_kind:     global_buffer
      - .address_space:  global
        .offset:         16
        .size:           8
        .value_kind:     global_buffer
      - .address_space:  global
        .offset:         24
        .size:           8
        .value_kind:     global_buffer
      - .address_space:  global
        .offset:         32
        .size:           8
        .value_kind:     global_buffer
      - .address_space:  global
        .offset:         40
        .size:           8
        .value_kind:     global_buffer
      - .address_space:  global
        .offset:         48
        .size:           8
        .value_kind:     global_buffer
      - .address_space:  global
        .offset:         56
        .size:           8
        .value_kind:     global_buffer
      - .offset:         64
        .size:           4
        .value_kind:     by_value
      - .offset:         68
        .size:           4
        .value_kind:     by_value
      - .offset:         72
        .size:           4
        .value_kind:     by_value
      - .offset:         76
        .size:           4
        .value_kind:     by_value
      - .offset:         80
        .size:           4
        .value_kind:     by_value
      - .offset:         84
        .size:           4
        .value_kind:     by_value
      - .offset:         88
        .size:           4
        .value_kind:     by_value
      - .offset:         92
        .size:           12
        .value_kind:     by_value
      - .offset:         104
        .size:           4
        .value_kind:     by_value
      - .offset:         108
        .size:           4
        .value_kind:     by_value
      - .offset:         112
        .size:           4
        .value_kind:     by_value
      - .offset:         116
        .size:           4
        .value_kind:     by_value
      - .offset:         120
        .size:           4
        .value_kind:     by_value
      - .offset:         124
        .size:           4
        .value_kind:     by_value
      - .offset:         128
        .size:           4
        .value_kind:     by_value
      - .offset:         132
        .size:           4
        .value_kind:     by_value
      - .offset:         136
        .size:           4
        .value_kind:     by_value
      - .offset:         140
        .size:           4
        .value_kind:     by_value
      - .offset:         144
        .size:           4
        .value_kind:     by_value
      - .offset:         152
        .size:           8
        .value_kind:     by_value
      - .offset:         160
        .size:           4
        .value_kind:     by_value
      - .offset:         164
        .size:           4
        .value_kind:     by_value
      - .offset:         168
        .size:           8
        .value_kind:     by_value
      - .offset:         176
        .size:           4
        .value_kind:     by_value
      - .offset:         180
        .size:           4
        .value_kind:     by_value
      - .offset:         184
        .size:           4
        .value_kind:     by_value
      - .offset:         188
        .size:           4
        .value_kind:     by_value
      - .offset:         192
        .size:           4
        .value_kind:     by_value
      - .offset:         200
        .size:           8
        .value_kind:     by_value
      - .offset:         208
        .size:           4
        .value_kind:     hidden_block_count_x
      - .offset:         212
        .size:           4
        .value_kind:     hidden_block_count_y
      - .offset:         216
        .size:           4
        .value_kind:     hidden_block_count_z
      - .offset:         220
        .size:           2
        .value_kind:     hidden_group_size_x
      - .offset:         222
        .size:           2
        .value_kind:     hidden_group_size_y
      - .offset:         224
        .size:           2
        .value_kind:     hidden_group_size_z
      - .offset:         226
        .size:           2
        .value_kind:     hidden_remainder_x
      - .offset:         228
        .size:           2
        .value_kind:     hidden_remainder_y
      - .offset:         230
        .size:           2
        .value_kind:     hidden_remainder_z
      - .offset:         248
        .size:           8
        .value_kind:     hidden_global_offset_x
      - .offset:         256
        .size:           8
        .value_kind:     hidden_global_offset_y
      - .offset:         264
        .size:           8
        .value_kind:     hidden_global_offset_z
      - .offset:         272
        .size:           2
        .value_kind:     hidden_grid_dims
      - .offset:         288
        .size:           8
        .value_kind:     hidden_hostcall_buffer
    .group_segment_fixed_size: 0
    .kernarg_segment_align: 8
    .kernarg_segment_size: 464
    .language:       OpenCL C
    .language_version:
      - 2
      - 0
    .max_flat_workgroup_size: 256
    .name:           _ZL18flash_attn_ext_f16ILi80ELi80ELi16ELi4ELb1ELb0EEvPKcS1_S1_S1_S1_PKiPfP15HIP_vector_typeIfLj2EEffffjfiS5_IjLj3EEiiiiiiiiiiiliiliiiiil
    .private_segment_fixed_size: 16
    .sgpr_count:     40
    .sgpr_spill_count: 0
    .symbol:         _ZL18flash_attn_ext_f16ILi80ELi80ELi16ELi4ELb1ELb0EEvPKcS1_S1_S1_S1_PKiPfP15HIP_vector_typeIfLj2EEffffjfiS5_IjLj3EEiiiiiiiiiiiliiliiiiil.kd
    .uniform_work_group_size: 1
    .uses_dynamic_stack: false
    .vgpr_count:     39
    .vgpr_spill_count: 0
    .wavefront_size: 64
  - .agpr_count:     0
    .args:
      - .address_space:  global
        .offset:         0
        .size:           8
        .value_kind:     global_buffer
      - .address_space:  global
        .offset:         8
        .size:           8
        .value_kind:     global_buffer
      - .offset:         16
        .size:           4
        .value_kind:     by_value
      - .offset:         20
        .size:           4
        .value_kind:     by_value
      - .offset:         24
        .size:           4
        .value_kind:     by_value
      - .offset:         28
        .size:           4
        .value_kind:     by_value
      - .offset:         32
        .size:           4
        .value_kind:     by_value
      - .offset:         36
        .size:           4
        .value_kind:     by_value
      - .offset:         40
        .size:           12
        .value_kind:     by_value
      - .offset:         52
        .size:           12
        .value_kind:     by_value
      - .offset:         64
        .size:           12
        .value_kind:     by_value
    .group_segment_fixed_size: 0
    .kernarg_segment_align: 8
    .kernarg_segment_size: 76
    .language:       OpenCL C
    .language_version:
      - 2
      - 0
    .max_flat_workgroup_size: 80
    .name:           _ZL33flash_attn_stream_k_fixup_uniformILi80ELi16ELi4EEvPfPK15HIP_vector_typeIfLj2EEiiiiiiS1_IjLj3EES5_S5_
    .private_segment_fixed_size: 0
    .sgpr_count:     24
    .sgpr_spill_count: 0
    .symbol:         _ZL33flash_attn_stream_k_fixup_uniformILi80ELi16ELi4EEvPfPK15HIP_vector_typeIfLj2EEiiiiiiS1_IjLj3EES5_S5_.kd
    .uniform_work_group_size: 1
    .uses_dynamic_stack: false
    .vgpr_count:     17
    .vgpr_spill_count: 0
    .wavefront_size: 64
  - .agpr_count:     0
    .args:
      - .address_space:  global
        .offset:         0
        .size:           8
        .value_kind:     global_buffer
      - .address_space:  global
        .offset:         8
        .size:           8
        .value_kind:     global_buffer
      - .offset:         16
        .size:           4
        .value_kind:     by_value
      - .offset:         20
        .size:           4
        .value_kind:     by_value
      - .offset:         24
        .size:           4
        .value_kind:     by_value
      - .offset:         28
        .size:           4
        .value_kind:     by_value
      - .offset:         32
        .size:           12
        .value_kind:     by_value
      - .offset:         44
        .size:           12
        .value_kind:     by_value
      - .offset:         56
        .size:           12
        .value_kind:     by_value
      - .offset:         68
        .size:           12
        .value_kind:     by_value
      - .offset:         80
        .size:           4
        .value_kind:     hidden_block_count_x
      - .offset:         84
        .size:           4
        .value_kind:     hidden_block_count_y
      - .offset:         88
        .size:           4
        .value_kind:     hidden_block_count_z
      - .offset:         92
        .size:           2
        .value_kind:     hidden_group_size_x
      - .offset:         94
        .size:           2
        .value_kind:     hidden_group_size_y
      - .offset:         96
        .size:           2
        .value_kind:     hidden_group_size_z
      - .offset:         98
        .size:           2
        .value_kind:     hidden_remainder_x
      - .offset:         100
        .size:           2
        .value_kind:     hidden_remainder_y
      - .offset:         102
        .size:           2
        .value_kind:     hidden_remainder_z
      - .offset:         120
        .size:           8
        .value_kind:     hidden_global_offset_x
      - .offset:         128
        .size:           8
        .value_kind:     hidden_global_offset_y
      - .offset:         136
        .size:           8
        .value_kind:     hidden_global_offset_z
      - .offset:         144
        .size:           2
        .value_kind:     hidden_grid_dims
    .group_segment_fixed_size: 0
    .kernarg_segment_align: 8
    .kernarg_segment_size: 336
    .language:       OpenCL C
    .language_version:
      - 2
      - 0
    .max_flat_workgroup_size: 80
    .name:           _ZL33flash_attn_stream_k_fixup_generalILi80ELi16ELi4EEvPfPK15HIP_vector_typeIfLj2EEiiiiS1_IjLj3EES5_S5_S5_
    .private_segment_fixed_size: 0
    .sgpr_count:     36
    .sgpr_spill_count: 0
    .symbol:         _ZL33flash_attn_stream_k_fixup_generalILi80ELi16ELi4EEvPfPK15HIP_vector_typeIfLj2EEiiiiS1_IjLj3EES5_S5_S5_.kd
    .uniform_work_group_size: 1
    .uses_dynamic_stack: false
    .vgpr_count:     22
    .vgpr_spill_count: 0
    .wavefront_size: 64
  - .agpr_count:     0
    .args:
      - .address_space:  global
        .offset:         0
        .size:           8
        .value_kind:     global_buffer
      - .address_space:  global
        .offset:         8
        .size:           8
        .value_kind:     global_buffer
      - .address_space:  global
        .offset:         16
        .size:           8
        .value_kind:     global_buffer
      - .offset:         24
        .size:           4
        .value_kind:     by_value
      - .offset:         32
        .size:           4
        .value_kind:     hidden_block_count_x
      - .offset:         36
        .size:           4
        .value_kind:     hidden_block_count_y
      - .offset:         40
        .size:           4
        .value_kind:     hidden_block_count_z
      - .offset:         44
        .size:           2
        .value_kind:     hidden_group_size_x
      - .offset:         46
        .size:           2
        .value_kind:     hidden_group_size_y
      - .offset:         48
        .size:           2
        .value_kind:     hidden_group_size_z
      - .offset:         50
        .size:           2
        .value_kind:     hidden_remainder_x
      - .offset:         52
        .size:           2
        .value_kind:     hidden_remainder_y
      - .offset:         54
        .size:           2
        .value_kind:     hidden_remainder_z
      - .offset:         72
        .size:           8
        .value_kind:     hidden_global_offset_x
      - .offset:         80
        .size:           8
        .value_kind:     hidden_global_offset_y
      - .offset:         88
        .size:           8
        .value_kind:     hidden_global_offset_z
      - .offset:         96
        .size:           2
        .value_kind:     hidden_grid_dims
      - .offset:         152
        .size:           4
        .value_kind:     hidden_dynamic_lds_size
    .group_segment_fixed_size: 0
    .kernarg_segment_align: 8
    .kernarg_segment_size: 288
    .language:       OpenCL C
    .language_version:
      - 2
      - 0
    .max_flat_workgroup_size: 80
    .name:           _ZL26flash_attn_combine_resultsILi80EEvPKfPK15HIP_vector_typeIfLj2EEPfi
    .private_segment_fixed_size: 0
    .sgpr_count:     33
    .sgpr_spill_count: 0
    .symbol:         _ZL26flash_attn_combine_resultsILi80EEvPKfPK15HIP_vector_typeIfLj2EEPfi.kd
    .uniform_work_group_size: 1
    .uses_dynamic_stack: false
    .vgpr_count:     51
    .vgpr_spill_count: 0
    .wavefront_size: 64
  - .agpr_count:     0
    .args:
      - .address_space:  global
        .offset:         0
        .size:           8
        .value_kind:     global_buffer
      - .address_space:  global
        .offset:         8
        .size:           8
        .value_kind:     global_buffer
      - .address_space:  global
        .offset:         16
        .size:           8
        .value_kind:     global_buffer
      - .address_space:  global
        .offset:         24
        .size:           8
        .value_kind:     global_buffer
      - .address_space:  global
        .offset:         32
        .size:           8
        .value_kind:     global_buffer
      - .address_space:  global
        .offset:         40
        .size:           8
        .value_kind:     global_buffer
      - .address_space:  global
        .offset:         48
        .size:           8
        .value_kind:     global_buffer
      - .address_space:  global
        .offset:         56
        .size:           8
        .value_kind:     global_buffer
      - .offset:         64
        .size:           4
        .value_kind:     by_value
      - .offset:         68
        .size:           4
        .value_kind:     by_value
      - .offset:         72
        .size:           4
        .value_kind:     by_value
      - .offset:         76
        .size:           4
        .value_kind:     by_value
      - .offset:         80
        .size:           4
        .value_kind:     by_value
      - .offset:         84
        .size:           4
        .value_kind:     by_value
      - .offset:         88
        .size:           4
        .value_kind:     by_value
      - .offset:         92
        .size:           12
        .value_kind:     by_value
      - .offset:         104
        .size:           4
        .value_kind:     by_value
      - .offset:         108
        .size:           4
        .value_kind:     by_value
      - .offset:         112
        .size:           4
        .value_kind:     by_value
      - .offset:         116
        .size:           4
        .value_kind:     by_value
      - .offset:         120
        .size:           4
        .value_kind:     by_value
      - .offset:         124
        .size:           4
        .value_kind:     by_value
      - .offset:         128
        .size:           4
        .value_kind:     by_value
      - .offset:         132
        .size:           4
        .value_kind:     by_value
      - .offset:         136
        .size:           4
        .value_kind:     by_value
      - .offset:         140
        .size:           4
        .value_kind:     by_value
      - .offset:         144
        .size:           4
        .value_kind:     by_value
      - .offset:         152
        .size:           8
        .value_kind:     by_value
      - .offset:         160
        .size:           4
        .value_kind:     by_value
      - .offset:         164
        .size:           4
        .value_kind:     by_value
      - .offset:         168
        .size:           8
        .value_kind:     by_value
      - .offset:         176
        .size:           4
        .value_kind:     by_value
      - .offset:         180
        .size:           4
        .value_kind:     by_value
      - .offset:         184
        .size:           4
        .value_kind:     by_value
      - .offset:         188
        .size:           4
        .value_kind:     by_value
      - .offset:         192
        .size:           4
        .value_kind:     by_value
      - .offset:         200
        .size:           8
        .value_kind:     by_value
      - .offset:         208
        .size:           4
        .value_kind:     hidden_block_count_x
      - .offset:         212
        .size:           4
        .value_kind:     hidden_block_count_y
      - .offset:         216
        .size:           4
        .value_kind:     hidden_block_count_z
      - .offset:         220
        .size:           2
        .value_kind:     hidden_group_size_x
      - .offset:         222
        .size:           2
        .value_kind:     hidden_group_size_y
      - .offset:         224
        .size:           2
        .value_kind:     hidden_group_size_z
      - .offset:         226
        .size:           2
        .value_kind:     hidden_remainder_x
      - .offset:         228
        .size:           2
        .value_kind:     hidden_remainder_y
      - .offset:         230
        .size:           2
        .value_kind:     hidden_remainder_z
      - .offset:         248
        .size:           8
        .value_kind:     hidden_global_offset_x
      - .offset:         256
        .size:           8
        .value_kind:     hidden_global_offset_y
      - .offset:         264
        .size:           8
        .value_kind:     hidden_global_offset_z
      - .offset:         272
        .size:           2
        .value_kind:     hidden_grid_dims
      - .offset:         328
        .size:           4
        .value_kind:     hidden_dynamic_lds_size
    .group_segment_fixed_size: 0
    .kernarg_segment_align: 8
    .kernarg_segment_size: 464
    .language:       OpenCL C
    .language_version:
      - 2
      - 0
    .max_flat_workgroup_size: 256
    .name:           _ZL18flash_attn_ext_f16ILi96ELi96ELi16ELi4ELb0ELb0EEvPKcS1_S1_S1_S1_PKiPfP15HIP_vector_typeIfLj2EEffffjfiS5_IjLj3EEiiiiiiiiiiiliiliiiiil
    .private_segment_fixed_size: 0
    .sgpr_count:     100
    .sgpr_spill_count: 43
    .symbol:         _ZL18flash_attn_ext_f16ILi96ELi96ELi16ELi4ELb0ELb0EEvPKcS1_S1_S1_S1_PKiPfP15HIP_vector_typeIfLj2EEffffjfiS5_IjLj3EEiiiiiiiiiiiliiliiiiil.kd
    .uniform_work_group_size: 1
    .uses_dynamic_stack: false
    .vgpr_count:     218
    .vgpr_spill_count: 0
    .wavefront_size: 64
  - .agpr_count:     0
    .args:
      - .address_space:  global
        .offset:         0
        .size:           8
        .value_kind:     global_buffer
      - .address_space:  global
        .offset:         8
        .size:           8
        .value_kind:     global_buffer
      - .address_space:  global
        .offset:         16
        .size:           8
        .value_kind:     global_buffer
      - .address_space:  global
        .offset:         24
        .size:           8
        .value_kind:     global_buffer
      - .address_space:  global
        .offset:         32
        .size:           8
        .value_kind:     global_buffer
      - .address_space:  global
        .offset:         40
        .size:           8
        .value_kind:     global_buffer
      - .address_space:  global
        .offset:         48
        .size:           8
        .value_kind:     global_buffer
      - .address_space:  global
        .offset:         56
        .size:           8
        .value_kind:     global_buffer
      - .offset:         64
        .size:           4
        .value_kind:     by_value
      - .offset:         68
        .size:           4
        .value_kind:     by_value
      - .offset:         72
        .size:           4
        .value_kind:     by_value
      - .offset:         76
        .size:           4
        .value_kind:     by_value
      - .offset:         80
        .size:           4
        .value_kind:     by_value
      - .offset:         84
        .size:           4
        .value_kind:     by_value
      - .offset:         88
        .size:           4
        .value_kind:     by_value
      - .offset:         92
        .size:           12
        .value_kind:     by_value
      - .offset:         104
        .size:           4
        .value_kind:     by_value
      - .offset:         108
        .size:           4
        .value_kind:     by_value
      - .offset:         112
        .size:           4
        .value_kind:     by_value
      - .offset:         116
        .size:           4
        .value_kind:     by_value
      - .offset:         120
        .size:           4
        .value_kind:     by_value
      - .offset:         124
        .size:           4
        .value_kind:     by_value
      - .offset:         128
        .size:           4
        .value_kind:     by_value
      - .offset:         132
        .size:           4
        .value_kind:     by_value
      - .offset:         136
        .size:           4
        .value_kind:     by_value
      - .offset:         140
        .size:           4
        .value_kind:     by_value
      - .offset:         144
        .size:           4
        .value_kind:     by_value
      - .offset:         152
        .size:           8
        .value_kind:     by_value
      - .offset:         160
        .size:           4
        .value_kind:     by_value
      - .offset:         164
        .size:           4
        .value_kind:     by_value
      - .offset:         168
        .size:           8
        .value_kind:     by_value
      - .offset:         176
        .size:           4
        .value_kind:     by_value
      - .offset:         180
        .size:           4
        .value_kind:     by_value
      - .offset:         184
        .size:           4
        .value_kind:     by_value
      - .offset:         188
        .size:           4
        .value_kind:     by_value
      - .offset:         192
        .size:           4
        .value_kind:     by_value
      - .offset:         200
        .size:           8
        .value_kind:     by_value
      - .offset:         208
        .size:           4
        .value_kind:     hidden_block_count_x
      - .offset:         212
        .size:           4
        .value_kind:     hidden_block_count_y
      - .offset:         216
        .size:           4
        .value_kind:     hidden_block_count_z
      - .offset:         220
        .size:           2
        .value_kind:     hidden_group_size_x
      - .offset:         222
        .size:           2
        .value_kind:     hidden_group_size_y
      - .offset:         224
        .size:           2
        .value_kind:     hidden_group_size_z
      - .offset:         226
        .size:           2
        .value_kind:     hidden_remainder_x
      - .offset:         228
        .size:           2
        .value_kind:     hidden_remainder_y
      - .offset:         230
        .size:           2
        .value_kind:     hidden_remainder_z
      - .offset:         248
        .size:           8
        .value_kind:     hidden_global_offset_x
      - .offset:         256
        .size:           8
        .value_kind:     hidden_global_offset_y
      - .offset:         264
        .size:           8
        .value_kind:     hidden_global_offset_z
      - .offset:         272
        .size:           2
        .value_kind:     hidden_grid_dims
      - .offset:         288
        .size:           8
        .value_kind:     hidden_hostcall_buffer
    .group_segment_fixed_size: 0
    .kernarg_segment_align: 8
    .kernarg_segment_size: 464
    .language:       OpenCL C
    .language_version:
      - 2
      - 0
    .max_flat_workgroup_size: 256
    .name:           _ZL18flash_attn_ext_f16ILi96ELi96ELi16ELi4ELb1ELb0EEvPKcS1_S1_S1_S1_PKiPfP15HIP_vector_typeIfLj2EEffffjfiS5_IjLj3EEiiiiiiiiiiiliiliiiiil
    .private_segment_fixed_size: 16
    .sgpr_count:     40
    .sgpr_spill_count: 0
    .symbol:         _ZL18flash_attn_ext_f16ILi96ELi96ELi16ELi4ELb1ELb0EEvPKcS1_S1_S1_S1_PKiPfP15HIP_vector_typeIfLj2EEffffjfiS5_IjLj3EEiiiiiiiiiiiliiliiiiil.kd
    .uniform_work_group_size: 1
    .uses_dynamic_stack: false
    .vgpr_count:     39
    .vgpr_spill_count: 0
    .wavefront_size: 64
  - .agpr_count:     0
    .args:
      - .address_space:  global
        .offset:         0
        .size:           8
        .value_kind:     global_buffer
      - .address_space:  global
        .offset:         8
        .size:           8
        .value_kind:     global_buffer
      - .offset:         16
        .size:           4
        .value_kind:     by_value
      - .offset:         20
        .size:           4
        .value_kind:     by_value
      - .offset:         24
        .size:           4
        .value_kind:     by_value
      - .offset:         28
        .size:           4
        .value_kind:     by_value
      - .offset:         32
        .size:           4
        .value_kind:     by_value
      - .offset:         36
        .size:           4
        .value_kind:     by_value
      - .offset:         40
        .size:           12
        .value_kind:     by_value
      - .offset:         52
        .size:           12
        .value_kind:     by_value
      - .offset:         64
        .size:           12
        .value_kind:     by_value
    .group_segment_fixed_size: 0
    .kernarg_segment_align: 8
    .kernarg_segment_size: 76
    .language:       OpenCL C
    .language_version:
      - 2
      - 0
    .max_flat_workgroup_size: 96
    .name:           _ZL33flash_attn_stream_k_fixup_uniformILi96ELi16ELi4EEvPfPK15HIP_vector_typeIfLj2EEiiiiiiS1_IjLj3EES5_S5_
    .private_segment_fixed_size: 0
    .sgpr_count:     24
    .sgpr_spill_count: 0
    .symbol:         _ZL33flash_attn_stream_k_fixup_uniformILi96ELi16ELi4EEvPfPK15HIP_vector_typeIfLj2EEiiiiiiS1_IjLj3EES5_S5_.kd
    .uniform_work_group_size: 1
    .uses_dynamic_stack: false
    .vgpr_count:     17
    .vgpr_spill_count: 0
    .wavefront_size: 64
  - .agpr_count:     0
    .args:
      - .address_space:  global
        .offset:         0
        .size:           8
        .value_kind:     global_buffer
      - .address_space:  global
        .offset:         8
        .size:           8
        .value_kind:     global_buffer
      - .offset:         16
        .size:           4
        .value_kind:     by_value
      - .offset:         20
        .size:           4
        .value_kind:     by_value
      - .offset:         24
        .size:           4
        .value_kind:     by_value
      - .offset:         28
        .size:           4
        .value_kind:     by_value
      - .offset:         32
        .size:           12
        .value_kind:     by_value
      - .offset:         44
        .size:           12
        .value_kind:     by_value
      - .offset:         56
        .size:           12
        .value_kind:     by_value
      - .offset:         68
        .size:           12
        .value_kind:     by_value
      - .offset:         80
        .size:           4
        .value_kind:     hidden_block_count_x
      - .offset:         84
        .size:           4
        .value_kind:     hidden_block_count_y
      - .offset:         88
        .size:           4
        .value_kind:     hidden_block_count_z
      - .offset:         92
        .size:           2
        .value_kind:     hidden_group_size_x
      - .offset:         94
        .size:           2
        .value_kind:     hidden_group_size_y
      - .offset:         96
        .size:           2
        .value_kind:     hidden_group_size_z
      - .offset:         98
        .size:           2
        .value_kind:     hidden_remainder_x
      - .offset:         100
        .size:           2
        .value_kind:     hidden_remainder_y
      - .offset:         102
        .size:           2
        .value_kind:     hidden_remainder_z
      - .offset:         120
        .size:           8
        .value_kind:     hidden_global_offset_x
      - .offset:         128
        .size:           8
        .value_kind:     hidden_global_offset_y
      - .offset:         136
        .size:           8
        .value_kind:     hidden_global_offset_z
      - .offset:         144
        .size:           2
        .value_kind:     hidden_grid_dims
    .group_segment_fixed_size: 0
    .kernarg_segment_align: 8
    .kernarg_segment_size: 336
    .language:       OpenCL C
    .language_version:
      - 2
      - 0
    .max_flat_workgroup_size: 96
    .name:           _ZL33flash_attn_stream_k_fixup_generalILi96ELi16ELi4EEvPfPK15HIP_vector_typeIfLj2EEiiiiS1_IjLj3EES5_S5_S5_
    .private_segment_fixed_size: 0
    .sgpr_count:     36
    .sgpr_spill_count: 0
    .symbol:         _ZL33flash_attn_stream_k_fixup_generalILi96ELi16ELi4EEvPfPK15HIP_vector_typeIfLj2EEiiiiS1_IjLj3EES5_S5_S5_.kd
    .uniform_work_group_size: 1
    .uses_dynamic_stack: false
    .vgpr_count:     22
    .vgpr_spill_count: 0
    .wavefront_size: 64
  - .agpr_count:     0
    .args:
      - .address_space:  global
        .offset:         0
        .size:           8
        .value_kind:     global_buffer
      - .address_space:  global
        .offset:         8
        .size:           8
        .value_kind:     global_buffer
      - .address_space:  global
        .offset:         16
        .size:           8
        .value_kind:     global_buffer
      - .offset:         24
        .size:           4
        .value_kind:     by_value
      - .offset:         32
        .size:           4
        .value_kind:     hidden_block_count_x
      - .offset:         36
        .size:           4
        .value_kind:     hidden_block_count_y
      - .offset:         40
        .size:           4
        .value_kind:     hidden_block_count_z
      - .offset:         44
        .size:           2
        .value_kind:     hidden_group_size_x
      - .offset:         46
        .size:           2
        .value_kind:     hidden_group_size_y
      - .offset:         48
        .size:           2
        .value_kind:     hidden_group_size_z
      - .offset:         50
        .size:           2
        .value_kind:     hidden_remainder_x
      - .offset:         52
        .size:           2
        .value_kind:     hidden_remainder_y
      - .offset:         54
        .size:           2
        .value_kind:     hidden_remainder_z
      - .offset:         72
        .size:           8
        .value_kind:     hidden_global_offset_x
      - .offset:         80
        .size:           8
        .value_kind:     hidden_global_offset_y
      - .offset:         88
        .size:           8
        .value_kind:     hidden_global_offset_z
      - .offset:         96
        .size:           2
        .value_kind:     hidden_grid_dims
      - .offset:         152
        .size:           4
        .value_kind:     hidden_dynamic_lds_size
    .group_segment_fixed_size: 0
    .kernarg_segment_align: 8
    .kernarg_segment_size: 288
    .language:       OpenCL C
    .language_version:
      - 2
      - 0
    .max_flat_workgroup_size: 96
    .name:           _ZL26flash_attn_combine_resultsILi96EEvPKfPK15HIP_vector_typeIfLj2EEPfi
    .private_segment_fixed_size: 0
    .sgpr_count:     33
    .sgpr_spill_count: 0
    .symbol:         _ZL26flash_attn_combine_resultsILi96EEvPKfPK15HIP_vector_typeIfLj2EEPfi.kd
    .uniform_work_group_size: 1
    .uses_dynamic_stack: false
    .vgpr_count:     51
    .vgpr_spill_count: 0
    .wavefront_size: 64
  - .agpr_count:     0
    .args:
      - .address_space:  global
        .offset:         0
        .size:           8
        .value_kind:     global_buffer
      - .address_space:  global
        .offset:         8
        .size:           8
        .value_kind:     global_buffer
      - .address_space:  global
        .offset:         16
        .size:           8
        .value_kind:     global_buffer
      - .address_space:  global
        .offset:         24
        .size:           8
        .value_kind:     global_buffer
      - .address_space:  global
        .offset:         32
        .size:           8
        .value_kind:     global_buffer
      - .address_space:  global
        .offset:         40
        .size:           8
        .value_kind:     global_buffer
      - .address_space:  global
        .offset:         48
        .size:           8
        .value_kind:     global_buffer
      - .address_space:  global
        .offset:         56
        .size:           8
        .value_kind:     global_buffer
      - .offset:         64
        .size:           4
        .value_kind:     by_value
      - .offset:         68
        .size:           4
        .value_kind:     by_value
      - .offset:         72
        .size:           4
        .value_kind:     by_value
      - .offset:         76
        .size:           4
        .value_kind:     by_value
      - .offset:         80
        .size:           4
        .value_kind:     by_value
      - .offset:         84
        .size:           4
        .value_kind:     by_value
      - .offset:         88
        .size:           4
        .value_kind:     by_value
      - .offset:         92
        .size:           12
        .value_kind:     by_value
      - .offset:         104
        .size:           4
        .value_kind:     by_value
      - .offset:         108
        .size:           4
        .value_kind:     by_value
      - .offset:         112
        .size:           4
        .value_kind:     by_value
      - .offset:         116
        .size:           4
        .value_kind:     by_value
      - .offset:         120
        .size:           4
        .value_kind:     by_value
      - .offset:         124
        .size:           4
        .value_kind:     by_value
      - .offset:         128
        .size:           4
        .value_kind:     by_value
      - .offset:         132
        .size:           4
        .value_kind:     by_value
      - .offset:         136
        .size:           4
        .value_kind:     by_value
      - .offset:         140
        .size:           4
        .value_kind:     by_value
      - .offset:         144
        .size:           4
        .value_kind:     by_value
      - .offset:         152
        .size:           8
        .value_kind:     by_value
      - .offset:         160
        .size:           4
        .value_kind:     by_value
      - .offset:         164
        .size:           4
        .value_kind:     by_value
      - .offset:         168
        .size:           8
        .value_kind:     by_value
      - .offset:         176
        .size:           4
        .value_kind:     by_value
      - .offset:         180
        .size:           4
        .value_kind:     by_value
      - .offset:         184
        .size:           4
        .value_kind:     by_value
      - .offset:         188
        .size:           4
        .value_kind:     by_value
      - .offset:         192
        .size:           4
        .value_kind:     by_value
      - .offset:         200
        .size:           8
        .value_kind:     by_value
      - .offset:         208
        .size:           4
        .value_kind:     hidden_block_count_x
      - .offset:         212
        .size:           4
        .value_kind:     hidden_block_count_y
      - .offset:         216
        .size:           4
        .value_kind:     hidden_block_count_z
      - .offset:         220
        .size:           2
        .value_kind:     hidden_group_size_x
      - .offset:         222
        .size:           2
        .value_kind:     hidden_group_size_y
      - .offset:         224
        .size:           2
        .value_kind:     hidden_group_size_z
      - .offset:         226
        .size:           2
        .value_kind:     hidden_remainder_x
      - .offset:         228
        .size:           2
        .value_kind:     hidden_remainder_y
      - .offset:         230
        .size:           2
        .value_kind:     hidden_remainder_z
      - .offset:         248
        .size:           8
        .value_kind:     hidden_global_offset_x
      - .offset:         256
        .size:           8
        .value_kind:     hidden_global_offset_y
      - .offset:         264
        .size:           8
        .value_kind:     hidden_global_offset_z
      - .offset:         272
        .size:           2
        .value_kind:     hidden_grid_dims
      - .offset:         328
        .size:           4
        .value_kind:     hidden_dynamic_lds_size
    .group_segment_fixed_size: 0
    .kernarg_segment_align: 8
    .kernarg_segment_size: 464
    .language:       OpenCL C
    .language_version:
      - 2
      - 0
    .max_flat_workgroup_size: 256
    .name:           _ZL18flash_attn_ext_f16ILi112ELi112ELi16ELi4ELb0ELb0EEvPKcS1_S1_S1_S1_PKiPfP15HIP_vector_typeIfLj2EEffffjfiS5_IjLj3EEiiiiiiiiiiiliiliiiiil
    .private_segment_fixed_size: 0
    .sgpr_count:     100
    .sgpr_spill_count: 54
    .symbol:         _ZL18flash_attn_ext_f16ILi112ELi112ELi16ELi4ELb0ELb0EEvPKcS1_S1_S1_S1_PKiPfP15HIP_vector_typeIfLj2EEffffjfiS5_IjLj3EEiiiiiiiiiiiliiliiiiil.kd
    .uniform_work_group_size: 1
    .uses_dynamic_stack: false
    .vgpr_count:     239
    .vgpr_spill_count: 0
    .wavefront_size: 64
  - .agpr_count:     0
    .args:
      - .address_space:  global
        .offset:         0
        .size:           8
        .value_kind:     global_buffer
      - .address_space:  global
        .offset:         8
        .size:           8
        .value_kind:     global_buffer
      - .address_space:  global
        .offset:         16
        .size:           8
        .value_kind:     global_buffer
      - .address_space:  global
        .offset:         24
        .size:           8
        .value_kind:     global_buffer
      - .address_space:  global
        .offset:         32
        .size:           8
        .value_kind:     global_buffer
      - .address_space:  global
        .offset:         40
        .size:           8
        .value_kind:     global_buffer
      - .address_space:  global
        .offset:         48
        .size:           8
        .value_kind:     global_buffer
      - .address_space:  global
        .offset:         56
        .size:           8
        .value_kind:     global_buffer
      - .offset:         64
        .size:           4
        .value_kind:     by_value
      - .offset:         68
        .size:           4
        .value_kind:     by_value
      - .offset:         72
        .size:           4
        .value_kind:     by_value
      - .offset:         76
        .size:           4
        .value_kind:     by_value
      - .offset:         80
        .size:           4
        .value_kind:     by_value
      - .offset:         84
        .size:           4
        .value_kind:     by_value
      - .offset:         88
        .size:           4
        .value_kind:     by_value
      - .offset:         92
        .size:           12
        .value_kind:     by_value
      - .offset:         104
        .size:           4
        .value_kind:     by_value
      - .offset:         108
        .size:           4
        .value_kind:     by_value
      - .offset:         112
        .size:           4
        .value_kind:     by_value
      - .offset:         116
        .size:           4
        .value_kind:     by_value
      - .offset:         120
        .size:           4
        .value_kind:     by_value
      - .offset:         124
        .size:           4
        .value_kind:     by_value
      - .offset:         128
        .size:           4
        .value_kind:     by_value
      - .offset:         132
        .size:           4
        .value_kind:     by_value
      - .offset:         136
        .size:           4
        .value_kind:     by_value
      - .offset:         140
        .size:           4
        .value_kind:     by_value
      - .offset:         144
        .size:           4
        .value_kind:     by_value
      - .offset:         152
        .size:           8
        .value_kind:     by_value
      - .offset:         160
        .size:           4
        .value_kind:     by_value
      - .offset:         164
        .size:           4
        .value_kind:     by_value
      - .offset:         168
        .size:           8
        .value_kind:     by_value
      - .offset:         176
        .size:           4
        .value_kind:     by_value
      - .offset:         180
        .size:           4
        .value_kind:     by_value
      - .offset:         184
        .size:           4
        .value_kind:     by_value
      - .offset:         188
        .size:           4
        .value_kind:     by_value
      - .offset:         192
        .size:           4
        .value_kind:     by_value
      - .offset:         200
        .size:           8
        .value_kind:     by_value
      - .offset:         208
        .size:           4
        .value_kind:     hidden_block_count_x
      - .offset:         212
        .size:           4
        .value_kind:     hidden_block_count_y
      - .offset:         216
        .size:           4
        .value_kind:     hidden_block_count_z
      - .offset:         220
        .size:           2
        .value_kind:     hidden_group_size_x
      - .offset:         222
        .size:           2
        .value_kind:     hidden_group_size_y
      - .offset:         224
        .size:           2
        .value_kind:     hidden_group_size_z
      - .offset:         226
        .size:           2
        .value_kind:     hidden_remainder_x
      - .offset:         228
        .size:           2
        .value_kind:     hidden_remainder_y
      - .offset:         230
        .size:           2
        .value_kind:     hidden_remainder_z
      - .offset:         248
        .size:           8
        .value_kind:     hidden_global_offset_x
      - .offset:         256
        .size:           8
        .value_kind:     hidden_global_offset_y
      - .offset:         264
        .size:           8
        .value_kind:     hidden_global_offset_z
      - .offset:         272
        .size:           2
        .value_kind:     hidden_grid_dims
      - .offset:         288
        .size:           8
        .value_kind:     hidden_hostcall_buffer
    .group_segment_fixed_size: 0
    .kernarg_segment_align: 8
    .kernarg_segment_size: 464
    .language:       OpenCL C
    .language_version:
      - 2
      - 0
    .max_flat_workgroup_size: 256
    .name:           _ZL18flash_attn_ext_f16ILi112ELi112ELi16ELi4ELb1ELb0EEvPKcS1_S1_S1_S1_PKiPfP15HIP_vector_typeIfLj2EEffffjfiS5_IjLj3EEiiiiiiiiiiiliiliiiiil
    .private_segment_fixed_size: 16
    .sgpr_count:     40
    .sgpr_spill_count: 0
    .symbol:         _ZL18flash_attn_ext_f16ILi112ELi112ELi16ELi4ELb1ELb0EEvPKcS1_S1_S1_S1_PKiPfP15HIP_vector_typeIfLj2EEffffjfiS5_IjLj3EEiiiiiiiiiiiliiliiiiil.kd
    .uniform_work_group_size: 1
    .uses_dynamic_stack: false
    .vgpr_count:     39
    .vgpr_spill_count: 0
    .wavefront_size: 64
  - .agpr_count:     0
    .args:
      - .address_space:  global
        .offset:         0
        .size:           8
        .value_kind:     global_buffer
      - .address_space:  global
        .offset:         8
        .size:           8
        .value_kind:     global_buffer
      - .offset:         16
        .size:           4
        .value_kind:     by_value
      - .offset:         20
        .size:           4
        .value_kind:     by_value
      - .offset:         24
        .size:           4
        .value_kind:     by_value
      - .offset:         28
        .size:           4
        .value_kind:     by_value
      - .offset:         32
        .size:           4
        .value_kind:     by_value
      - .offset:         36
        .size:           4
        .value_kind:     by_value
      - .offset:         40
        .size:           12
        .value_kind:     by_value
      - .offset:         52
        .size:           12
        .value_kind:     by_value
      - .offset:         64
        .size:           12
        .value_kind:     by_value
    .group_segment_fixed_size: 0
    .kernarg_segment_align: 8
    .kernarg_segment_size: 76
    .language:       OpenCL C
    .language_version:
      - 2
      - 0
    .max_flat_workgroup_size: 112
    .name:           _ZL33flash_attn_stream_k_fixup_uniformILi112ELi16ELi4EEvPfPK15HIP_vector_typeIfLj2EEiiiiiiS1_IjLj3EES5_S5_
    .private_segment_fixed_size: 0
    .sgpr_count:     24
    .sgpr_spill_count: 0
    .symbol:         _ZL33flash_attn_stream_k_fixup_uniformILi112ELi16ELi4EEvPfPK15HIP_vector_typeIfLj2EEiiiiiiS1_IjLj3EES5_S5_.kd
    .uniform_work_group_size: 1
    .uses_dynamic_stack: false
    .vgpr_count:     17
    .vgpr_spill_count: 0
    .wavefront_size: 64
  - .agpr_count:     0
    .args:
      - .address_space:  global
        .offset:         0
        .size:           8
        .value_kind:     global_buffer
      - .address_space:  global
        .offset:         8
        .size:           8
        .value_kind:     global_buffer
      - .offset:         16
        .size:           4
        .value_kind:     by_value
      - .offset:         20
        .size:           4
        .value_kind:     by_value
      - .offset:         24
        .size:           4
        .value_kind:     by_value
      - .offset:         28
        .size:           4
        .value_kind:     by_value
      - .offset:         32
        .size:           12
        .value_kind:     by_value
      - .offset:         44
        .size:           12
        .value_kind:     by_value
      - .offset:         56
        .size:           12
        .value_kind:     by_value
      - .offset:         68
        .size:           12
        .value_kind:     by_value
      - .offset:         80
        .size:           4
        .value_kind:     hidden_block_count_x
      - .offset:         84
        .size:           4
        .value_kind:     hidden_block_count_y
      - .offset:         88
        .size:           4
        .value_kind:     hidden_block_count_z
      - .offset:         92
        .size:           2
        .value_kind:     hidden_group_size_x
      - .offset:         94
        .size:           2
        .value_kind:     hidden_group_size_y
      - .offset:         96
        .size:           2
        .value_kind:     hidden_group_size_z
      - .offset:         98
        .size:           2
        .value_kind:     hidden_remainder_x
      - .offset:         100
        .size:           2
        .value_kind:     hidden_remainder_y
      - .offset:         102
        .size:           2
        .value_kind:     hidden_remainder_z
      - .offset:         120
        .size:           8
        .value_kind:     hidden_global_offset_x
      - .offset:         128
        .size:           8
        .value_kind:     hidden_global_offset_y
      - .offset:         136
        .size:           8
        .value_kind:     hidden_global_offset_z
      - .offset:         144
        .size:           2
        .value_kind:     hidden_grid_dims
    .group_segment_fixed_size: 0
    .kernarg_segment_align: 8
    .kernarg_segment_size: 336
    .language:       OpenCL C
    .language_version:
      - 2
      - 0
    .max_flat_workgroup_size: 112
    .name:           _ZL33flash_attn_stream_k_fixup_generalILi112ELi16ELi4EEvPfPK15HIP_vector_typeIfLj2EEiiiiS1_IjLj3EES5_S5_S5_
    .private_segment_fixed_size: 0
    .sgpr_count:     36
    .sgpr_spill_count: 0
    .symbol:         _ZL33flash_attn_stream_k_fixup_generalILi112ELi16ELi4EEvPfPK15HIP_vector_typeIfLj2EEiiiiS1_IjLj3EES5_S5_S5_.kd
    .uniform_work_group_size: 1
    .uses_dynamic_stack: false
    .vgpr_count:     22
    .vgpr_spill_count: 0
    .wavefront_size: 64
  - .agpr_count:     0
    .args:
      - .address_space:  global
        .offset:         0
        .size:           8
        .value_kind:     global_buffer
      - .address_space:  global
        .offset:         8
        .size:           8
        .value_kind:     global_buffer
      - .address_space:  global
        .offset:         16
        .size:           8
        .value_kind:     global_buffer
      - .offset:         24
        .size:           4
        .value_kind:     by_value
      - .offset:         32
        .size:           4
        .value_kind:     hidden_block_count_x
      - .offset:         36
        .size:           4
        .value_kind:     hidden_block_count_y
      - .offset:         40
        .size:           4
        .value_kind:     hidden_block_count_z
      - .offset:         44
        .size:           2
        .value_kind:     hidden_group_size_x
      - .offset:         46
        .size:           2
        .value_kind:     hidden_group_size_y
      - .offset:         48
        .size:           2
        .value_kind:     hidden_group_size_z
      - .offset:         50
        .size:           2
        .value_kind:     hidden_remainder_x
      - .offset:         52
        .size:           2
        .value_kind:     hidden_remainder_y
      - .offset:         54
        .size:           2
        .value_kind:     hidden_remainder_z
      - .offset:         72
        .size:           8
        .value_kind:     hidden_global_offset_x
      - .offset:         80
        .size:           8
        .value_kind:     hidden_global_offset_y
      - .offset:         88
        .size:           8
        .value_kind:     hidden_global_offset_z
      - .offset:         96
        .size:           2
        .value_kind:     hidden_grid_dims
      - .offset:         152
        .size:           4
        .value_kind:     hidden_dynamic_lds_size
    .group_segment_fixed_size: 0
    .kernarg_segment_align: 8
    .kernarg_segment_size: 288
    .language:       OpenCL C
    .language_version:
      - 2
      - 0
    .max_flat_workgroup_size: 112
    .name:           _ZL26flash_attn_combine_resultsILi112EEvPKfPK15HIP_vector_typeIfLj2EEPfi
    .private_segment_fixed_size: 0
    .sgpr_count:     33
    .sgpr_spill_count: 0
    .symbol:         _ZL26flash_attn_combine_resultsILi112EEvPKfPK15HIP_vector_typeIfLj2EEPfi.kd
    .uniform_work_group_size: 1
    .uses_dynamic_stack: false
    .vgpr_count:     51
    .vgpr_spill_count: 0
    .wavefront_size: 64
  - .agpr_count:     0
    .args:
      - .address_space:  global
        .offset:         0
        .size:           8
        .value_kind:     global_buffer
      - .address_space:  global
        .offset:         8
        .size:           8
        .value_kind:     global_buffer
      - .address_space:  global
        .offset:         16
        .size:           8
        .value_kind:     global_buffer
      - .address_space:  global
        .offset:         24
        .size:           8
        .value_kind:     global_buffer
      - .address_space:  global
        .offset:         32
        .size:           8
        .value_kind:     global_buffer
      - .address_space:  global
        .offset:         40
        .size:           8
        .value_kind:     global_buffer
      - .address_space:  global
        .offset:         48
        .size:           8
        .value_kind:     global_buffer
      - .address_space:  global
        .offset:         56
        .size:           8
        .value_kind:     global_buffer
      - .offset:         64
        .size:           4
        .value_kind:     by_value
      - .offset:         68
        .size:           4
        .value_kind:     by_value
      - .offset:         72
        .size:           4
        .value_kind:     by_value
      - .offset:         76
        .size:           4
        .value_kind:     by_value
      - .offset:         80
        .size:           4
        .value_kind:     by_value
      - .offset:         84
        .size:           4
        .value_kind:     by_value
      - .offset:         88
        .size:           4
        .value_kind:     by_value
      - .offset:         92
        .size:           12
        .value_kind:     by_value
      - .offset:         104
        .size:           4
        .value_kind:     by_value
      - .offset:         108
        .size:           4
        .value_kind:     by_value
      - .offset:         112
        .size:           4
        .value_kind:     by_value
      - .offset:         116
        .size:           4
        .value_kind:     by_value
      - .offset:         120
        .size:           4
        .value_kind:     by_value
      - .offset:         124
        .size:           4
        .value_kind:     by_value
      - .offset:         128
        .size:           4
        .value_kind:     by_value
      - .offset:         132
        .size:           4
        .value_kind:     by_value
      - .offset:         136
        .size:           4
        .value_kind:     by_value
      - .offset:         140
        .size:           4
        .value_kind:     by_value
      - .offset:         144
        .size:           4
        .value_kind:     by_value
      - .offset:         152
        .size:           8
        .value_kind:     by_value
      - .offset:         160
        .size:           4
        .value_kind:     by_value
      - .offset:         164
        .size:           4
        .value_kind:     by_value
      - .offset:         168
        .size:           8
        .value_kind:     by_value
      - .offset:         176
        .size:           4
        .value_kind:     by_value
      - .offset:         180
        .size:           4
        .value_kind:     by_value
      - .offset:         184
        .size:           4
        .value_kind:     by_value
      - .offset:         188
        .size:           4
        .value_kind:     by_value
      - .offset:         192
        .size:           4
        .value_kind:     by_value
      - .offset:         200
        .size:           8
        .value_kind:     by_value
      - .offset:         208
        .size:           4
        .value_kind:     hidden_block_count_x
      - .offset:         212
        .size:           4
        .value_kind:     hidden_block_count_y
      - .offset:         216
        .size:           4
        .value_kind:     hidden_block_count_z
      - .offset:         220
        .size:           2
        .value_kind:     hidden_group_size_x
      - .offset:         222
        .size:           2
        .value_kind:     hidden_group_size_y
      - .offset:         224
        .size:           2
        .value_kind:     hidden_group_size_z
      - .offset:         226
        .size:           2
        .value_kind:     hidden_remainder_x
      - .offset:         228
        .size:           2
        .value_kind:     hidden_remainder_y
      - .offset:         230
        .size:           2
        .value_kind:     hidden_remainder_z
      - .offset:         248
        .size:           8
        .value_kind:     hidden_global_offset_x
      - .offset:         256
        .size:           8
        .value_kind:     hidden_global_offset_y
      - .offset:         264
        .size:           8
        .value_kind:     hidden_global_offset_z
      - .offset:         272
        .size:           2
        .value_kind:     hidden_grid_dims
      - .offset:         328
        .size:           4
        .value_kind:     hidden_dynamic_lds_size
    .group_segment_fixed_size: 0
    .kernarg_segment_align: 8
    .kernarg_segment_size: 464
    .language:       OpenCL C
    .language_version:
      - 2
      - 0
    .max_flat_workgroup_size: 256
    .name:           _ZL18flash_attn_ext_f16ILi128ELi128ELi16ELi4ELb0ELb0EEvPKcS1_S1_S1_S1_PKiPfP15HIP_vector_typeIfLj2EEffffjfiS5_IjLj3EEiiiiiiiiiiiliiliiiiil
    .private_segment_fixed_size: 24
    .sgpr_count:     104
    .sgpr_spill_count: 57
    .symbol:         _ZL18flash_attn_ext_f16ILi128ELi128ELi16ELi4ELb0ELb0EEvPKcS1_S1_S1_S1_PKiPfP15HIP_vector_typeIfLj2EEffffjfiS5_IjLj3EEiiiiiiiiiiiliiliiiiil.kd
    .uniform_work_group_size: 1
    .uses_dynamic_stack: false
    .vgpr_count:     256
    .vgpr_spill_count: 5
    .wavefront_size: 64
  - .agpr_count:     0
    .args:
      - .address_space:  global
        .offset:         0
        .size:           8
        .value_kind:     global_buffer
      - .address_space:  global
        .offset:         8
        .size:           8
        .value_kind:     global_buffer
      - .address_space:  global
        .offset:         16
        .size:           8
        .value_kind:     global_buffer
      - .address_space:  global
        .offset:         24
        .size:           8
        .value_kind:     global_buffer
      - .address_space:  global
        .offset:         32
        .size:           8
        .value_kind:     global_buffer
      - .address_space:  global
        .offset:         40
        .size:           8
        .value_kind:     global_buffer
      - .address_space:  global
        .offset:         48
        .size:           8
        .value_kind:     global_buffer
      - .address_space:  global
        .offset:         56
        .size:           8
        .value_kind:     global_buffer
      - .offset:         64
        .size:           4
        .value_kind:     by_value
      - .offset:         68
        .size:           4
        .value_kind:     by_value
      - .offset:         72
        .size:           4
        .value_kind:     by_value
      - .offset:         76
        .size:           4
        .value_kind:     by_value
      - .offset:         80
        .size:           4
        .value_kind:     by_value
      - .offset:         84
        .size:           4
        .value_kind:     by_value
      - .offset:         88
        .size:           4
        .value_kind:     by_value
      - .offset:         92
        .size:           12
        .value_kind:     by_value
      - .offset:         104
        .size:           4
        .value_kind:     by_value
      - .offset:         108
        .size:           4
        .value_kind:     by_value
      - .offset:         112
        .size:           4
        .value_kind:     by_value
      - .offset:         116
        .size:           4
        .value_kind:     by_value
      - .offset:         120
        .size:           4
        .value_kind:     by_value
      - .offset:         124
        .size:           4
        .value_kind:     by_value
      - .offset:         128
        .size:           4
        .value_kind:     by_value
      - .offset:         132
        .size:           4
        .value_kind:     by_value
      - .offset:         136
        .size:           4
        .value_kind:     by_value
      - .offset:         140
        .size:           4
        .value_kind:     by_value
      - .offset:         144
        .size:           4
        .value_kind:     by_value
      - .offset:         152
        .size:           8
        .value_kind:     by_value
      - .offset:         160
        .size:           4
        .value_kind:     by_value
      - .offset:         164
        .size:           4
        .value_kind:     by_value
      - .offset:         168
        .size:           8
        .value_kind:     by_value
      - .offset:         176
        .size:           4
        .value_kind:     by_value
      - .offset:         180
        .size:           4
        .value_kind:     by_value
      - .offset:         184
        .size:           4
        .value_kind:     by_value
      - .offset:         188
        .size:           4
        .value_kind:     by_value
      - .offset:         192
        .size:           4
        .value_kind:     by_value
      - .offset:         200
        .size:           8
        .value_kind:     by_value
      - .offset:         208
        .size:           4
        .value_kind:     hidden_block_count_x
      - .offset:         212
        .size:           4
        .value_kind:     hidden_block_count_y
      - .offset:         216
        .size:           4
        .value_kind:     hidden_block_count_z
      - .offset:         220
        .size:           2
        .value_kind:     hidden_group_size_x
      - .offset:         222
        .size:           2
        .value_kind:     hidden_group_size_y
      - .offset:         224
        .size:           2
        .value_kind:     hidden_group_size_z
      - .offset:         226
        .size:           2
        .value_kind:     hidden_remainder_x
      - .offset:         228
        .size:           2
        .value_kind:     hidden_remainder_y
      - .offset:         230
        .size:           2
        .value_kind:     hidden_remainder_z
      - .offset:         248
        .size:           8
        .value_kind:     hidden_global_offset_x
      - .offset:         256
        .size:           8
        .value_kind:     hidden_global_offset_y
      - .offset:         264
        .size:           8
        .value_kind:     hidden_global_offset_z
      - .offset:         272
        .size:           2
        .value_kind:     hidden_grid_dims
      - .offset:         328
        .size:           4
        .value_kind:     hidden_dynamic_lds_size
    .group_segment_fixed_size: 0
    .kernarg_segment_align: 8
    .kernarg_segment_size: 464
    .language:       OpenCL C
    .language_version:
      - 2
      - 0
    .max_flat_workgroup_size: 256
    .name:           _ZL18flash_attn_ext_f16ILi128ELi128ELi16ELi4ELb1ELb0EEvPKcS1_S1_S1_S1_PKiPfP15HIP_vector_typeIfLj2EEffffjfiS5_IjLj3EEiiiiiiiiiiiliiliiiiil
    .private_segment_fixed_size: 36
    .sgpr_count:     104
    .sgpr_spill_count: 67
    .symbol:         _ZL18flash_attn_ext_f16ILi128ELi128ELi16ELi4ELb1ELb0EEvPKcS1_S1_S1_S1_PKiPfP15HIP_vector_typeIfLj2EEffffjfiS5_IjLj3EEiiiiiiiiiiiliiliiiiil.kd
    .uniform_work_group_size: 1
    .uses_dynamic_stack: false
    .vgpr_count:     256
    .vgpr_spill_count: 8
    .wavefront_size: 64
  - .agpr_count:     0
    .args:
      - .address_space:  global
        .offset:         0
        .size:           8
        .value_kind:     global_buffer
      - .address_space:  global
        .offset:         8
        .size:           8
        .value_kind:     global_buffer
      - .offset:         16
        .size:           4
        .value_kind:     by_value
      - .offset:         20
        .size:           4
        .value_kind:     by_value
      - .offset:         24
        .size:           4
        .value_kind:     by_value
      - .offset:         28
        .size:           4
        .value_kind:     by_value
      - .offset:         32
        .size:           4
        .value_kind:     by_value
      - .offset:         36
        .size:           4
        .value_kind:     by_value
      - .offset:         40
        .size:           12
        .value_kind:     by_value
      - .offset:         52
        .size:           12
        .value_kind:     by_value
      - .offset:         64
        .size:           12
        .value_kind:     by_value
    .group_segment_fixed_size: 0
    .kernarg_segment_align: 8
    .kernarg_segment_size: 76
    .language:       OpenCL C
    .language_version:
      - 2
      - 0
    .max_flat_workgroup_size: 128
    .name:           _ZL33flash_attn_stream_k_fixup_uniformILi128ELi16ELi4EEvPfPK15HIP_vector_typeIfLj2EEiiiiiiS1_IjLj3EES5_S5_
    .private_segment_fixed_size: 0
    .sgpr_count:     24
    .sgpr_spill_count: 0
    .symbol:         _ZL33flash_attn_stream_k_fixup_uniformILi128ELi16ELi4EEvPfPK15HIP_vector_typeIfLj2EEiiiiiiS1_IjLj3EES5_S5_.kd
    .uniform_work_group_size: 1
    .uses_dynamic_stack: false
    .vgpr_count:     17
    .vgpr_spill_count: 0
    .wavefront_size: 64
  - .agpr_count:     0
    .args:
      - .address_space:  global
        .offset:         0
        .size:           8
        .value_kind:     global_buffer
      - .address_space:  global
        .offset:         8
        .size:           8
        .value_kind:     global_buffer
      - .offset:         16
        .size:           4
        .value_kind:     by_value
      - .offset:         20
        .size:           4
        .value_kind:     by_value
      - .offset:         24
        .size:           4
        .value_kind:     by_value
      - .offset:         28
        .size:           4
        .value_kind:     by_value
      - .offset:         32
        .size:           12
        .value_kind:     by_value
      - .offset:         44
        .size:           12
        .value_kind:     by_value
      - .offset:         56
        .size:           12
        .value_kind:     by_value
      - .offset:         68
        .size:           12
        .value_kind:     by_value
      - .offset:         80
        .size:           4
        .value_kind:     hidden_block_count_x
      - .offset:         84
        .size:           4
        .value_kind:     hidden_block_count_y
      - .offset:         88
        .size:           4
        .value_kind:     hidden_block_count_z
      - .offset:         92
        .size:           2
        .value_kind:     hidden_group_size_x
      - .offset:         94
        .size:           2
        .value_kind:     hidden_group_size_y
      - .offset:         96
        .size:           2
        .value_kind:     hidden_group_size_z
      - .offset:         98
        .size:           2
        .value_kind:     hidden_remainder_x
      - .offset:         100
        .size:           2
        .value_kind:     hidden_remainder_y
      - .offset:         102
        .size:           2
        .value_kind:     hidden_remainder_z
      - .offset:         120
        .size:           8
        .value_kind:     hidden_global_offset_x
      - .offset:         128
        .size:           8
        .value_kind:     hidden_global_offset_y
      - .offset:         136
        .size:           8
        .value_kind:     hidden_global_offset_z
      - .offset:         144
        .size:           2
        .value_kind:     hidden_grid_dims
    .group_segment_fixed_size: 0
    .kernarg_segment_align: 8
    .kernarg_segment_size: 336
    .language:       OpenCL C
    .language_version:
      - 2
      - 0
    .max_flat_workgroup_size: 128
    .name:           _ZL33flash_attn_stream_k_fixup_generalILi128ELi16ELi4EEvPfPK15HIP_vector_typeIfLj2EEiiiiS1_IjLj3EES5_S5_S5_
    .private_segment_fixed_size: 0
    .sgpr_count:     36
    .sgpr_spill_count: 0
    .symbol:         _ZL33flash_attn_stream_k_fixup_generalILi128ELi16ELi4EEvPfPK15HIP_vector_typeIfLj2EEiiiiS1_IjLj3EES5_S5_S5_.kd
    .uniform_work_group_size: 1
    .uses_dynamic_stack: false
    .vgpr_count:     22
    .vgpr_spill_count: 0
    .wavefront_size: 64
  - .agpr_count:     0
    .args:
      - .address_space:  global
        .offset:         0
        .size:           8
        .value_kind:     global_buffer
      - .address_space:  global
        .offset:         8
        .size:           8
        .value_kind:     global_buffer
      - .address_space:  global
        .offset:         16
        .size:           8
        .value_kind:     global_buffer
      - .offset:         24
        .size:           4
        .value_kind:     by_value
      - .offset:         32
        .size:           4
        .value_kind:     hidden_block_count_x
      - .offset:         36
        .size:           4
        .value_kind:     hidden_block_count_y
      - .offset:         40
        .size:           4
        .value_kind:     hidden_block_count_z
      - .offset:         44
        .size:           2
        .value_kind:     hidden_group_size_x
      - .offset:         46
        .size:           2
        .value_kind:     hidden_group_size_y
      - .offset:         48
        .size:           2
        .value_kind:     hidden_group_size_z
      - .offset:         50
        .size:           2
        .value_kind:     hidden_remainder_x
      - .offset:         52
        .size:           2
        .value_kind:     hidden_remainder_y
      - .offset:         54
        .size:           2
        .value_kind:     hidden_remainder_z
      - .offset:         72
        .size:           8
        .value_kind:     hidden_global_offset_x
      - .offset:         80
        .size:           8
        .value_kind:     hidden_global_offset_y
      - .offset:         88
        .size:           8
        .value_kind:     hidden_global_offset_z
      - .offset:         96
        .size:           2
        .value_kind:     hidden_grid_dims
      - .offset:         152
        .size:           4
        .value_kind:     hidden_dynamic_lds_size
    .group_segment_fixed_size: 0
    .kernarg_segment_align: 8
    .kernarg_segment_size: 288
    .language:       OpenCL C
    .language_version:
      - 2
      - 0
    .max_flat_workgroup_size: 128
    .name:           _ZL26flash_attn_combine_resultsILi128EEvPKfPK15HIP_vector_typeIfLj2EEPfi
    .private_segment_fixed_size: 0
    .sgpr_count:     30
    .sgpr_spill_count: 0
    .symbol:         _ZL26flash_attn_combine_resultsILi128EEvPKfPK15HIP_vector_typeIfLj2EEPfi.kd
    .uniform_work_group_size: 1
    .uses_dynamic_stack: false
    .vgpr_count:     51
    .vgpr_spill_count: 0
    .wavefront_size: 64
  - .agpr_count:     0
    .args:
      - .address_space:  global
        .offset:         0
        .size:           8
        .value_kind:     global_buffer
      - .address_space:  global
        .offset:         8
        .size:           8
        .value_kind:     global_buffer
      - .address_space:  global
        .offset:         16
        .size:           8
        .value_kind:     global_buffer
      - .address_space:  global
        .offset:         24
        .size:           8
        .value_kind:     global_buffer
      - .address_space:  global
        .offset:         32
        .size:           8
        .value_kind:     global_buffer
      - .address_space:  global
        .offset:         40
        .size:           8
        .value_kind:     global_buffer
      - .address_space:  global
        .offset:         48
        .size:           8
        .value_kind:     global_buffer
      - .address_space:  global
        .offset:         56
        .size:           8
        .value_kind:     global_buffer
      - .offset:         64
        .size:           4
        .value_kind:     by_value
      - .offset:         68
        .size:           4
        .value_kind:     by_value
      - .offset:         72
        .size:           4
        .value_kind:     by_value
      - .offset:         76
        .size:           4
        .value_kind:     by_value
      - .offset:         80
        .size:           4
        .value_kind:     by_value
      - .offset:         84
        .size:           4
        .value_kind:     by_value
      - .offset:         88
        .size:           4
        .value_kind:     by_value
      - .offset:         92
        .size:           12
        .value_kind:     by_value
      - .offset:         104
        .size:           4
        .value_kind:     by_value
      - .offset:         108
        .size:           4
        .value_kind:     by_value
      - .offset:         112
        .size:           4
        .value_kind:     by_value
      - .offset:         116
        .size:           4
        .value_kind:     by_value
      - .offset:         120
        .size:           4
        .value_kind:     by_value
      - .offset:         124
        .size:           4
        .value_kind:     by_value
      - .offset:         128
        .size:           4
        .value_kind:     by_value
      - .offset:         132
        .size:           4
        .value_kind:     by_value
      - .offset:         136
        .size:           4
        .value_kind:     by_value
      - .offset:         140
        .size:           4
        .value_kind:     by_value
      - .offset:         144
        .size:           4
        .value_kind:     by_value
      - .offset:         152
        .size:           8
        .value_kind:     by_value
      - .offset:         160
        .size:           4
        .value_kind:     by_value
      - .offset:         164
        .size:           4
        .value_kind:     by_value
      - .offset:         168
        .size:           8
        .value_kind:     by_value
      - .offset:         176
        .size:           4
        .value_kind:     by_value
      - .offset:         180
        .size:           4
        .value_kind:     by_value
      - .offset:         184
        .size:           4
        .value_kind:     by_value
      - .offset:         188
        .size:           4
        .value_kind:     by_value
      - .offset:         192
        .size:           4
        .value_kind:     by_value
      - .offset:         200
        .size:           8
        .value_kind:     by_value
      - .offset:         208
        .size:           4
        .value_kind:     hidden_block_count_x
      - .offset:         212
        .size:           4
        .value_kind:     hidden_block_count_y
      - .offset:         216
        .size:           4
        .value_kind:     hidden_block_count_z
      - .offset:         220
        .size:           2
        .value_kind:     hidden_group_size_x
      - .offset:         222
        .size:           2
        .value_kind:     hidden_group_size_y
      - .offset:         224
        .size:           2
        .value_kind:     hidden_group_size_z
      - .offset:         226
        .size:           2
        .value_kind:     hidden_remainder_x
      - .offset:         228
        .size:           2
        .value_kind:     hidden_remainder_y
      - .offset:         230
        .size:           2
        .value_kind:     hidden_remainder_z
      - .offset:         248
        .size:           8
        .value_kind:     hidden_global_offset_x
      - .offset:         256
        .size:           8
        .value_kind:     hidden_global_offset_y
      - .offset:         264
        .size:           8
        .value_kind:     hidden_global_offset_z
      - .offset:         272
        .size:           2
        .value_kind:     hidden_grid_dims
      - .offset:         328
        .size:           4
        .value_kind:     hidden_dynamic_lds_size
    .group_segment_fixed_size: 0
    .kernarg_segment_align: 8
    .kernarg_segment_size: 464
    .language:       OpenCL C
    .language_version:
      - 2
      - 0
    .max_flat_workgroup_size: 512
    .name:           _ZL18flash_attn_ext_f16ILi256ELi256ELi16ELi4ELb0ELb0EEvPKcS1_S1_S1_S1_PKiPfP15HIP_vector_typeIfLj2EEffffjfiS5_IjLj3EEiiiiiiiiiiiliiliiiiil
    .private_segment_fixed_size: 256
    .sgpr_count:     104
    .sgpr_spill_count: 25
    .symbol:         _ZL18flash_attn_ext_f16ILi256ELi256ELi16ELi4ELb0ELb0EEvPKcS1_S1_S1_S1_PKiPfP15HIP_vector_typeIfLj2EEffffjfiS5_IjLj3EEiiiiiiiiiiiliiliiiiil.kd
    .uniform_work_group_size: 1
    .uses_dynamic_stack: false
    .vgpr_count:     256
    .vgpr_spill_count: 63
    .wavefront_size: 64
  - .agpr_count:     0
    .args:
      - .address_space:  global
        .offset:         0
        .size:           8
        .value_kind:     global_buffer
      - .address_space:  global
        .offset:         8
        .size:           8
        .value_kind:     global_buffer
      - .address_space:  global
        .offset:         16
        .size:           8
        .value_kind:     global_buffer
      - .address_space:  global
        .offset:         24
        .size:           8
        .value_kind:     global_buffer
      - .address_space:  global
        .offset:         32
        .size:           8
        .value_kind:     global_buffer
      - .address_space:  global
        .offset:         40
        .size:           8
        .value_kind:     global_buffer
      - .address_space:  global
        .offset:         48
        .size:           8
        .value_kind:     global_buffer
      - .address_space:  global
        .offset:         56
        .size:           8
        .value_kind:     global_buffer
      - .offset:         64
        .size:           4
        .value_kind:     by_value
      - .offset:         68
        .size:           4
        .value_kind:     by_value
      - .offset:         72
        .size:           4
        .value_kind:     by_value
      - .offset:         76
        .size:           4
        .value_kind:     by_value
      - .offset:         80
        .size:           4
        .value_kind:     by_value
      - .offset:         84
        .size:           4
        .value_kind:     by_value
      - .offset:         88
        .size:           4
        .value_kind:     by_value
      - .offset:         92
        .size:           12
        .value_kind:     by_value
      - .offset:         104
        .size:           4
        .value_kind:     by_value
      - .offset:         108
        .size:           4
        .value_kind:     by_value
      - .offset:         112
        .size:           4
        .value_kind:     by_value
      - .offset:         116
        .size:           4
        .value_kind:     by_value
      - .offset:         120
        .size:           4
        .value_kind:     by_value
      - .offset:         124
        .size:           4
        .value_kind:     by_value
      - .offset:         128
        .size:           4
        .value_kind:     by_value
      - .offset:         132
        .size:           4
        .value_kind:     by_value
      - .offset:         136
        .size:           4
        .value_kind:     by_value
      - .offset:         140
        .size:           4
        .value_kind:     by_value
      - .offset:         144
        .size:           4
        .value_kind:     by_value
      - .offset:         152
        .size:           8
        .value_kind:     by_value
      - .offset:         160
        .size:           4
        .value_kind:     by_value
      - .offset:         164
        .size:           4
        .value_kind:     by_value
      - .offset:         168
        .size:           8
        .value_kind:     by_value
      - .offset:         176
        .size:           4
        .value_kind:     by_value
      - .offset:         180
        .size:           4
        .value_kind:     by_value
      - .offset:         184
        .size:           4
        .value_kind:     by_value
      - .offset:         188
        .size:           4
        .value_kind:     by_value
      - .offset:         192
        .size:           4
        .value_kind:     by_value
      - .offset:         200
        .size:           8
        .value_kind:     by_value
      - .offset:         208
        .size:           4
        .value_kind:     hidden_block_count_x
      - .offset:         212
        .size:           4
        .value_kind:     hidden_block_count_y
      - .offset:         216
        .size:           4
        .value_kind:     hidden_block_count_z
      - .offset:         220
        .size:           2
        .value_kind:     hidden_group_size_x
      - .offset:         222
        .size:           2
        .value_kind:     hidden_group_size_y
      - .offset:         224
        .size:           2
        .value_kind:     hidden_group_size_z
      - .offset:         226
        .size:           2
        .value_kind:     hidden_remainder_x
      - .offset:         228
        .size:           2
        .value_kind:     hidden_remainder_y
      - .offset:         230
        .size:           2
        .value_kind:     hidden_remainder_z
      - .offset:         248
        .size:           8
        .value_kind:     hidden_global_offset_x
      - .offset:         256
        .size:           8
        .value_kind:     hidden_global_offset_y
      - .offset:         264
        .size:           8
        .value_kind:     hidden_global_offset_z
      - .offset:         272
        .size:           2
        .value_kind:     hidden_grid_dims
      - .offset:         328
        .size:           4
        .value_kind:     hidden_dynamic_lds_size
    .group_segment_fixed_size: 0
    .kernarg_segment_align: 8
    .kernarg_segment_size: 464
    .language:       OpenCL C
    .language_version:
      - 2
      - 0
    .max_flat_workgroup_size: 512
    .name:           _ZL18flash_attn_ext_f16ILi256ELi256ELi16ELi4ELb1ELb0EEvPKcS1_S1_S1_S1_PKiPfP15HIP_vector_typeIfLj2EEffffjfiS5_IjLj3EEiiiiiiiiiiiliiliiiiil
    .private_segment_fixed_size: 244
    .sgpr_count:     104
    .sgpr_spill_count: 30
    .symbol:         _ZL18flash_attn_ext_f16ILi256ELi256ELi16ELi4ELb1ELb0EEvPKcS1_S1_S1_S1_PKiPfP15HIP_vector_typeIfLj2EEffffjfiS5_IjLj3EEiiiiiiiiiiiliiliiiiil.kd
    .uniform_work_group_size: 1
    .uses_dynamic_stack: false
    .vgpr_count:     256
    .vgpr_spill_count: 60
    .wavefront_size: 64
  - .agpr_count:     0
    .args:
      - .address_space:  global
        .offset:         0
        .size:           8
        .value_kind:     global_buffer
      - .address_space:  global
        .offset:         8
        .size:           8
        .value_kind:     global_buffer
      - .offset:         16
        .size:           4
        .value_kind:     by_value
      - .offset:         20
        .size:           4
        .value_kind:     by_value
      - .offset:         24
        .size:           4
        .value_kind:     by_value
      - .offset:         28
        .size:           4
        .value_kind:     by_value
      - .offset:         32
        .size:           4
        .value_kind:     by_value
      - .offset:         36
        .size:           4
        .value_kind:     by_value
      - .offset:         40
        .size:           12
        .value_kind:     by_value
      - .offset:         52
        .size:           12
        .value_kind:     by_value
      - .offset:         64
        .size:           12
        .value_kind:     by_value
    .group_segment_fixed_size: 0
    .kernarg_segment_align: 8
    .kernarg_segment_size: 76
    .language:       OpenCL C
    .language_version:
      - 2
      - 0
    .max_flat_workgroup_size: 256
    .name:           _ZL33flash_attn_stream_k_fixup_uniformILi256ELi16ELi4EEvPfPK15HIP_vector_typeIfLj2EEiiiiiiS1_IjLj3EES5_S5_
    .private_segment_fixed_size: 0
    .sgpr_count:     24
    .sgpr_spill_count: 0
    .symbol:         _ZL33flash_attn_stream_k_fixup_uniformILi256ELi16ELi4EEvPfPK15HIP_vector_typeIfLj2EEiiiiiiS1_IjLj3EES5_S5_.kd
    .uniform_work_group_size: 1
    .uses_dynamic_stack: false
    .vgpr_count:     17
    .vgpr_spill_count: 0
    .wavefront_size: 64
  - .agpr_count:     0
    .args:
      - .address_space:  global
        .offset:         0
        .size:           8
        .value_kind:     global_buffer
      - .address_space:  global
        .offset:         8
        .size:           8
        .value_kind:     global_buffer
      - .offset:         16
        .size:           4
        .value_kind:     by_value
      - .offset:         20
        .size:           4
        .value_kind:     by_value
      - .offset:         24
        .size:           4
        .value_kind:     by_value
      - .offset:         28
        .size:           4
        .value_kind:     by_value
      - .offset:         32
        .size:           12
        .value_kind:     by_value
      - .offset:         44
        .size:           12
        .value_kind:     by_value
      - .offset:         56
        .size:           12
        .value_kind:     by_value
      - .offset:         68
        .size:           12
        .value_kind:     by_value
      - .offset:         80
        .size:           4
        .value_kind:     hidden_block_count_x
      - .offset:         84
        .size:           4
        .value_kind:     hidden_block_count_y
      - .offset:         88
        .size:           4
        .value_kind:     hidden_block_count_z
      - .offset:         92
        .size:           2
        .value_kind:     hidden_group_size_x
      - .offset:         94
        .size:           2
        .value_kind:     hidden_group_size_y
      - .offset:         96
        .size:           2
        .value_kind:     hidden_group_size_z
      - .offset:         98
        .size:           2
        .value_kind:     hidden_remainder_x
      - .offset:         100
        .size:           2
        .value_kind:     hidden_remainder_y
      - .offset:         102
        .size:           2
        .value_kind:     hidden_remainder_z
      - .offset:         120
        .size:           8
        .value_kind:     hidden_global_offset_x
      - .offset:         128
        .size:           8
        .value_kind:     hidden_global_offset_y
      - .offset:         136
        .size:           8
        .value_kind:     hidden_global_offset_z
      - .offset:         144
        .size:           2
        .value_kind:     hidden_grid_dims
    .group_segment_fixed_size: 0
    .kernarg_segment_align: 8
    .kernarg_segment_size: 336
    .language:       OpenCL C
    .language_version:
      - 2
      - 0
    .max_flat_workgroup_size: 256
    .name:           _ZL33flash_attn_stream_k_fixup_generalILi256ELi16ELi4EEvPfPK15HIP_vector_typeIfLj2EEiiiiS1_IjLj3EES5_S5_S5_
    .private_segment_fixed_size: 0
    .sgpr_count:     36
    .sgpr_spill_count: 0
    .symbol:         _ZL33flash_attn_stream_k_fixup_generalILi256ELi16ELi4EEvPfPK15HIP_vector_typeIfLj2EEiiiiS1_IjLj3EES5_S5_S5_.kd
    .uniform_work_group_size: 1
    .uses_dynamic_stack: false
    .vgpr_count:     22
    .vgpr_spill_count: 0
    .wavefront_size: 64
  - .agpr_count:     0
    .args:
      - .address_space:  global
        .offset:         0
        .size:           8
        .value_kind:     global_buffer
      - .address_space:  global
        .offset:         8
        .size:           8
        .value_kind:     global_buffer
      - .address_space:  global
        .offset:         16
        .size:           8
        .value_kind:     global_buffer
      - .offset:         24
        .size:           4
        .value_kind:     by_value
      - .offset:         32
        .size:           4
        .value_kind:     hidden_block_count_x
      - .offset:         36
        .size:           4
        .value_kind:     hidden_block_count_y
      - .offset:         40
        .size:           4
        .value_kind:     hidden_block_count_z
      - .offset:         44
        .size:           2
        .value_kind:     hidden_group_size_x
      - .offset:         46
        .size:           2
        .value_kind:     hidden_group_size_y
      - .offset:         48
        .size:           2
        .value_kind:     hidden_group_size_z
      - .offset:         50
        .size:           2
        .value_kind:     hidden_remainder_x
      - .offset:         52
        .size:           2
        .value_kind:     hidden_remainder_y
      - .offset:         54
        .size:           2
        .value_kind:     hidden_remainder_z
      - .offset:         72
        .size:           8
        .value_kind:     hidden_global_offset_x
      - .offset:         80
        .size:           8
        .value_kind:     hidden_global_offset_y
      - .offset:         88
        .size:           8
        .value_kind:     hidden_global_offset_z
      - .offset:         96
        .size:           2
        .value_kind:     hidden_grid_dims
      - .offset:         152
        .size:           4
        .value_kind:     hidden_dynamic_lds_size
    .group_segment_fixed_size: 0
    .kernarg_segment_align: 8
    .kernarg_segment_size: 288
    .language:       OpenCL C
    .language_version:
      - 2
      - 0
    .max_flat_workgroup_size: 256
    .name:           _ZL26flash_attn_combine_resultsILi256EEvPKfPK15HIP_vector_typeIfLj2EEPfi
    .private_segment_fixed_size: 0
    .sgpr_count:     30
    .sgpr_spill_count: 0
    .symbol:         _ZL26flash_attn_combine_resultsILi256EEvPKfPK15HIP_vector_typeIfLj2EEPfi.kd
    .uniform_work_group_size: 1
    .uses_dynamic_stack: false
    .vgpr_count:     51
    .vgpr_spill_count: 0
    .wavefront_size: 64
  - .agpr_count:     0
    .args:
      - .address_space:  global
        .offset:         0
        .size:           8
        .value_kind:     global_buffer
      - .address_space:  global
        .offset:         8
        .size:           8
        .value_kind:     global_buffer
      - .address_space:  global
        .offset:         16
        .size:           8
        .value_kind:     global_buffer
      - .address_space:  global
        .offset:         24
        .size:           8
        .value_kind:     global_buffer
      - .address_space:  global
        .offset:         32
        .size:           8
        .value_kind:     global_buffer
      - .address_space:  global
        .offset:         40
        .size:           8
        .value_kind:     global_buffer
      - .address_space:  global
        .offset:         48
        .size:           8
        .value_kind:     global_buffer
      - .address_space:  global
        .offset:         56
        .size:           8
        .value_kind:     global_buffer
      - .offset:         64
        .size:           4
        .value_kind:     by_value
      - .offset:         68
        .size:           4
        .value_kind:     by_value
      - .offset:         72
        .size:           4
        .value_kind:     by_value
      - .offset:         76
        .size:           4
        .value_kind:     by_value
      - .offset:         80
        .size:           4
        .value_kind:     by_value
      - .offset:         84
        .size:           4
        .value_kind:     by_value
      - .offset:         88
        .size:           4
        .value_kind:     by_value
      - .offset:         92
        .size:           12
        .value_kind:     by_value
      - .offset:         104
        .size:           4
        .value_kind:     by_value
      - .offset:         108
        .size:           4
        .value_kind:     by_value
      - .offset:         112
        .size:           4
        .value_kind:     by_value
      - .offset:         116
        .size:           4
        .value_kind:     by_value
      - .offset:         120
        .size:           4
        .value_kind:     by_value
      - .offset:         124
        .size:           4
        .value_kind:     by_value
      - .offset:         128
        .size:           4
        .value_kind:     by_value
      - .offset:         132
        .size:           4
        .value_kind:     by_value
      - .offset:         136
        .size:           4
        .value_kind:     by_value
      - .offset:         140
        .size:           4
        .value_kind:     by_value
      - .offset:         144
        .size:           4
        .value_kind:     by_value
      - .offset:         152
        .size:           8
        .value_kind:     by_value
      - .offset:         160
        .size:           4
        .value_kind:     by_value
      - .offset:         164
        .size:           4
        .value_kind:     by_value
      - .offset:         168
        .size:           8
        .value_kind:     by_value
      - .offset:         176
        .size:           4
        .value_kind:     by_value
      - .offset:         180
        .size:           4
        .value_kind:     by_value
      - .offset:         184
        .size:           4
        .value_kind:     by_value
      - .offset:         188
        .size:           4
        .value_kind:     by_value
      - .offset:         192
        .size:           4
        .value_kind:     by_value
      - .offset:         200
        .size:           8
        .value_kind:     by_value
      - .offset:         208
        .size:           4
        .value_kind:     hidden_block_count_x
      - .offset:         212
        .size:           4
        .value_kind:     hidden_block_count_y
      - .offset:         216
        .size:           4
        .value_kind:     hidden_block_count_z
      - .offset:         220
        .size:           2
        .value_kind:     hidden_group_size_x
      - .offset:         222
        .size:           2
        .value_kind:     hidden_group_size_y
      - .offset:         224
        .size:           2
        .value_kind:     hidden_group_size_z
      - .offset:         226
        .size:           2
        .value_kind:     hidden_remainder_x
      - .offset:         228
        .size:           2
        .value_kind:     hidden_remainder_y
      - .offset:         230
        .size:           2
        .value_kind:     hidden_remainder_z
      - .offset:         248
        .size:           8
        .value_kind:     hidden_global_offset_x
      - .offset:         256
        .size:           8
        .value_kind:     hidden_global_offset_y
      - .offset:         264
        .size:           8
        .value_kind:     hidden_global_offset_z
      - .offset:         272
        .size:           2
        .value_kind:     hidden_grid_dims
      - .offset:         288
        .size:           8
        .value_kind:     hidden_hostcall_buffer
    .group_segment_fixed_size: 0
    .kernarg_segment_align: 8
    .kernarg_segment_size: 464
    .language:       OpenCL C
    .language_version:
      - 2
      - 0
    .max_flat_workgroup_size: 256
    .name:           _ZL18flash_attn_ext_f16ILi512ELi512ELi16ELi4ELb0ELb0EEvPKcS1_S1_S1_S1_PKiPfP15HIP_vector_typeIfLj2EEffffjfiS5_IjLj3EEiiiiiiiiiiiliiliiiiil
    .private_segment_fixed_size: 16
    .sgpr_count:     40
    .sgpr_spill_count: 0
    .symbol:         _ZL18flash_attn_ext_f16ILi512ELi512ELi16ELi4ELb0ELb0EEvPKcS1_S1_S1_S1_PKiPfP15HIP_vector_typeIfLj2EEffffjfiS5_IjLj3EEiiiiiiiiiiiliiliiiiil.kd
    .uniform_work_group_size: 1
    .uses_dynamic_stack: false
    .vgpr_count:     39
    .vgpr_spill_count: 0
    .wavefront_size: 64
  - .agpr_count:     0
    .args:
      - .address_space:  global
        .offset:         0
        .size:           8
        .value_kind:     global_buffer
      - .address_space:  global
        .offset:         8
        .size:           8
        .value_kind:     global_buffer
      - .address_space:  global
        .offset:         16
        .size:           8
        .value_kind:     global_buffer
      - .address_space:  global
        .offset:         24
        .size:           8
        .value_kind:     global_buffer
      - .address_space:  global
        .offset:         32
        .size:           8
        .value_kind:     global_buffer
      - .address_space:  global
        .offset:         40
        .size:           8
        .value_kind:     global_buffer
      - .address_space:  global
        .offset:         48
        .size:           8
        .value_kind:     global_buffer
      - .address_space:  global
        .offset:         56
        .size:           8
        .value_kind:     global_buffer
      - .offset:         64
        .size:           4
        .value_kind:     by_value
      - .offset:         68
        .size:           4
        .value_kind:     by_value
      - .offset:         72
        .size:           4
        .value_kind:     by_value
      - .offset:         76
        .size:           4
        .value_kind:     by_value
      - .offset:         80
        .size:           4
        .value_kind:     by_value
      - .offset:         84
        .size:           4
        .value_kind:     by_value
      - .offset:         88
        .size:           4
        .value_kind:     by_value
      - .offset:         92
        .size:           12
        .value_kind:     by_value
      - .offset:         104
        .size:           4
        .value_kind:     by_value
      - .offset:         108
        .size:           4
        .value_kind:     by_value
      - .offset:         112
        .size:           4
        .value_kind:     by_value
      - .offset:         116
        .size:           4
        .value_kind:     by_value
      - .offset:         120
        .size:           4
        .value_kind:     by_value
      - .offset:         124
        .size:           4
        .value_kind:     by_value
      - .offset:         128
        .size:           4
        .value_kind:     by_value
      - .offset:         132
        .size:           4
        .value_kind:     by_value
      - .offset:         136
        .size:           4
        .value_kind:     by_value
      - .offset:         140
        .size:           4
        .value_kind:     by_value
      - .offset:         144
        .size:           4
        .value_kind:     by_value
      - .offset:         152
        .size:           8
        .value_kind:     by_value
      - .offset:         160
        .size:           4
        .value_kind:     by_value
      - .offset:         164
        .size:           4
        .value_kind:     by_value
      - .offset:         168
        .size:           8
        .value_kind:     by_value
      - .offset:         176
        .size:           4
        .value_kind:     by_value
      - .offset:         180
        .size:           4
        .value_kind:     by_value
      - .offset:         184
        .size:           4
        .value_kind:     by_value
      - .offset:         188
        .size:           4
        .value_kind:     by_value
      - .offset:         192
        .size:           4
        .value_kind:     by_value
      - .offset:         200
        .size:           8
        .value_kind:     by_value
      - .offset:         208
        .size:           4
        .value_kind:     hidden_block_count_x
      - .offset:         212
        .size:           4
        .value_kind:     hidden_block_count_y
      - .offset:         216
        .size:           4
        .value_kind:     hidden_block_count_z
      - .offset:         220
        .size:           2
        .value_kind:     hidden_group_size_x
      - .offset:         222
        .size:           2
        .value_kind:     hidden_group_size_y
      - .offset:         224
        .size:           2
        .value_kind:     hidden_group_size_z
      - .offset:         226
        .size:           2
        .value_kind:     hidden_remainder_x
      - .offset:         228
        .size:           2
        .value_kind:     hidden_remainder_y
      - .offset:         230
        .size:           2
        .value_kind:     hidden_remainder_z
      - .offset:         248
        .size:           8
        .value_kind:     hidden_global_offset_x
      - .offset:         256
        .size:           8
        .value_kind:     hidden_global_offset_y
      - .offset:         264
        .size:           8
        .value_kind:     hidden_global_offset_z
      - .offset:         272
        .size:           2
        .value_kind:     hidden_grid_dims
      - .offset:         288
        .size:           8
        .value_kind:     hidden_hostcall_buffer
    .group_segment_fixed_size: 0
    .kernarg_segment_align: 8
    .kernarg_segment_size: 464
    .language:       OpenCL C
    .language_version:
      - 2
      - 0
    .max_flat_workgroup_size: 256
    .name:           _ZL18flash_attn_ext_f16ILi512ELi512ELi16ELi4ELb1ELb0EEvPKcS1_S1_S1_S1_PKiPfP15HIP_vector_typeIfLj2EEffffjfiS5_IjLj3EEiiiiiiiiiiiliiliiiiil
    .private_segment_fixed_size: 16
    .sgpr_count:     40
    .sgpr_spill_count: 0
    .symbol:         _ZL18flash_attn_ext_f16ILi512ELi512ELi16ELi4ELb1ELb0EEvPKcS1_S1_S1_S1_PKiPfP15HIP_vector_typeIfLj2EEffffjfiS5_IjLj3EEiiiiiiiiiiiliiliiiiil.kd
    .uniform_work_group_size: 1
    .uses_dynamic_stack: false
    .vgpr_count:     39
    .vgpr_spill_count: 0
    .wavefront_size: 64
  - .agpr_count:     0
    .args:
      - .address_space:  global
        .offset:         0
        .size:           8
        .value_kind:     global_buffer
      - .address_space:  global
        .offset:         8
        .size:           8
        .value_kind:     global_buffer
      - .offset:         16
        .size:           4
        .value_kind:     by_value
      - .offset:         20
        .size:           4
        .value_kind:     by_value
      - .offset:         24
        .size:           4
        .value_kind:     by_value
      - .offset:         28
        .size:           4
        .value_kind:     by_value
      - .offset:         32
        .size:           4
        .value_kind:     by_value
      - .offset:         36
        .size:           4
        .value_kind:     by_value
      - .offset:         40
        .size:           12
        .value_kind:     by_value
      - .offset:         52
        .size:           12
        .value_kind:     by_value
      - .offset:         64
        .size:           12
        .value_kind:     by_value
    .group_segment_fixed_size: 0
    .kernarg_segment_align: 8
    .kernarg_segment_size: 76
    .language:       OpenCL C
    .language_version:
      - 2
      - 0
    .max_flat_workgroup_size: 512
    .name:           _ZL33flash_attn_stream_k_fixup_uniformILi512ELi16ELi4EEvPfPK15HIP_vector_typeIfLj2EEiiiiiiS1_IjLj3EES5_S5_
    .private_segment_fixed_size: 0
    .sgpr_count:     24
    .sgpr_spill_count: 0
    .symbol:         _ZL33flash_attn_stream_k_fixup_uniformILi512ELi16ELi4EEvPfPK15HIP_vector_typeIfLj2EEiiiiiiS1_IjLj3EES5_S5_.kd
    .uniform_work_group_size: 1
    .uses_dynamic_stack: false
    .vgpr_count:     17
    .vgpr_spill_count: 0
    .wavefront_size: 64
  - .agpr_count:     0
    .args:
      - .address_space:  global
        .offset:         0
        .size:           8
        .value_kind:     global_buffer
      - .address_space:  global
        .offset:         8
        .size:           8
        .value_kind:     global_buffer
      - .offset:         16
        .size:           4
        .value_kind:     by_value
      - .offset:         20
        .size:           4
        .value_kind:     by_value
      - .offset:         24
        .size:           4
        .value_kind:     by_value
      - .offset:         28
        .size:           4
        .value_kind:     by_value
      - .offset:         32
        .size:           12
        .value_kind:     by_value
      - .offset:         44
        .size:           12
        .value_kind:     by_value
      - .offset:         56
        .size:           12
        .value_kind:     by_value
      - .offset:         68
        .size:           12
        .value_kind:     by_value
      - .offset:         80
        .size:           4
        .value_kind:     hidden_block_count_x
      - .offset:         84
        .size:           4
        .value_kind:     hidden_block_count_y
      - .offset:         88
        .size:           4
        .value_kind:     hidden_block_count_z
      - .offset:         92
        .size:           2
        .value_kind:     hidden_group_size_x
      - .offset:         94
        .size:           2
        .value_kind:     hidden_group_size_y
      - .offset:         96
        .size:           2
        .value_kind:     hidden_group_size_z
      - .offset:         98
        .size:           2
        .value_kind:     hidden_remainder_x
      - .offset:         100
        .size:           2
        .value_kind:     hidden_remainder_y
      - .offset:         102
        .size:           2
        .value_kind:     hidden_remainder_z
      - .offset:         120
        .size:           8
        .value_kind:     hidden_global_offset_x
      - .offset:         128
        .size:           8
        .value_kind:     hidden_global_offset_y
      - .offset:         136
        .size:           8
        .value_kind:     hidden_global_offset_z
      - .offset:         144
        .size:           2
        .value_kind:     hidden_grid_dims
    .group_segment_fixed_size: 0
    .kernarg_segment_align: 8
    .kernarg_segment_size: 336
    .language:       OpenCL C
    .language_version:
      - 2
      - 0
    .max_flat_workgroup_size: 512
    .name:           _ZL33flash_attn_stream_k_fixup_generalILi512ELi16ELi4EEvPfPK15HIP_vector_typeIfLj2EEiiiiS1_IjLj3EES5_S5_S5_
    .private_segment_fixed_size: 0
    .sgpr_count:     36
    .sgpr_spill_count: 0
    .symbol:         _ZL33flash_attn_stream_k_fixup_generalILi512ELi16ELi4EEvPfPK15HIP_vector_typeIfLj2EEiiiiS1_IjLj3EES5_S5_S5_.kd
    .uniform_work_group_size: 1
    .uses_dynamic_stack: false
    .vgpr_count:     22
    .vgpr_spill_count: 0
    .wavefront_size: 64
  - .agpr_count:     0
    .args:
      - .address_space:  global
        .offset:         0
        .size:           8
        .value_kind:     global_buffer
      - .address_space:  global
        .offset:         8
        .size:           8
        .value_kind:     global_buffer
      - .address_space:  global
        .offset:         16
        .size:           8
        .value_kind:     global_buffer
      - .offset:         24
        .size:           4
        .value_kind:     by_value
      - .offset:         32
        .size:           4
        .value_kind:     hidden_block_count_x
      - .offset:         36
        .size:           4
        .value_kind:     hidden_block_count_y
      - .offset:         40
        .size:           4
        .value_kind:     hidden_block_count_z
      - .offset:         44
        .size:           2
        .value_kind:     hidden_group_size_x
      - .offset:         46
        .size:           2
        .value_kind:     hidden_group_size_y
      - .offset:         48
        .size:           2
        .value_kind:     hidden_group_size_z
      - .offset:         50
        .size:           2
        .value_kind:     hidden_remainder_x
      - .offset:         52
        .size:           2
        .value_kind:     hidden_remainder_y
      - .offset:         54
        .size:           2
        .value_kind:     hidden_remainder_z
      - .offset:         72
        .size:           8
        .value_kind:     hidden_global_offset_x
      - .offset:         80
        .size:           8
        .value_kind:     hidden_global_offset_y
      - .offset:         88
        .size:           8
        .value_kind:     hidden_global_offset_z
      - .offset:         96
        .size:           2
        .value_kind:     hidden_grid_dims
      - .offset:         152
        .size:           4
        .value_kind:     hidden_dynamic_lds_size
    .group_segment_fixed_size: 0
    .kernarg_segment_align: 8
    .kernarg_segment_size: 288
    .language:       OpenCL C
    .language_version:
      - 2
      - 0
    .max_flat_workgroup_size: 512
    .name:           _ZL26flash_attn_combine_resultsILi512EEvPKfPK15HIP_vector_typeIfLj2EEPfi
    .private_segment_fixed_size: 0
    .sgpr_count:     30
    .sgpr_spill_count: 0
    .symbol:         _ZL26flash_attn_combine_resultsILi512EEvPKfPK15HIP_vector_typeIfLj2EEPfi.kd
    .uniform_work_group_size: 1
    .uses_dynamic_stack: false
    .vgpr_count:     51
    .vgpr_spill_count: 0
    .wavefront_size: 64
  - .agpr_count:     0
    .args:
      - .address_space:  global
        .offset:         0
        .size:           8
        .value_kind:     global_buffer
      - .address_space:  global
        .offset:         8
        .size:           8
        .value_kind:     global_buffer
      - .address_space:  global
        .offset:         16
        .size:           8
        .value_kind:     global_buffer
      - .address_space:  global
        .offset:         24
        .size:           8
        .value_kind:     global_buffer
      - .address_space:  global
        .offset:         32
        .size:           8
        .value_kind:     global_buffer
      - .address_space:  global
        .offset:         40
        .size:           8
        .value_kind:     global_buffer
      - .address_space:  global
        .offset:         48
        .size:           8
        .value_kind:     global_buffer
      - .address_space:  global
        .offset:         56
        .size:           8
        .value_kind:     global_buffer
      - .offset:         64
        .size:           4
        .value_kind:     by_value
      - .offset:         68
        .size:           4
        .value_kind:     by_value
      - .offset:         72
        .size:           4
        .value_kind:     by_value
      - .offset:         76
        .size:           4
        .value_kind:     by_value
      - .offset:         80
        .size:           4
        .value_kind:     by_value
      - .offset:         84
        .size:           4
        .value_kind:     by_value
      - .offset:         88
        .size:           4
        .value_kind:     by_value
      - .offset:         92
        .size:           12
        .value_kind:     by_value
      - .offset:         104
        .size:           4
        .value_kind:     by_value
      - .offset:         108
        .size:           4
        .value_kind:     by_value
      - .offset:         112
        .size:           4
        .value_kind:     by_value
      - .offset:         116
        .size:           4
        .value_kind:     by_value
      - .offset:         120
        .size:           4
        .value_kind:     by_value
      - .offset:         124
        .size:           4
        .value_kind:     by_value
      - .offset:         128
        .size:           4
        .value_kind:     by_value
      - .offset:         132
        .size:           4
        .value_kind:     by_value
      - .offset:         136
        .size:           4
        .value_kind:     by_value
      - .offset:         140
        .size:           4
        .value_kind:     by_value
      - .offset:         144
        .size:           4
        .value_kind:     by_value
      - .offset:         152
        .size:           8
        .value_kind:     by_value
      - .offset:         160
        .size:           4
        .value_kind:     by_value
      - .offset:         164
        .size:           4
        .value_kind:     by_value
      - .offset:         168
        .size:           8
        .value_kind:     by_value
      - .offset:         176
        .size:           4
        .value_kind:     by_value
      - .offset:         180
        .size:           4
        .value_kind:     by_value
      - .offset:         184
        .size:           4
        .value_kind:     by_value
      - .offset:         188
        .size:           4
        .value_kind:     by_value
      - .offset:         192
        .size:           4
        .value_kind:     by_value
      - .offset:         200
        .size:           8
        .value_kind:     by_value
      - .offset:         208
        .size:           4
        .value_kind:     hidden_block_count_x
      - .offset:         212
        .size:           4
        .value_kind:     hidden_block_count_y
      - .offset:         216
        .size:           4
        .value_kind:     hidden_block_count_z
      - .offset:         220
        .size:           2
        .value_kind:     hidden_group_size_x
      - .offset:         222
        .size:           2
        .value_kind:     hidden_group_size_y
      - .offset:         224
        .size:           2
        .value_kind:     hidden_group_size_z
      - .offset:         226
        .size:           2
        .value_kind:     hidden_remainder_x
      - .offset:         228
        .size:           2
        .value_kind:     hidden_remainder_y
      - .offset:         230
        .size:           2
        .value_kind:     hidden_remainder_z
      - .offset:         248
        .size:           8
        .value_kind:     hidden_global_offset_x
      - .offset:         256
        .size:           8
        .value_kind:     hidden_global_offset_y
      - .offset:         264
        .size:           8
        .value_kind:     hidden_global_offset_z
      - .offset:         272
        .size:           2
        .value_kind:     hidden_grid_dims
      - .offset:         288
        .size:           8
        .value_kind:     hidden_hostcall_buffer
    .group_segment_fixed_size: 0
    .kernarg_segment_align: 8
    .kernarg_segment_size: 464
    .language:       OpenCL C
    .language_version:
      - 2
      - 0
    .max_flat_workgroup_size: 256
    .name:           _ZL18flash_attn_ext_f16ILi576ELi512ELi16ELi4ELb0ELb1EEvPKcS1_S1_S1_S1_PKiPfP15HIP_vector_typeIfLj2EEffffjfiS5_IjLj3EEiiiiiiiiiiiliiliiiiil
    .private_segment_fixed_size: 16
    .sgpr_count:     40
    .sgpr_spill_count: 0
    .symbol:         _ZL18flash_attn_ext_f16ILi576ELi512ELi16ELi4ELb0ELb1EEvPKcS1_S1_S1_S1_PKiPfP15HIP_vector_typeIfLj2EEffffjfiS5_IjLj3EEiiiiiiiiiiiliiliiiiil.kd
    .uniform_work_group_size: 1
    .uses_dynamic_stack: false
    .vgpr_count:     39
    .vgpr_spill_count: 0
    .wavefront_size: 64
  - .agpr_count:     0
    .args:
      - .address_space:  global
        .offset:         0
        .size:           8
        .value_kind:     global_buffer
      - .address_space:  global
        .offset:         8
        .size:           8
        .value_kind:     global_buffer
      - .address_space:  global
        .offset:         16
        .size:           8
        .value_kind:     global_buffer
      - .address_space:  global
        .offset:         24
        .size:           8
        .value_kind:     global_buffer
      - .address_space:  global
        .offset:         32
        .size:           8
        .value_kind:     global_buffer
      - .address_space:  global
        .offset:         40
        .size:           8
        .value_kind:     global_buffer
      - .address_space:  global
        .offset:         48
        .size:           8
        .value_kind:     global_buffer
      - .address_space:  global
        .offset:         56
        .size:           8
        .value_kind:     global_buffer
      - .offset:         64
        .size:           4
        .value_kind:     by_value
      - .offset:         68
        .size:           4
        .value_kind:     by_value
      - .offset:         72
        .size:           4
        .value_kind:     by_value
      - .offset:         76
        .size:           4
        .value_kind:     by_value
      - .offset:         80
        .size:           4
        .value_kind:     by_value
      - .offset:         84
        .size:           4
        .value_kind:     by_value
      - .offset:         88
        .size:           4
        .value_kind:     by_value
      - .offset:         92
        .size:           12
        .value_kind:     by_value
      - .offset:         104
        .size:           4
        .value_kind:     by_value
      - .offset:         108
        .size:           4
        .value_kind:     by_value
      - .offset:         112
        .size:           4
        .value_kind:     by_value
      - .offset:         116
        .size:           4
        .value_kind:     by_value
      - .offset:         120
        .size:           4
        .value_kind:     by_value
      - .offset:         124
        .size:           4
        .value_kind:     by_value
      - .offset:         128
        .size:           4
        .value_kind:     by_value
      - .offset:         132
        .size:           4
        .value_kind:     by_value
      - .offset:         136
        .size:           4
        .value_kind:     by_value
      - .offset:         140
        .size:           4
        .value_kind:     by_value
      - .offset:         144
        .size:           4
        .value_kind:     by_value
      - .offset:         152
        .size:           8
        .value_kind:     by_value
      - .offset:         160
        .size:           4
        .value_kind:     by_value
      - .offset:         164
        .size:           4
        .value_kind:     by_value
      - .offset:         168
        .size:           8
        .value_kind:     by_value
      - .offset:         176
        .size:           4
        .value_kind:     by_value
      - .offset:         180
        .size:           4
        .value_kind:     by_value
      - .offset:         184
        .size:           4
        .value_kind:     by_value
      - .offset:         188
        .size:           4
        .value_kind:     by_value
      - .offset:         192
        .size:           4
        .value_kind:     by_value
      - .offset:         200
        .size:           8
        .value_kind:     by_value
      - .offset:         208
        .size:           4
        .value_kind:     hidden_block_count_x
      - .offset:         212
        .size:           4
        .value_kind:     hidden_block_count_y
      - .offset:         216
        .size:           4
        .value_kind:     hidden_block_count_z
      - .offset:         220
        .size:           2
        .value_kind:     hidden_group_size_x
      - .offset:         222
        .size:           2
        .value_kind:     hidden_group_size_y
      - .offset:         224
        .size:           2
        .value_kind:     hidden_group_size_z
      - .offset:         226
        .size:           2
        .value_kind:     hidden_remainder_x
      - .offset:         228
        .size:           2
        .value_kind:     hidden_remainder_y
      - .offset:         230
        .size:           2
        .value_kind:     hidden_remainder_z
      - .offset:         248
        .size:           8
        .value_kind:     hidden_global_offset_x
      - .offset:         256
        .size:           8
        .value_kind:     hidden_global_offset_y
      - .offset:         264
        .size:           8
        .value_kind:     hidden_global_offset_z
      - .offset:         272
        .size:           2
        .value_kind:     hidden_grid_dims
      - .offset:         288
        .size:           8
        .value_kind:     hidden_hostcall_buffer
    .group_segment_fixed_size: 0
    .kernarg_segment_align: 8
    .kernarg_segment_size: 464
    .language:       OpenCL C
    .language_version:
      - 2
      - 0
    .max_flat_workgroup_size: 256
    .name:           _ZL18flash_attn_ext_f16ILi576ELi512ELi16ELi4ELb1ELb1EEvPKcS1_S1_S1_S1_PKiPfP15HIP_vector_typeIfLj2EEffffjfiS5_IjLj3EEiiiiiiiiiiiliiliiiiil
    .private_segment_fixed_size: 16
    .sgpr_count:     40
    .sgpr_spill_count: 0
    .symbol:         _ZL18flash_attn_ext_f16ILi576ELi512ELi16ELi4ELb1ELb1EEvPKcS1_S1_S1_S1_PKiPfP15HIP_vector_typeIfLj2EEffffjfiS5_IjLj3EEiiiiiiiiiiiliiliiiiil.kd
    .uniform_work_group_size: 1
    .uses_dynamic_stack: false
    .vgpr_count:     39
    .vgpr_spill_count: 0
    .wavefront_size: 64
amdhsa.target:   amdgcn-amd-amdhsa--gfx90a
amdhsa.version:
  - 1
  - 2
...

	.end_amdgpu_metadata
